;; amdgpu-corpus repo=ggml-org/llama.cpp kind=compiled arch=gfx1030 opt=O3
	.amdgcn_target "amdgcn-amd-amdhsa--gfx1030"
	.amdhsa_code_object_version 6
	.section	.text._ZL15flash_attn_tileILi112ELi112ELi8ELi8ELb0EEvPKcS1_S1_S1_S1_PKiPfP15HIP_vector_typeIfLj2EEffffjfiS5_IjLj3EEiiiiiiiiiiiliiliiiiil,"axG",@progbits,_ZL15flash_attn_tileILi112ELi112ELi8ELi8ELb0EEvPKcS1_S1_S1_S1_PKiPfP15HIP_vector_typeIfLj2EEffffjfiS5_IjLj3EEiiiiiiiiiiiliiliiiiil,comdat
	.globl	_ZL15flash_attn_tileILi112ELi112ELi8ELi8ELb0EEvPKcS1_S1_S1_S1_PKiPfP15HIP_vector_typeIfLj2EEffffjfiS5_IjLj3EEiiiiiiiiiiiliiliiiiil ; -- Begin function _ZL15flash_attn_tileILi112ELi112ELi8ELi8ELb0EEvPKcS1_S1_S1_S1_PKiPfP15HIP_vector_typeIfLj2EEffffjfiS5_IjLj3EEiiiiiiiiiiiliiliiiiil
	.p2align	8
	.type	_ZL15flash_attn_tileILi112ELi112ELi8ELi8ELb0EEvPKcS1_S1_S1_S1_PKiPfP15HIP_vector_typeIfLj2EEffffjfiS5_IjLj3EEiiiiiiiiiiiliiliiiiil,@function
_ZL15flash_attn_tileILi112ELi112ELi8ELi8ELb0EEvPKcS1_S1_S1_S1_PKiPfP15HIP_vector_typeIfLj2EEffffjfiS5_IjLj3EEiiiiiiiiiiiliiliiiiil: ; @_ZL15flash_attn_tileILi112ELi112ELi8ELi8ELb0EEvPKcS1_S1_S1_S1_PKiPfP15HIP_vector_typeIfLj2EEffffjfiS5_IjLj3EEiiiiiiiiiiiliiliiiiil
; %bb.0:
	s_clause 0x1
	s_load_dwordx4 s[24:27], s[4:5], 0x5c
	s_load_dwordx2 s[30:31], s[4:5], 0x80
	s_mov_b64 s[34:35], 0
	s_waitcnt lgkmcnt(0)
	s_ashr_i32 s0, s27, 31
	s_lshr_b32 s0, s0, 29
	s_add_i32 s0, s27, s0
	s_ashr_i32 s0, s0, 3
	v_cvt_f32_u32_e32 v2, s0
	s_sub_i32 s2, 0, s0
	v_rcp_iflag_f32_e32 v2, v2
	v_mul_f32_e32 v2, 0x4f7ffffe, v2
	v_cvt_u32_f32_e32 v2, v2
	v_readfirstlane_b32 s1, v2
	s_mul_i32 s2, s2, s1
	s_mul_hi_u32 s2, s1, s2
	s_add_i32 s1, s1, s2
	s_mul_hi_u32 s1, s8, s1
	s_mul_i32 s2, s1, s0
	s_add_i32 s3, s1, 1
	s_sub_i32 s2, s8, s2
	s_sub_i32 s9, s2, s0
	s_cmp_ge_u32 s2, s0
	s_cselect_b32 s1, s3, s1
	s_cselect_b32 s2, s9, s2
	s_add_i32 s3, s1, 1
	s_cmp_ge_u32 s2, s0
	s_cselect_b32 s33, s3, s1
	s_abs_i32 s0, s31
	s_abs_i32 s3, s27
	v_cvt_f32_u32_e32 v2, s0
	s_sub_i32 s2, 0, s0
	v_rcp_iflag_f32_e32 v2, v2
	v_mul_f32_e32 v2, 0x4f7ffffe, v2
	v_cvt_u32_f32_e32 v2, v2
	v_readfirstlane_b32 s1, v2
	s_mul_i32 s2, s2, s1
	s_mul_hi_u32 s2, s1, s2
	s_add_i32 s1, s1, s2
	s_lshl_b32 s2, s8, 3
	s_mul_hi_u32 s1, s3, s1
	s_xor_b32 s8, s27, s31
	s_mul_i32 s9, s1, s0
	s_ashr_i32 s8, s8, 31
	s_sub_i32 s3, s3, s9
	s_add_i32 s9, s1, 1
	s_sub_i32 s10, s3, s0
	s_cmp_ge_u32 s3, s0
	s_cselect_b32 s1, s9, s1
	s_cselect_b32 s3, s10, s3
	s_add_i32 s9, s1, 1
	s_cmp_ge_u32 s3, s0
	s_mul_i32 s3, s33, s27
	s_cselect_b32 s0, s9, s1
	s_xor_b32 s0, s0, s8
	s_sub_i32 s13, s0, s8
	s_clause 0x1
	s_load_dwordx16 s[36:51], s[4:5], 0x0
	s_load_dwordx2 s[0:1], s[4:5], 0xb8
	s_abs_i32 s12, s13
	v_cvt_f32_u32_e32 v2, s12
	v_rcp_iflag_f32_e32 v2, v2
	v_mul_f32_e32 v2, 0x4f7ffffe, v2
	s_waitcnt lgkmcnt(0)
	s_cmp_eq_u64 s[42:43], 0
	v_cvt_u32_f32_e32 v2, v2
	v_readfirstlane_b32 s14, v2
	s_cbranch_scc1 .LBB0_2
; %bb.1:
	s_abs_i32 s0, s0
	s_abs_i32 s10, s33
	v_cvt_f32_u32_e32 v2, s0
	s_sub_i32 s9, 0, s0
	v_rcp_iflag_f32_e32 v2, v2
	v_mul_f32_e32 v2, 0x4f7ffffe, v2
	v_cvt_u32_f32_e32 v2, v2
	v_readfirstlane_b32 s8, v2
	s_mul_i32 s9, s9, s8
	s_mul_hi_u32 s9, s8, s9
	s_add_i32 s8, s8, s9
	s_mul_hi_u32 s11, s10, s8
	s_load_dwordx2 s[8:9], s[4:5], 0xc8
	s_mul_i32 s11, s11, s0
	s_sub_i32 s10, s10, s11
	s_ashr_i32 s11, s33, 31
	s_sub_i32 s15, s10, s0
	s_cmp_ge_u32 s10, s0
	s_cselect_b32 s10, s15, s10
	s_sub_i32 s15, s10, s0
	s_cmp_ge_u32 s10, s0
	s_cselect_b32 s0, s15, s10
	s_xor_b32 s0, s0, s11
	s_sub_i32 s0, s0, s11
	s_ashr_i32 s10, s0, 31
	s_waitcnt lgkmcnt(0)
	s_mul_hi_u32 s11, s8, s0
	s_mul_i32 s10, s8, s10
	s_mul_i32 s9, s9, s0
	s_add_i32 s10, s11, s10
	s_mul_i32 s0, s8, s0
	s_add_i32 s10, s10, s9
	s_add_u32 s34, s42, s0
	s_addc_u32 s35, s43, s10
.LBB0_2:
	v_lshl_add_u32 v106, s6, 3, v1
	v_cmp_gt_u32_e64 s0, 28, v0
	v_lshlrev_b32_e32 v105, 2, v0
	v_lshlrev_b32_e32 v122, 3, v0
	s_sub_i32 s28, s2, s3
	v_mul_hi_u32 v2, s24, v106
	v_add_nc_u32_e32 v2, v106, v2
	v_lshrrev_b32_e32 v2, s25, v2
	v_mul_lo_u32 v2, v2, s26
	v_sub_nc_u32_e32 v2, v106, v2
	s_and_saveexec_b32 s15, s0
	s_cbranch_execz .LBB0_4
; %bb.3:
	s_load_dwordx4 s[8:11], s[4:5], 0x70
	v_mad_u32_u24 v35, 0x700, v1, v122
	s_waitcnt lgkmcnt(0)
	s_mul_i32 s3, s33, s10
	s_mul_i32 s10, s28, s9
	s_ashr_i32 s11, s3, 31
	s_add_u32 s3, s36, s3
	s_addc_u32 s11, s37, s11
	s_ashr_i32 s16, s10, 31
	s_add_u32 s17, s3, s10
	s_mov_b32 s2, s8
	s_addc_u32 s16, s11, s16
	s_ashr_i32 s3, s8, 31
	s_and_b32 s8, s9, -4
	s_lshr_b64 s[10:11], s[2:3], 2
	s_lshr_b32 s2, s3, 2
	v_mad_u64_u32 v[3:4], null, s10, v2, 0
	s_mov_b32 s10, s9
	s_ashr_i32 s11, s9, 31
	s_and_b32 s9, s11, 0x3fffffff
	s_lshl_b64 s[18:19], s[8:9], 2
	v_mad_u64_u32 v[4:5], null, s2, v2, v[4:5]
	v_lshlrev_b32_e32 v5, 2, v105
	s_lshr_b64 s[2:3], s[10:11], 2
	v_lshlrev_b64 v[3:4], 2, v[3:4]
	v_add_co_u32 v3, vcc_lo, s17, v3
	v_add_co_ci_u32_e64 v4, null, s16, v4, vcc_lo
	s_lshl_b64 s[16:17], s[2:3], 3
	v_add_co_u32 v19, vcc_lo, v3, v5
	v_add_co_ci_u32_e64 v20, null, 0, v4, vcc_lo
	s_lshr_b32 s3, s11, 2
	v_add_co_u32 v7, vcc_lo, v19, s8
	v_mad_u64_u32 v[23:24], null, s2, 20, v[19:20]
	v_mad_u64_u32 v[27:28], null, s2, 24, v[19:20]
	v_add_co_ci_u32_e64 v8, null, s11, v20, vcc_lo
	v_add_co_u32 v11, vcc_lo, v19, s16
	v_mad_u64_u32 v[21:22], null, s2, 12, v[19:20]
	v_mad_u64_u32 v[31:32], null, s2, 28, v[19:20]
	v_add_co_ci_u32_e64 v12, null, s17, v20, vcc_lo
	v_add_co_u32 v15, vcc_lo, v19, s18
	s_clause 0x1
	global_load_dwordx4 v[3:6], v[19:20], off
	global_load_dwordx4 v[7:10], v[7:8], off
	v_add_co_ci_u32_e64 v16, null, s19, v20, vcc_lo
	v_mov_b32_e32 v19, v24
	v_mov_b32_e32 v20, v28
	v_mad_u64_u32 v[24:25], null, s3, 12, v[22:23]
	s_clause 0x1
	global_load_dwordx4 v[11:14], v[11:12], off
	global_load_dwordx4 v[15:18], v[15:16], off
	s_load_dword s2, s[4:5], 0x40
	v_mad_u64_u32 v[25:26], null, s3, 20, v[19:20]
	v_mov_b32_e32 v19, v32
	v_mad_u64_u32 v[28:29], null, s3, 24, v[20:21]
	v_mov_b32_e32 v22, v24
	;; [unrolled: 2-line block ×3, first 2 shown]
	s_clause 0x1
	global_load_dwordx4 v[19:22], v[21:22], off
	global_load_dwordx4 v[23:26], v[23:24], off
	v_mov_b32_e32 v32, v29
	s_clause 0x1
	global_load_dwordx4 v[27:30], v[27:28], off
	global_load_dwordx4 v[31:34], v[31:32], off
	s_waitcnt vmcnt(7) lgkmcnt(0)
	v_fma_mixlo_f16 v4, s2, v4, 0
	v_fma_mixlo_f16 v3, s2, v3, 0
	;; [unrolled: 1-line block ×4, first 2 shown]
	s_waitcnt vmcnt(6)
	v_fma_mixlo_f16 v7, s2, v7, 0
	v_lshlrev_b32_e32 v4, 16, v4
	v_and_b32_e32 v3, 0xffff, v3
	v_lshlrev_b32_e32 v6, 16, v6
	v_and_b32_e32 v5, 0xffff, v5
	v_fma_mixlo_f16 v8, s2, v8, 0
	v_fma_mixlo_f16 v9, s2, v9, 0
	;; [unrolled: 1-line block ×3, first 2 shown]
	s_waitcnt vmcnt(5)
	v_fma_mixlo_f16 v11, s2, v11, 0
	v_fma_mixlo_f16 v12, s2, v12, 0
	;; [unrolled: 1-line block ×4, first 2 shown]
	s_waitcnt vmcnt(4)
	v_fma_mixlo_f16 v15, s2, v15, 0
	v_fma_mixlo_f16 v16, s2, v16, 0
	;; [unrolled: 1-line block ×4, first 2 shown]
	v_or_b32_e32 v3, v4, v3
	v_or3_b32 v4, v6, v5, 0
	v_lshlrev_b32_e32 v5, 16, v8
	v_and_b32_e32 v6, 0xffff, v7
	v_lshlrev_b32_e32 v7, 16, v10
	v_and_b32_e32 v8, 0xffff, v9
	;; [unrolled: 2-line block ×6, first 2 shown]
	v_or_b32_e32 v5, v5, v6
	v_or3_b32 v6, v7, v8, 0
	v_or3_b32 v8, v11, v12, 0
	s_waitcnt vmcnt(3)
	v_fma_mixlo_f16 v11, s2, v19, 0
	v_fma_mixlo_f16 v12, s2, v20, 0
	v_or_b32_e32 v7, v9, v10
	v_or_b32_e32 v9, v13, v14
	v_or3_b32 v10, v15, v16, 0
	v_fma_mixlo_f16 v13, s2, v21, 0
	v_fma_mixlo_f16 v14, s2, v22, 0
	s_waitcnt vmcnt(2)
	v_fma_mixlo_f16 v15, s2, v23, 0
	v_fma_mixlo_f16 v16, s2, v24, 0
	;; [unrolled: 1-line block ×4, first 2 shown]
	s_waitcnt vmcnt(1)
	v_fma_mixlo_f16 v19, s2, v27, 0
	v_fma_mixlo_f16 v20, s2, v28, 0
	s_waitcnt vmcnt(0)
	v_fma_mixlo_f16 v23, s2, v31, 0
	v_fma_mixlo_f16 v24, s2, v32, 0
	v_lshlrev_b32_e32 v12, 16, v12
	v_and_b32_e32 v11, 0xffff, v11
	v_lshlrev_b32_e32 v14, 16, v14
	v_and_b32_e32 v13, 0xffff, v13
	v_lshlrev_b32_e32 v16, 16, v16
	v_and_b32_e32 v15, 0xffff, v15
	v_fma_mixlo_f16 v21, s2, v29, 0
	v_fma_mixlo_f16 v22, s2, v30, 0
	;; [unrolled: 1-line block ×4, first 2 shown]
	v_lshlrev_b32_e32 v18, 16, v18
	v_and_b32_e32 v17, 0xffff, v17
	v_lshlrev_b32_e32 v20, 16, v20
	v_and_b32_e32 v19, 0xffff, v19
	;; [unrolled: 2-line block ×3, first 2 shown]
	v_or_b32_e32 v11, v12, v11
	v_or3_b32 v12, v14, v13, 0
	v_or_b32_e32 v13, v16, v15
	v_lshlrev_b32_e32 v22, 16, v22
	v_and_b32_e32 v21, 0xffff, v21
	v_lshlrev_b32_e32 v26, 16, v26
	v_and_b32_e32 v25, 0xffff, v25
	v_or3_b32 v14, v18, v17, 0
	v_or_b32_e32 v15, v20, v19
	v_or_b32_e32 v17, v24, v23
	v_or3_b32 v3, 0, 0, v3
	v_or3_b32 v5, 0, 0, v5
	;; [unrolled: 1-line block ×10, first 2 shown]
	ds_write2_b64 v35, v[3:4], v[5:6] offset1:28
	ds_write2_b64 v35, v[7:8], v[11:12] offset0:56 offset1:84
	ds_write2_b64 v35, v[9:10], v[13:14] offset0:112 offset1:140
	;; [unrolled: 1-line block ×3, first 2 shown]
.LBB0_4:
	s_or_b32 exec_lo, exec_lo, s15
	s_cmp_eq_u64 s[46:47], 0
	s_waitcnt lgkmcnt(0)
	s_barrier
	buffer_gl0_inv
	s_cbranch_scc1 .LBB0_6
; %bb.5:
	s_load_dword s2, s[4:5], 0xd0
	s_mov_b32 s3, 0
	s_waitcnt lgkmcnt(0)
	s_mul_i32 s2, s2, s33
	s_add_i32 s2, s2, s6
	s_lshl_b64 s[2:3], s[2:3], 2
	s_add_u32 s2, s46, s2
	s_addc_u32 s3, s47, s3
	s_load_dword s30, s[2:3], 0x0
.LBB0_6:
	v_mbcnt_lo_u32_b32 v132, -1, 0
	s_lshl_b32 s29, s7, 5
	s_waitcnt lgkmcnt(0)
	s_cmp_lt_i32 s29, s30
	s_cbranch_scc1 .LBB0_9
; %bb.7:
	v_mbcnt_lo_u32_b32 v9, -1, 0
	v_mov_b32_e32 v129, 32
	v_xor_b32_e32 v161, 16, v9
	v_xor_b32_e32 v162, 8, v9
	v_xor_b32_e32 v163, 4, v9
	v_xor_b32_e32 v164, 2, v9
	v_xor_b32_e32 v165, 1, v9
	s_cbranch_execz .LBB0_10
; %bb.8:
	v_mov_b32_e32 v142, 0
	v_mov_b32_e32 v166, 0
	;; [unrolled: 1-line block ×32, first 2 shown]
	s_branch .LBB0_38
.LBB0_9:
                                        ; implicit-def: $vgpr9
                                        ; implicit-def: $vgpr129
                                        ; implicit-def: $vgpr161
                                        ; implicit-def: $vgpr162
                                        ; implicit-def: $vgpr163
                                        ; implicit-def: $vgpr164
                                        ; implicit-def: $vgpr165
.LBB0_10:
	s_clause 0x1
	s_load_dwordx4 s[8:11], s[4:5], 0x98
	s_load_dwordx2 s[2:3], s[4:5], 0x8c
	s_sub_i32 s6, 0, s12
	s_abs_i32 s15, s28
	s_mul_i32 s6, s6, s14
	s_ashr_i32 s18, s28, 31
	s_mul_hi_u32 s6, s14, s6
	s_ashr_i32 s13, s13, 31
	s_add_i32 s14, s14, s6
	s_ashr_i32 s6, s1, 1
	s_mul_hi_u32 s1, s15, s14
	s_ashr_i32 s14, s33, 31
	s_load_dwordx2 s[16:17], s[4:5], 0xa8
	s_mul_i32 s19, s1, s12
	v_lshrrev_b32_e32 v3, 1, v0
	v_lshrrev_b32_e32 v4, 2, v0
	v_and_b32_e32 v14, 4, v105
	v_lshrrev_b32_e32 v12, 3, v0
	v_and_b32_e32 v15, 12, v105
	v_lshl_add_u32 v9, v1, 4, v3
	s_waitcnt lgkmcnt(0)
	s_ashr_i32 s31, s10, 2
	s_ashr_i32 s42, s2, 2
	s_mul_hi_u32 s2, s8, s33
	s_mul_i32 s10, s8, s14
	s_mul_i32 s9, s9, s33
	s_add_i32 s2, s2, s10
	s_mul_i32 s8, s8, s33
	s_add_i32 s2, s2, s9
	s_add_u32 s8, s38, s8
	s_addc_u32 s2, s39, s2
	s_sub_i32 s10, s15, s19
	s_xor_b32 s9, s18, s13
	s_add_i32 s13, s1, 1
	s_sub_i32 s15, s10, s12
	s_cmp_ge_u32 s10, s12
	v_lshl_add_u32 v5, v1, 5, v0
	s_cselect_b32 s1, s13, s1
	s_cselect_b32 s10, s15, s10
	s_add_i32 s13, s1, 1
	s_cmp_ge_u32 s10, s12
	v_lshl_add_u32 v11, v1, 3, v4
	s_cselect_b32 s1, s13, s1
	v_lshlrev_b32_e32 v10, 2, v14
	s_xor_b32 s1, s1, s9
	v_mad_u64_u32 v[107:108], null, v2, s6, v[0:1]
	s_sub_i32 s1, s1, s9
	v_lshl_add_u32 v2, v1, 2, v12
	s_mul_i32 s3, s1, s3
	v_mul_u32_u24_e32 v12, 0xe0, v9
	s_mul_hi_u32 s10, s16, s33
	s_mul_i32 s12, s16, s14
	s_ashr_i32 s14, s3, 31
	s_add_u32 s43, s8, s3
	s_mul_i32 s9, s17, s33
	s_addc_u32 s46, s2, s14
	s_add_i32 s2, s10, s12
	v_lshlrev_b32_e32 v13, 2, v15
	s_mul_i32 s13, s16, s33
	s_mul_i32 s1, s1, s11
	s_add_i32 s2, s2, s9
	v_cmp_gt_u32_e32 vcc_lo, 32, v5
	v_mul_lo_u32 v3, s42, v5
	v_mul_lo_u32 v5, s42, v9
	v_mul_u32_u24_e32 v138, 0x700, v1
	v_lshl_or_b32 v6, v9, 7, v10
	v_mul_lo_u32 v7, s42, v11
	v_lshl_add_u32 v143, v1, 9, 0x4840
	v_or_b32_e32 v17, v12, v10
	v_mul_lo_u32 v1, s31, v9
	v_mul_lo_u32 v10, s31, v11
	;; [unrolled: 1-line block ×3, first 2 shown]
	s_add_u32 s3, s40, s13
	s_addc_u32 s9, s41, s2
	s_ashr_i32 s10, s1, 31
	s_add_u32 s40, s3, s1
	v_lshlrev_b32_e32 v4, 7, v0
	v_cmp_gt_u32_e64 s1, 32, v9
	v_lshl_or_b32 v8, v11, 7, v13
	v_cmp_gt_u32_e64 s3, 16, v9
	v_mul_u32_u24_e32 v9, 0xe0, v11
	v_and_b32_e32 v145, 28, v105
	v_cmp_gt_u32_e64 s2, 32, v11
	v_add_nc_u32_e32 v137, 0x3800, v4
	v_add_nc_u32_e32 v139, 0x3860, v4
	v_ashrrev_i32_e32 v4, 31, v3
	v_add_nc_u32_e32 v140, 0x3840, v6
	v_ashrrev_i32_e32 v6, 31, v5
	v_add_nc_u32_e32 v141, 0x3800, v8
	v_ashrrev_i32_e32 v8, 31, v7
	v_cmp_gt_u32_e64 s6, 16, v11
	v_cmp_gt_u32_e64 s8, 16, v2
	v_mul_u32_u24_e32 v18, 0xe0, v2
	v_ashrrev_i32_e32 v2, 31, v1
	v_add3_u32 v147, v9, v13, 0x3880
	v_ashrrev_i32_e32 v11, 31, v10
	v_ashrrev_i32_e32 v13, 31, v12
	v_lshlrev_b32_e32 v16, 4, v0
	v_lshlrev_b32_e32 v19, 2, v145
	v_lshlrev_b64 v[108:109], 2, v[3:4]
	v_lshlrev_b64 v[110:111], 2, v[5:6]
	;; [unrolled: 1-line block ×6, first 2 shown]
	v_mov_b32_e32 v120, 0
	v_add_nc_u32_e32 v146, 0x38c0, v17
	v_add3_u32 v148, v18, v19, 0x3800
	v_mov_b32_e32 v9, 0xfeffffff
	v_mov_b32_e32 v129, 32
	v_add_nc_u32_e32 v149, v143, v16
	v_lshlrev_b32_e32 v150, 2, v14
	v_lshlrev_b32_e32 v151, 2, v15
	v_mov_b32_e32 v152, 0x10001
	v_mov_b32_e32 v121, 0
	v_mov_b32_e32 v124, 0
	v_mov_b32_e32 v123, 0
	v_mov_b32_e32 v126, 0
	v_mov_b32_e32 v125, 0
	v_mov_b32_e32 v128, 0
	v_mov_b32_e32 v127, 0
	v_mov_b32_e32 v131, 0
	v_mov_b32_e32 v130, 0
	v_mov_b32_e32 v134, 0
	v_mov_b32_e32 v133, 0
	v_mov_b32_e32 v136, 0
	v_mov_b32_e32 v135, 0
	v_mov_b32_e32 v144, 0
	v_mov_b32_e32 v142, 0
	v_mov_b32_e32 v10, 0xfeffffff
	v_mov_b32_e32 v11, 0xfeffffff
	v_mov_b32_e32 v12, 0xfeffffff
	v_mov_b32_e32 v13, 0xfeffffff
	v_mov_b32_e32 v14, 0xfeffffff
	v_mov_b32_e32 v15, 0xfeffffff
	v_mov_b32_e32 v16, 0xfeffffff
	v_mov_b32_e32 v159, 0
	v_mov_b32_e32 v160, 0
	v_mov_b32_e32 v158, 0
	v_mov_b32_e32 v157, 0
	v_mov_b32_e32 v156, 0
	v_mov_b32_e32 v155, 0
	v_mov_b32_e32 v153, 0
	v_mov_b32_e32 v154, 0
	s_addc_u32 s41, s9, s10
	s_add_u32 s36, s4, 0xd0
	s_addc_u32 s37, s5, 0
.LBB0_11:                               ; =>This Inner Loop Header: Depth=1
	s_mul_hi_i32 s11, s29, s42
	s_mul_i32 s10, s29, s42
	s_lshl_b64 s[10:11], s[10:11], 2
	s_add_u32 s10, s43, s10
	s_addc_u32 s11, s46, s11
	s_and_saveexec_b32 s12, vcc_lo
	s_cbranch_execnz .LBB0_29
; %bb.12:                               ;   in Loop: Header=BB0_11 Depth=1
	s_or_b32 exec_lo, exec_lo, s12
	s_and_saveexec_b32 s12, s1
	s_cbranch_execnz .LBB0_30
.LBB0_13:                               ;   in Loop: Header=BB0_11 Depth=1
	s_or_b32 exec_lo, exec_lo, s12
	s_and_saveexec_b32 s12, s2
	s_cbranch_execz .LBB0_15
.LBB0_14:                               ;   in Loop: Header=BB0_11 Depth=1
	v_add_co_u32 v1, s9, s10, v112
	v_add_co_ci_u32_e64 v2, null, s11, v113, s9
	v_add_co_u32 v1, s9, v1, v151
	v_add_co_ci_u32_e64 v2, null, 0, v2, s9
	global_load_dwordx4 v[1:4], v[1:2], off
	s_waitcnt vmcnt(0)
	ds_write_b128 v141, v[1:4]
.LBB0_15:                               ;   in Loop: Header=BB0_11 Depth=1
	s_or_b32 exec_lo, exec_lo, s12
	s_waitcnt lgkmcnt(0)
	s_barrier
	buffer_gl0_inv
	ds_read_b128 v[17:20], v137
	ds_read_b128 v[21:24], v138
	ds_read_b128 v[25:28], v138 offset:224
	ds_read_b128 v[29:32], v138 offset:448
	;; [unrolled: 1-line block ×7, first 2 shown]
	v_mov_b32_e32 v1, 0
	v_mov_b32_e32 v2, 0
	;; [unrolled: 1-line block ×8, first 2 shown]
	s_waitcnt lgkmcnt(7)
	;;#ASMSTART
	v_dot2_f32_f16 v1, v17, v21, v1
	;;#ASMEND
	;;#ASMSTART
	v_dot2_f32_f16 v1, v18, v22, v1
	;;#ASMEND
	;;#ASMSTART
	v_dot2_f32_f16 v1, v19, v23, v1
	;;#ASMEND
	;;#ASMSTART
	v_dot2_f32_f16 v1, v20, v24, v1
	;;#ASMEND
	s_waitcnt lgkmcnt(6)
	;;#ASMSTART
	v_dot2_f32_f16 v2, v17, v25, v2
	;;#ASMEND
	;;#ASMSTART
	v_dot2_f32_f16 v2, v18, v26, v2
	;;#ASMEND
	;;#ASMSTART
	v_dot2_f32_f16 v2, v19, v27, v2
	;;#ASMEND
	;;#ASMSTART
	v_dot2_f32_f16 v2, v20, v28, v2
	;;#ASMEND
	;; [unrolled: 13-line block ×8, first 2 shown]
	ds_read_b128 v[17:20], v137 offset:16
	ds_read_b128 v[21:24], v138 offset:16
	;; [unrolled: 1-line block ×9, first 2 shown]
	s_waitcnt lgkmcnt(7)
	;;#ASMSTART
	v_dot2_f32_f16 v1, v17, v21, v1
	;;#ASMEND
	;;#ASMSTART
	v_dot2_f32_f16 v1, v18, v22, v1
	;;#ASMEND
	;;#ASMSTART
	v_dot2_f32_f16 v1, v19, v23, v1
	;;#ASMEND
	;;#ASMSTART
	v_dot2_f32_f16 v1, v20, v24, v1
	;;#ASMEND
	s_waitcnt lgkmcnt(6)
	;;#ASMSTART
	v_dot2_f32_f16 v2, v17, v25, v2
	;;#ASMEND
	;;#ASMSTART
	v_dot2_f32_f16 v2, v18, v26, v2
	;;#ASMEND
	;;#ASMSTART
	v_dot2_f32_f16 v2, v19, v27, v2
	;;#ASMEND
	;;#ASMSTART
	v_dot2_f32_f16 v2, v20, v28, v2
	;;#ASMEND
	;; [unrolled: 13-line block ×8, first 2 shown]
	ds_read_b128 v[17:20], v137 offset:32
	ds_read_b128 v[21:24], v138 offset:32
	;; [unrolled: 1-line block ×9, first 2 shown]
	s_waitcnt lgkmcnt(7)
	;;#ASMSTART
	v_dot2_f32_f16 v1, v17, v21, v1
	;;#ASMEND
	;;#ASMSTART
	v_dot2_f32_f16 v1, v18, v22, v1
	;;#ASMEND
	;;#ASMSTART
	v_dot2_f32_f16 v1, v19, v23, v1
	;;#ASMEND
	;;#ASMSTART
	v_dot2_f32_f16 v1, v20, v24, v1
	;;#ASMEND
	s_waitcnt lgkmcnt(6)
	;;#ASMSTART
	v_dot2_f32_f16 v2, v17, v25, v2
	;;#ASMEND
	;;#ASMSTART
	v_dot2_f32_f16 v2, v18, v26, v2
	;;#ASMEND
	;;#ASMSTART
	v_dot2_f32_f16 v2, v19, v27, v2
	;;#ASMEND
	;;#ASMSTART
	v_dot2_f32_f16 v2, v20, v28, v2
	;;#ASMEND
	;; [unrolled: 13-line block ×8, first 2 shown]
	ds_read_b128 v[17:20], v137 offset:48
	ds_read_b128 v[21:24], v138 offset:48
	;; [unrolled: 1-line block ×9, first 2 shown]
	s_waitcnt lgkmcnt(7)
	;;#ASMSTART
	v_dot2_f32_f16 v1, v17, v21, v1
	;;#ASMEND
	;;#ASMSTART
	v_dot2_f32_f16 v1, v18, v22, v1
	;;#ASMEND
	;;#ASMSTART
	v_dot2_f32_f16 v1, v19, v23, v1
	;;#ASMEND
	;;#ASMSTART
	v_dot2_f32_f16 v1, v20, v24, v1
	;;#ASMEND
	s_waitcnt lgkmcnt(6)
	;;#ASMSTART
	v_dot2_f32_f16 v2, v17, v25, v2
	;;#ASMEND
	;;#ASMSTART
	v_dot2_f32_f16 v2, v18, v26, v2
	;;#ASMEND
	;;#ASMSTART
	v_dot2_f32_f16 v2, v19, v27, v2
	;;#ASMEND
	;;#ASMSTART
	v_dot2_f32_f16 v2, v20, v28, v2
	;;#ASMEND
	;; [unrolled: 13-line block ×8, first 2 shown]
	ds_read_b128 v[17:20], v137 offset:64
	ds_read_b128 v[21:24], v138 offset:64
	;; [unrolled: 1-line block ×9, first 2 shown]
	s_waitcnt lgkmcnt(7)
	;;#ASMSTART
	v_dot2_f32_f16 v1, v17, v21, v1
	;;#ASMEND
	;;#ASMSTART
	v_dot2_f32_f16 v1, v18, v22, v1
	;;#ASMEND
	;;#ASMSTART
	v_dot2_f32_f16 v1, v19, v23, v1
	;;#ASMEND
	;;#ASMSTART
	v_dot2_f32_f16 v1, v20, v24, v1
	;;#ASMEND
	s_waitcnt lgkmcnt(6)
	;;#ASMSTART
	v_dot2_f32_f16 v2, v17, v25, v2
	;;#ASMEND
	;;#ASMSTART
	v_dot2_f32_f16 v2, v18, v26, v2
	;;#ASMEND
	;;#ASMSTART
	v_dot2_f32_f16 v2, v19, v27, v2
	;;#ASMEND
	;;#ASMSTART
	v_dot2_f32_f16 v2, v20, v28, v2
	;;#ASMEND
	;; [unrolled: 13-line block ×8, first 2 shown]
	ds_read_b128 v[17:20], v137 offset:80
	ds_read_b128 v[21:24], v138 offset:80
	;; [unrolled: 1-line block ×9, first 2 shown]
	s_waitcnt lgkmcnt(7)
	;;#ASMSTART
	v_dot2_f32_f16 v1, v17, v21, v1
	;;#ASMEND
	;;#ASMSTART
	v_dot2_f32_f16 v1, v18, v22, v1
	;;#ASMEND
	;;#ASMSTART
	v_dot2_f32_f16 v1, v19, v23, v1
	;;#ASMEND
	;;#ASMSTART
	v_dot2_f32_f16 v1, v20, v24, v1
	;;#ASMEND
	s_waitcnt lgkmcnt(6)
	;;#ASMSTART
	v_dot2_f32_f16 v2, v17, v25, v2
	;;#ASMEND
	;;#ASMSTART
	v_dot2_f32_f16 v2, v18, v26, v2
	;;#ASMEND
	;;#ASMSTART
	v_dot2_f32_f16 v2, v19, v27, v2
	;;#ASMEND
	;;#ASMSTART
	v_dot2_f32_f16 v2, v20, v28, v2
	;;#ASMEND
	;; [unrolled: 13-line block ×8, first 2 shown]
	ds_read_b128 v[17:20], v137 offset:96
	ds_read_b128 v[21:24], v138 offset:96
	;; [unrolled: 1-line block ×9, first 2 shown]
	s_waitcnt lgkmcnt(7)
	;;#ASMSTART
	v_dot2_f32_f16 v1, v17, v21, v1
	;;#ASMEND
	;;#ASMSTART
	v_dot2_f32_f16 v1, v18, v22, v1
	;;#ASMEND
	;;#ASMSTART
	v_dot2_f32_f16 v1, v19, v23, v1
	;;#ASMEND
	;;#ASMSTART
	v_dot2_f32_f16 v1, v20, v24, v1
	;;#ASMEND
	s_waitcnt lgkmcnt(6)
	;;#ASMSTART
	v_dot2_f32_f16 v2, v17, v25, v2
	;;#ASMEND
	;;#ASMSTART
	v_dot2_f32_f16 v2, v18, v26, v2
	;;#ASMEND
	;;#ASMSTART
	v_dot2_f32_f16 v2, v19, v27, v2
	;;#ASMEND
	;;#ASMSTART
	v_dot2_f32_f16 v2, v20, v28, v2
	;;#ASMEND
	;; [unrolled: 13-line block ×8, first 2 shown]
	s_barrier
	buffer_gl0_inv
	s_and_saveexec_b32 s12, vcc_lo
	s_cbranch_execnz .LBB0_31
; %bb.16:                               ;   in Loop: Header=BB0_11 Depth=1
	s_or_b32 exec_lo, exec_lo, s12
	s_and_saveexec_b32 s12, s1
	s_cbranch_execnz .LBB0_32
.LBB0_17:                               ;   in Loop: Header=BB0_11 Depth=1
	s_or_b32 exec_lo, exec_lo, s12
	s_and_saveexec_b32 s12, s2
	s_cbranch_execz .LBB0_19
.LBB0_18:                               ;   in Loop: Header=BB0_11 Depth=1
	v_add_co_u32 v17, s9, s10, v112
	v_add_co_ci_u32_e64 v18, null, s11, v113, s9
	v_add_co_u32 v17, s9, v17, v151
	v_add_co_ci_u32_e64 v18, null, 0, v18, s9
	global_load_dwordx4 v[17:20], v[17:18], off offset:112
	s_waitcnt vmcnt(0)
	ds_write_b128 v141, v[17:20]
.LBB0_19:                               ;   in Loop: Header=BB0_11 Depth=1
	s_or_b32 exec_lo, exec_lo, s12
	s_waitcnt lgkmcnt(0)
	s_barrier
	buffer_gl0_inv
	ds_read_b128 v[17:20], v137
	ds_read_b128 v[21:24], v138 offset:112
	ds_read_b128 v[25:28], v138 offset:336
	;; [unrolled: 1-line block ×8, first 2 shown]
	v_add_nc_u32_e32 v53, s29, v107
	v_xor_b32_e32 v161, 16, v132
	v_xor_b32_e32 v162, 8, v132
	;; [unrolled: 1-line block ×4, first 2 shown]
	v_ashrrev_i32_e32 v54, 31, v53
	v_xor_b32_e32 v165, 1, v132
	s_mul_hi_i32 s39, s29, s31
	s_mul_i32 s38, s29, s31
	s_waitcnt lgkmcnt(7)
	;;#ASMSTART
	v_dot2_f32_f16 v1, v17, v21, v1
	;;#ASMEND
	;;#ASMSTART
	v_dot2_f32_f16 v1, v18, v22, v1
	;;#ASMEND
	;;#ASMSTART
	v_dot2_f32_f16 v1, v19, v23, v1
	;;#ASMEND
	;;#ASMSTART
	v_dot2_f32_f16 v1, v20, v24, v1
	;;#ASMEND
	s_waitcnt lgkmcnt(6)
	;;#ASMSTART
	v_dot2_f32_f16 v2, v17, v25, v2
	;;#ASMEND
	;;#ASMSTART
	v_dot2_f32_f16 v2, v18, v26, v2
	;;#ASMEND
	;;#ASMSTART
	v_dot2_f32_f16 v2, v19, v27, v2
	;;#ASMEND
	;;#ASMSTART
	v_dot2_f32_f16 v2, v20, v28, v2
	;;#ASMEND
	;; [unrolled: 13-line block ×8, first 2 shown]
	ds_read_b128 v[17:20], v137 offset:16
	ds_read_b128 v[21:24], v138 offset:128
	;; [unrolled: 1-line block ×9, first 2 shown]
	s_lshl_b64 s[38:39], s[38:39], 2
	s_waitcnt lgkmcnt(7)
	;;#ASMSTART
	v_dot2_f32_f16 v1, v17, v21, v1
	;;#ASMEND
	;;#ASMSTART
	v_dot2_f32_f16 v1, v18, v22, v1
	;;#ASMEND
	;;#ASMSTART
	v_dot2_f32_f16 v1, v19, v23, v1
	;;#ASMEND
	;;#ASMSTART
	v_dot2_f32_f16 v1, v20, v24, v1
	;;#ASMEND
	s_waitcnt lgkmcnt(6)
	;;#ASMSTART
	v_dot2_f32_f16 v2, v17, v25, v2
	;;#ASMEND
	;;#ASMSTART
	v_dot2_f32_f16 v2, v18, v26, v2
	;;#ASMEND
	;;#ASMSTART
	v_dot2_f32_f16 v2, v19, v27, v2
	;;#ASMEND
	;;#ASMSTART
	v_dot2_f32_f16 v2, v20, v28, v2
	;;#ASMEND
	;; [unrolled: 13-line block ×8, first 2 shown]
	ds_read_b128 v[17:20], v137 offset:32
	ds_read_b128 v[21:24], v138 offset:144
	;; [unrolled: 1-line block ×9, first 2 shown]
	s_waitcnt lgkmcnt(7)
	;;#ASMSTART
	v_dot2_f32_f16 v1, v17, v21, v1
	;;#ASMEND
	;;#ASMSTART
	v_dot2_f32_f16 v1, v18, v22, v1
	;;#ASMEND
	;;#ASMSTART
	v_dot2_f32_f16 v1, v19, v23, v1
	;;#ASMEND
	;;#ASMSTART
	v_dot2_f32_f16 v1, v20, v24, v1
	;;#ASMEND
	s_waitcnt lgkmcnt(6)
	;;#ASMSTART
	v_dot2_f32_f16 v2, v17, v25, v2
	;;#ASMEND
	;;#ASMSTART
	v_dot2_f32_f16 v2, v18, v26, v2
	;;#ASMEND
	;;#ASMSTART
	v_dot2_f32_f16 v2, v19, v27, v2
	;;#ASMEND
	;;#ASMSTART
	v_dot2_f32_f16 v2, v20, v28, v2
	;;#ASMEND
	s_waitcnt lgkmcnt(5)
	;;#ASMSTART
	v_dot2_f32_f16 v3, v17, v29, v3
	;;#ASMEND
	;;#ASMSTART
	v_dot2_f32_f16 v3, v18, v30, v3
	;;#ASMEND
	;;#ASMSTART
	v_dot2_f32_f16 v3, v19, v31, v3
	;;#ASMEND
	;;#ASMSTART
	v_dot2_f32_f16 v3, v20, v32, v3
	;;#ASMEND
	s_waitcnt lgkmcnt(4)
	;;#ASMSTART
	v_dot2_f32_f16 v4, v17, v33, v4
	;;#ASMEND
	;;#ASMSTART
	v_dot2_f32_f16 v4, v18, v34, v4
	;;#ASMEND
	;;#ASMSTART
	v_dot2_f32_f16 v4, v19, v35, v4
	;;#ASMEND
	;;#ASMSTART
	v_dot2_f32_f16 v4, v20, v36, v4
	;;#ASMEND
	s_waitcnt lgkmcnt(3)
	;;#ASMSTART
	v_dot2_f32_f16 v5, v17, v37, v5
	;;#ASMEND
	;;#ASMSTART
	v_dot2_f32_f16 v5, v18, v38, v5
	;;#ASMEND
	;;#ASMSTART
	v_dot2_f32_f16 v5, v19, v39, v5
	;;#ASMEND
	;;#ASMSTART
	v_dot2_f32_f16 v5, v20, v40, v5
	;;#ASMEND
	s_waitcnt lgkmcnt(2)
	;;#ASMSTART
	v_dot2_f32_f16 v6, v17, v41, v6
	;;#ASMEND
	;;#ASMSTART
	v_dot2_f32_f16 v6, v18, v42, v6
	;;#ASMEND
	;;#ASMSTART
	v_dot2_f32_f16 v6, v19, v43, v6
	;;#ASMEND
	;;#ASMSTART
	v_dot2_f32_f16 v6, v20, v44, v6
	;;#ASMEND
	s_waitcnt lgkmcnt(1)
	;;#ASMSTART
	v_dot2_f32_f16 v7, v17, v45, v7
	;;#ASMEND
	;;#ASMSTART
	v_dot2_f32_f16 v7, v18, v46, v7
	;;#ASMEND
	;;#ASMSTART
	v_dot2_f32_f16 v7, v19, v47, v7
	;;#ASMEND
	;;#ASMSTART
	v_dot2_f32_f16 v7, v20, v48, v7
	;;#ASMEND
	s_waitcnt lgkmcnt(0)
	;;#ASMSTART
	v_dot2_f32_f16 v8, v17, v49, v8
	;;#ASMEND
	;;#ASMSTART
	v_dot2_f32_f16 v8, v18, v50, v8
	;;#ASMEND
	;;#ASMSTART
	v_dot2_f32_f16 v8, v19, v51, v8
	;;#ASMEND
	;;#ASMSTART
	v_dot2_f32_f16 v8, v20, v52, v8
	;;#ASMEND
	ds_read_b128 v[17:20], v137 offset:48
	ds_read_b128 v[21:24], v138 offset:160
	;; [unrolled: 1-line block ×9, first 2 shown]
	s_waitcnt lgkmcnt(7)
	;;#ASMSTART
	v_dot2_f32_f16 v1, v17, v21, v1
	;;#ASMEND
	;;#ASMSTART
	v_dot2_f32_f16 v1, v18, v22, v1
	;;#ASMEND
	;;#ASMSTART
	v_dot2_f32_f16 v1, v19, v23, v1
	;;#ASMEND
	;;#ASMSTART
	v_dot2_f32_f16 v1, v20, v24, v1
	;;#ASMEND
	s_waitcnt lgkmcnt(6)
	;;#ASMSTART
	v_dot2_f32_f16 v2, v17, v25, v2
	;;#ASMEND
	;;#ASMSTART
	v_dot2_f32_f16 v2, v18, v26, v2
	;;#ASMEND
	;;#ASMSTART
	v_dot2_f32_f16 v2, v19, v27, v2
	;;#ASMEND
	;;#ASMSTART
	v_dot2_f32_f16 v2, v20, v28, v2
	;;#ASMEND
	;; [unrolled: 13-line block ×8, first 2 shown]
	ds_read_b128 v[17:20], v137 offset:64
	ds_read_b128 v[21:24], v138 offset:176
	;; [unrolled: 1-line block ×9, first 2 shown]
	s_waitcnt lgkmcnt(7)
	;;#ASMSTART
	v_dot2_f32_f16 v1, v17, v21, v1
	;;#ASMEND
	;;#ASMSTART
	v_dot2_f32_f16 v1, v18, v22, v1
	;;#ASMEND
	;;#ASMSTART
	v_dot2_f32_f16 v1, v19, v23, v1
	;;#ASMEND
	;;#ASMSTART
	v_dot2_f32_f16 v1, v20, v24, v1
	;;#ASMEND
	s_waitcnt lgkmcnt(6)
	;;#ASMSTART
	v_dot2_f32_f16 v2, v17, v25, v2
	;;#ASMEND
	;;#ASMSTART
	v_dot2_f32_f16 v2, v18, v26, v2
	;;#ASMEND
	;;#ASMSTART
	v_dot2_f32_f16 v2, v19, v27, v2
	;;#ASMEND
	;;#ASMSTART
	v_dot2_f32_f16 v2, v20, v28, v2
	;;#ASMEND
	;; [unrolled: 13-line block ×8, first 2 shown]
	ds_read_b128 v[17:20], v137 offset:80
	ds_read_b128 v[21:24], v138 offset:192
	;; [unrolled: 1-line block ×9, first 2 shown]
	s_waitcnt lgkmcnt(7)
	;;#ASMSTART
	v_dot2_f32_f16 v1, v17, v21, v1
	;;#ASMEND
	;;#ASMSTART
	v_dot2_f32_f16 v1, v18, v22, v1
	;;#ASMEND
	;;#ASMSTART
	v_dot2_f32_f16 v1, v19, v23, v1
	;;#ASMEND
	;;#ASMSTART
	v_dot2_f32_f16 v1, v20, v24, v1
	;;#ASMEND
	s_waitcnt lgkmcnt(6)
	;;#ASMSTART
	v_dot2_f32_f16 v2, v17, v25, v2
	;;#ASMEND
	;;#ASMSTART
	v_dot2_f32_f16 v2, v18, v26, v2
	;;#ASMEND
	;;#ASMSTART
	v_dot2_f32_f16 v2, v19, v27, v2
	;;#ASMEND
	;;#ASMSTART
	v_dot2_f32_f16 v2, v20, v28, v2
	;;#ASMEND
	s_waitcnt lgkmcnt(5)
	;;#ASMSTART
	v_dot2_f32_f16 v3, v17, v29, v3
	;;#ASMEND
	;;#ASMSTART
	v_dot2_f32_f16 v3, v18, v30, v3
	;;#ASMEND
	;;#ASMSTART
	v_dot2_f32_f16 v3, v19, v31, v3
	;;#ASMEND
	;;#ASMSTART
	v_dot2_f32_f16 v3, v20, v32, v3
	;;#ASMEND
	s_waitcnt lgkmcnt(4)
	;;#ASMSTART
	v_dot2_f32_f16 v4, v17, v33, v4
	;;#ASMEND
	;;#ASMSTART
	v_dot2_f32_f16 v4, v18, v34, v4
	;;#ASMEND
	;;#ASMSTART
	v_dot2_f32_f16 v4, v19, v35, v4
	;;#ASMEND
	;;#ASMSTART
	v_dot2_f32_f16 v4, v20, v36, v4
	;;#ASMEND
	s_waitcnt lgkmcnt(3)
	;;#ASMSTART
	v_dot2_f32_f16 v5, v17, v37, v5
	;;#ASMEND
	;;#ASMSTART
	v_dot2_f32_f16 v5, v18, v38, v5
	;;#ASMEND
	;;#ASMSTART
	v_dot2_f32_f16 v5, v19, v39, v5
	;;#ASMEND
	;;#ASMSTART
	v_dot2_f32_f16 v5, v20, v40, v5
	;;#ASMEND
	s_waitcnt lgkmcnt(2)
	;;#ASMSTART
	v_dot2_f32_f16 v6, v17, v41, v6
	;;#ASMEND
	;;#ASMSTART
	v_dot2_f32_f16 v6, v18, v42, v6
	;;#ASMEND
	;;#ASMSTART
	v_dot2_f32_f16 v6, v19, v43, v6
	;;#ASMEND
	;;#ASMSTART
	v_dot2_f32_f16 v6, v20, v44, v6
	;;#ASMEND
	s_waitcnt lgkmcnt(1)
	;;#ASMSTART
	v_dot2_f32_f16 v7, v17, v45, v7
	;;#ASMEND
	;;#ASMSTART
	v_dot2_f32_f16 v7, v18, v46, v7
	;;#ASMEND
	;;#ASMSTART
	v_dot2_f32_f16 v7, v19, v47, v7
	;;#ASMEND
	;;#ASMSTART
	v_dot2_f32_f16 v7, v20, v48, v7
	;;#ASMEND
	s_waitcnt lgkmcnt(0)
	;;#ASMSTART
	v_dot2_f32_f16 v8, v17, v49, v8
	;;#ASMEND
	;;#ASMSTART
	v_dot2_f32_f16 v8, v18, v50, v8
	;;#ASMEND
	;;#ASMSTART
	v_dot2_f32_f16 v8, v19, v51, v8
	;;#ASMEND
	;;#ASMSTART
	v_dot2_f32_f16 v8, v20, v52, v8
	;;#ASMEND
	ds_read_b128 v[17:20], v137 offset:96
	ds_read_b128 v[21:24], v138 offset:208
	;; [unrolled: 1-line block ×3, first 2 shown]
	v_lshlrev_b64 v[37:38], 1, v[53:54]
	ds_read_b128 v[29:32], v138 offset:656
	ds_read_b128 v[33:36], v138 offset:880
	s_add_u32 s38, s40, s38
	s_addc_u32 s39, s41, s39
	v_add_co_u32 v53, s9, s34, v37
	v_add_co_ci_u32_e64 v54, null, s35, v38, s9
	ds_read_b128 v[37:40], v138 offset:1104
	ds_read_b128 v[41:44], v138 offset:1328
	;; [unrolled: 1-line block ×4, first 2 shown]
	s_waitcnt lgkmcnt(7)
	;;#ASMSTART
	v_dot2_f32_f16 v1, v17, v21, v1
	;;#ASMEND
	;;#ASMSTART
	v_dot2_f32_f16 v1, v18, v22, v1
	;;#ASMEND
	;;#ASMSTART
	v_dot2_f32_f16 v1, v19, v23, v1
	;;#ASMEND
	;;#ASMSTART
	v_dot2_f32_f16 v1, v20, v24, v1
	;;#ASMEND
	s_waitcnt lgkmcnt(6)
	;;#ASMSTART
	v_dot2_f32_f16 v2, v17, v25, v2
	;;#ASMEND
	;;#ASMSTART
	v_dot2_f32_f16 v2, v18, v26, v2
	;;#ASMEND
	;;#ASMSTART
	v_dot2_f32_f16 v2, v19, v27, v2
	;;#ASMEND
	;;#ASMSTART
	v_dot2_f32_f16 v2, v20, v28, v2
	;;#ASMEND
	;; [unrolled: 13-line block ×8, first 2 shown]
	global_load_ushort v17, v[53:54], off
	v_cmp_gt_i32_e64 s9, 32, v161
	v_max_f32_e32 v18, v9, v9
	v_max_f32_e32 v19, v10, v10
	v_max_f32_e32 v20, v11, v11
	v_max_f32_e32 v21, v12, v12
	v_cndmask_b32_e64 v23, v132, v161, s9
	v_max_f32_e32 v22, v13, v13
	v_max_f32_e32 v24, v14, v14
	;; [unrolled: 1-line block ×4, first 2 shown]
	v_lshlrev_b32_e32 v23, 2, v23
	v_cmp_gt_i32_e64 s9, 32, v162
	s_waitcnt vmcnt(0)
	s_barrier
	buffer_gl0_inv
	v_cvt_f32_f16_e32 v17, v17
	v_add_f32_e32 v27, v1, v17
	v_add_f32_e32 v28, v2, v17
	;; [unrolled: 1-line block ×16, first 2 shown]
	v_max_f32_e32 v1, v18, v1
	v_max_f32_e32 v2, v19, v2
	;; [unrolled: 1-line block ×8, first 2 shown]
	ds_bpermute_b32 v18, v23, v1
	ds_bpermute_b32 v19, v23, v2
	;; [unrolled: 1-line block ×8, first 2 shown]
	v_cndmask_b32_e64 v26, v132, v162, s9
	v_cmp_gt_i32_e64 s9, 32, v163
	v_lshlrev_b32_e32 v26, 2, v26
	s_waitcnt lgkmcnt(7)
	v_max_f32_e32 v18, v18, v18
	s_waitcnt lgkmcnt(6)
	v_max_f32_e32 v19, v19, v19
	;; [unrolled: 2-line block ×5, first 2 shown]
	v_max_f32_e32 v1, v1, v18
	s_waitcnt lgkmcnt(1)
	v_max_f32_e32 v25, v25, v25
	s_waitcnt lgkmcnt(0)
	v_max_f32_e32 v23, v23, v23
	v_max_f32_e32 v2, v2, v19
	;; [unrolled: 1-line block ×3, first 2 shown]
	ds_bpermute_b32 v18, v26, v1
	v_max_f32_e32 v7, v7, v25
	v_max_f32_e32 v8, v8, v23
	ds_bpermute_b32 v19, v26, v2
	v_max_f32_e32 v24, v24, v24
	v_max_f32_e32 v4, v4, v21
	ds_bpermute_b32 v20, v26, v3
	ds_bpermute_b32 v25, v26, v8
	v_max_f32_e32 v5, v5, v22
	v_max_f32_e32 v6, v6, v24
	ds_bpermute_b32 v21, v26, v4
	ds_bpermute_b32 v24, v26, v7
	;; [unrolled: 1-line block ×4, first 2 shown]
	v_cndmask_b32_e64 v26, v132, v163, s9
	v_cmp_gt_i32_e64 s9, 32, v164
	s_waitcnt lgkmcnt(7)
	v_max_f32_e32 v18, v18, v18
	v_lshlrev_b32_e32 v26, 2, v26
	s_waitcnt lgkmcnt(6)
	v_max_f32_e32 v19, v19, v19
	v_max_f32_e32 v1, v1, v18
	s_waitcnt lgkmcnt(5)
	v_max_f32_e32 v20, v20, v20
	s_waitcnt lgkmcnt(4)
	v_max_f32_e32 v25, v25, v25
	v_max_f32_e32 v2, v2, v19
	ds_bpermute_b32 v18, v26, v1
	s_waitcnt lgkmcnt(4)
	v_max_f32_e32 v21, v21, v21
	v_max_f32_e32 v8, v8, v25
	;; [unrolled: 1-line block ×3, first 2 shown]
	ds_bpermute_b32 v19, v26, v2
	s_waitcnt lgkmcnt(3)
	v_max_f32_e32 v22, v22, v22
	s_waitcnt lgkmcnt(2)
	v_max_f32_e32 v23, v23, v23
	ds_bpermute_b32 v25, v26, v8
	v_max_f32_e32 v24, v24, v24
	v_max_f32_e32 v4, v4, v21
	ds_bpermute_b32 v20, v26, v3
	v_max_f32_e32 v5, v5, v22
	v_max_f32_e32 v6, v6, v23
	;; [unrolled: 1-line block ×3, first 2 shown]
	ds_bpermute_b32 v21, v26, v4
	ds_bpermute_b32 v22, v26, v5
	;; [unrolled: 1-line block ×4, first 2 shown]
	v_cndmask_b32_e64 v26, v132, v164, s9
	s_waitcnt lgkmcnt(7)
	v_max_f32_e32 v18, v18, v18
	v_cmp_gt_i32_e64 s9, 32, v165
	v_lshlrev_b32_e32 v26, 2, v26
	s_waitcnt lgkmcnt(6)
	v_max_f32_e32 v19, v19, v19
	v_max_f32_e32 v1, v1, v18
	s_waitcnt lgkmcnt(5)
	v_max_f32_e32 v25, v25, v25
	s_waitcnt lgkmcnt(4)
	v_max_f32_e32 v20, v20, v20
	v_max_f32_e32 v2, v2, v19
	v_max_f32_e32 v8, v8, v25
	ds_bpermute_b32 v18, v26, v1
	s_waitcnt lgkmcnt(4)
	v_max_f32_e32 v21, v21, v21
	v_max_f32_e32 v3, v3, v20
	ds_bpermute_b32 v19, v26, v2
	ds_bpermute_b32 v25, v26, v8
	s_waitcnt lgkmcnt(5)
	v_max_f32_e32 v22, v22, v22
	s_waitcnt lgkmcnt(4)
	v_max_f32_e32 v23, v23, v23
	;; [unrolled: 2-line block ×3, first 2 shown]
	v_max_f32_e32 v4, v4, v21
	ds_bpermute_b32 v20, v26, v3
	v_max_f32_e32 v5, v5, v22
	v_max_f32_e32 v6, v6, v23
	;; [unrolled: 1-line block ×3, first 2 shown]
	ds_bpermute_b32 v21, v26, v4
	ds_bpermute_b32 v22, v26, v5
	;; [unrolled: 1-line block ×4, first 2 shown]
	v_cndmask_b32_e64 v26, v132, v165, s9
	s_waitcnt lgkmcnt(7)
	v_max_f32_e32 v18, v18, v18
	v_lshlrev_b32_e32 v26, 2, v26
	s_waitcnt lgkmcnt(6)
	v_max_f32_e32 v19, v19, v19
	s_waitcnt lgkmcnt(5)
	v_max_f32_e32 v25, v25, v25
	v_max_f32_e32 v1, v1, v18
	s_waitcnt lgkmcnt(4)
	v_max_f32_e32 v20, v20, v20
	v_max_f32_e32 v2, v2, v19
	;; [unrolled: 1-line block ×3, first 2 shown]
	ds_bpermute_b32 v18, v26, v1
	s_waitcnt lgkmcnt(4)
	v_max_f32_e32 v21, v21, v21
	v_max_f32_e32 v3, v3, v20
	ds_bpermute_b32 v19, v26, v2
	ds_bpermute_b32 v25, v26, v8
	s_waitcnt lgkmcnt(5)
	v_max_f32_e32 v22, v22, v22
	v_max_f32_e32 v4, v4, v21
	ds_bpermute_b32 v20, v26, v3
	s_waitcnt lgkmcnt(5)
	v_max_f32_e32 v23, v23, v23
	s_waitcnt lgkmcnt(4)
	v_max_f32_e32 v24, v24, v24
	v_max_f32_e32 v5, v5, v22
	ds_bpermute_b32 v21, v26, v4
	v_max_f32_e32 v6, v6, v23
	v_max_f32_e32 v7, v7, v24
	ds_bpermute_b32 v22, v26, v5
	ds_bpermute_b32 v23, v26, v6
	;; [unrolled: 1-line block ×3, first 2 shown]
	s_waitcnt lgkmcnt(7)
	v_max_f32_e32 v18, v18, v18
	s_waitcnt lgkmcnt(6)
	v_max_f32_e32 v19, v19, v19
	;; [unrolled: 2-line block ×3, first 2 shown]
	v_max_f32_e32 v1, v1, v18
	s_waitcnt lgkmcnt(4)
	v_max_f32_e32 v20, v20, v20
	v_max_f32_e32 v2, v2, v19
	;; [unrolled: 1-line block ×3, first 2 shown]
	v_sub_f32_e32 v183, v9, v1
	v_sub_f32_e32 v9, v27, v1
	s_waitcnt lgkmcnt(3)
	v_max_f32_e32 v21, v21, v21
	v_max_f32_e32 v3, v3, v20
	v_sub_f32_e32 v182, v10, v2
	v_sub_f32_e32 v10, v28, v2
	;; [unrolled: 1-line block ×4, first 2 shown]
	v_mul_f32_e32 v17, 0x3fb8aa3b, v9
	s_waitcnt lgkmcnt(2)
	v_max_f32_e32 v22, v22, v22
	v_max_f32_e32 v4, v4, v21
	v_sub_f32_e32 v181, v11, v3
	v_sub_f32_e32 v11, v29, v3
	v_mul_f32_e32 v18, 0x3fb8aa3b, v10
	v_fma_f32 v25, 0x3fb8aa3b, v9, -v17
	v_rndne_f32_e32 v26, v17
	s_waitcnt lgkmcnt(1)
	v_max_f32_e32 v23, v23, v23
	v_max_f32_e32 v5, v5, v22
	v_sub_f32_e32 v180, v12, v4
	v_sub_f32_e32 v12, v30, v4
	v_mul_f32_e32 v19, 0x3fb8aa3b, v11
	v_fma_f32 v27, 0x3fb8aa3b, v10, -v18
	v_rndne_f32_e32 v28, v18
	v_fmac_f32_e32 v25, 0x32a5705f, v9
	v_sub_f32_e32 v17, v17, v26
	s_waitcnt lgkmcnt(0)
	v_max_f32_e32 v24, v24, v24
	v_max_f32_e32 v6, v6, v23
	v_sub_f32_e32 v179, v13, v5
	v_sub_f32_e32 v13, v31, v5
	v_mul_f32_e32 v20, 0x3fb8aa3b, v12
	v_fma_f32 v29, 0x3fb8aa3b, v11, -v19
	v_rndne_f32_e32 v30, v19
	v_fmac_f32_e32 v27, 0x32a5705f, v10
	v_sub_f32_e32 v18, v18, v28
	v_add_f32_e32 v17, v17, v25
	v_max_f32_e32 v7, v7, v24
	v_sub_f32_e32 v178, v14, v6
	v_sub_f32_e32 v14, v32, v6
	v_mul_f32_e32 v21, 0x3fb8aa3b, v13
	v_fma_f32 v31, 0x3fb8aa3b, v12, -v20
	v_rndne_f32_e32 v32, v20
	v_fmac_f32_e32 v29, 0x32a5705f, v11
	v_sub_f32_e32 v19, v19, v30
	v_add_f32_e32 v18, v18, v27
	v_exp_f32_e32 v17, v17
	v_sub_f32_e32 v176, v15, v7
	v_sub_f32_e32 v15, v33, v7
	v_mul_f32_e32 v22, 0x3fb8aa3b, v14
	v_fma_f32 v33, 0x3fb8aa3b, v13, -v21
	v_rndne_f32_e32 v34, v21
	v_cvt_i32_f32_e32 v26, v26
	v_fmac_f32_e32 v31, 0x32a5705f, v12
	v_sub_f32_e32 v20, v20, v32
	v_add_f32_e32 v19, v19, v29
	v_exp_f32_e32 v18, v18
	v_mul_f32_e32 v23, 0x3fb8aa3b, v15
	v_fma_f32 v35, 0x3fb8aa3b, v14, -v22
	v_rndne_f32_e32 v36, v22
	v_cvt_i32_f32_e32 v28, v28
	v_fmac_f32_e32 v33, 0x32a5705f, v13
	v_sub_f32_e32 v21, v21, v34
	v_add_f32_e32 v20, v20, v31
	v_exp_f32_e32 v19, v19
	v_ldexp_f32 v17, v17, v26
	v_cmp_ngt_f32_e64 s24, 0xc2ce8ed0, v9
	v_mul_f32_e32 v24, 0x3fb8aa3b, v16
	v_fma_f32 v37, 0x3fb8aa3b, v15, -v23
	v_rndne_f32_e32 v38, v23
	v_cvt_i32_f32_e32 v30, v30
	v_fmac_f32_e32 v35, 0x32a5705f, v14
	v_sub_f32_e32 v22, v22, v36
	v_add_f32_e32 v21, v21, v33
	v_exp_f32_e32 v20, v20
	v_ldexp_f32 v18, v18, v28
	v_cndmask_b32_e64 v17, 0, v17, s24
	v_cmp_ngt_f32_e64 s24, 0xc2ce8ed0, v10
	v_fma_f32 v39, 0x3fb8aa3b, v16, -v24
	v_rndne_f32_e32 v40, v24
	v_cvt_i32_f32_e32 v32, v32
	v_fmac_f32_e32 v37, 0x32a5705f, v15
	v_sub_f32_e32 v23, v23, v38
	v_add_f32_e32 v22, v22, v35
	v_exp_f32_e32 v21, v21
	v_ldexp_f32 v19, v19, v30
	v_cndmask_b32_e64 v18, 0, v18, s24
	v_cmp_ngt_f32_e64 s24, 0xc2ce8ed0, v11
	v_cvt_i32_f32_e32 v34, v34
	v_fmac_f32_e32 v39, 0x32a5705f, v16
	v_sub_f32_e32 v24, v24, v40
	v_add_f32_e32 v23, v23, v37
	v_exp_f32_e32 v22, v22
	v_ldexp_f32 v20, v20, v32
	v_cndmask_b32_e64 v19, 0, v19, s24
	v_cmp_ngt_f32_e64 s24, 0xc2ce8ed0, v12
	v_cvt_i32_f32_e32 v36, v36
	v_add_f32_e32 v24, v24, v39
	v_exp_f32_e32 v23, v23
	v_ldexp_f32 v21, v21, v34
	v_cndmask_b32_e64 v20, 0, v20, s24
	v_cmp_ngt_f32_e64 s24, 0xc2ce8ed0, v13
	v_exp_f32_e32 v24, v24
	v_cvt_i32_f32_e32 v25, v38
	v_ldexp_f32 v22, v22, v36
	v_cvt_i32_f32_e32 v27, v40
	v_cndmask_b32_e64 v21, 0, v21, s24
	v_cmp_ngt_f32_e64 s24, 0xc2ce8ed0, v14
	v_ldexp_f32 v23, v23, v25
	v_cmp_ngt_f32_e64 s22, 0xc2ce8ed0, v183
	v_cmp_nlt_f32_e64 s20, 0x42b17218, v183
	v_cmp_ngt_f32_e64 s23, 0xc2ce8ed0, v182
	v_cndmask_b32_e64 v22, 0, v22, s24
	v_cmp_ngt_f32_e64 s24, 0xc2ce8ed0, v15
	v_ldexp_f32 v24, v24, v27
	v_cmp_nlt_f32_e64 s21, 0x42b17218, v182
	v_cmp_ngt_f32_e64 s19, 0xc2ce8ed0, v181
	v_cmp_nlt_f32_e64 s18, 0x42b17218, v181
	v_cndmask_b32_e64 v23, 0, v23, s24
	v_cmp_ngt_f32_e64 s24, 0xc2ce8ed0, v16
	v_cmp_ngt_f32_e64 s15, 0xc2ce8ed0, v180
	v_cmp_nlt_f32_e64 s11, 0x42b17218, v180
	v_cmp_ngt_f32_e64 s16, 0xc2ce8ed0, v179
	v_cmp_nlt_f32_e64 s12, 0x42b17218, v179
	v_cndmask_b32_e64 v24, 0, v24, s24
	v_cmp_nlt_f32_e64 s24, 0x42b17218, v9
	v_cmp_ngt_f32_e64 s13, 0xc2ce8ed0, v178
	v_cmp_nlt_f32_e64 s9, 0x42b17218, v178
	v_cmp_ngt_f32_e64 s17, 0xc2ce8ed0, v176
	v_cmp_nlt_f32_e64 s10, 0x42b17218, v176
	v_cndmask_b32_e64 v173, 0x7f800000, v17, s24
	v_cmp_nlt_f32_e64 s24, 0x42b17218, v10
	v_cmp_ngt_f32_e64 s14, 0xc2ce8ed0, v177
	v_cvt_f16_f32_e32 v9, v173
	v_cndmask_b32_e64 v172, 0x7f800000, v18, s24
	v_cmp_nlt_f32_e64 s24, 0x42b17218, v11
	v_cndmask_b32_e64 v171, 0x7f800000, v19, s24
	v_cmp_nlt_f32_e64 s24, 0x42b17218, v12
	v_cvt_f16_f32_e32 v10, v171
	v_cndmask_b32_e64 v170, 0x7f800000, v20, s24
	v_cmp_nlt_f32_e64 s24, 0x42b17218, v13
	v_cndmask_b32_e64 v169, 0x7f800000, v21, s24
	v_cmp_nlt_f32_e64 s24, 0x42b17218, v14
	v_cvt_f16_f32_e32 v11, v169
	v_cndmask_b32_e64 v168, 0x7f800000, v22, s24
	v_cmp_nlt_f32_e64 s24, 0x42b17218, v15
	v_cvt_f16_f32_e32 v15, v170
	v_cvt_f16_f32_e32 v14, v168
	v_cndmask_b32_e64 v167, 0x7f800000, v23, s24
	v_cmp_nlt_f32_e64 s24, 0x42b17218, v16
	v_cvt_f16_f32_e32 v16, v172
	v_pack_b32_f16 v10, v10, v15
	v_pack_b32_f16 v11, v11, v14
	v_cvt_f16_f32_e32 v12, v167
	v_cndmask_b32_e64 v166, 0x7f800000, v24, s24
	v_cmp_nlt_f32_e64 s24, 0x42b17218, v177
	v_pack_b32_f16 v9, v9, v16
	v_cvt_f16_f32_e32 v13, v166
	v_pack_b32_f16 v12, v12, v13
	ds_write_b128 v149, v[9:12]
	s_and_saveexec_b32 s47, s3
	s_cbranch_execnz .LBB0_33
; %bb.20:                               ;   in Loop: Header=BB0_11 Depth=1
	s_or_b32 exec_lo, exec_lo, s47
	s_and_saveexec_b32 s47, s6
	s_cbranch_execnz .LBB0_34
.LBB0_21:                               ;   in Loop: Header=BB0_11 Depth=1
	s_or_b32 exec_lo, exec_lo, s47
	v_lshlrev_b32_e32 v184, 2, v145
	s_and_saveexec_b32 s47, s8
	s_cbranch_execz .LBB0_23
.LBB0_22:                               ;   in Loop: Header=BB0_11 Depth=1
	v_add_co_u32 v9, s25, s38, v118
	v_add_co_ci_u32_e64 v10, null, s39, v119, s25
	v_add_co_u32 v9, s25, v9, v184
	v_add_co_ci_u32_e64 v10, null, 0, v10, s25
	global_load_dwordx4 v[9:12], v[9:10], off
	s_waitcnt vmcnt(0)
	ds_write_b128 v148, v[9:12]
.LBB0_23:                               ;   in Loop: Header=BB0_11 Depth=1
	s_or_b32 exec_lo, exec_lo, s47
	v_add_nc_u32_e32 v175, 0x3800, v122
	s_waitcnt lgkmcnt(0)
	s_barrier
	buffer_gl0_inv
	v_add_nc_u32_e32 v174, 0x4000, v122
	ds_read2_b64 v[37:40], v175 offset1:28
	ds_read_b128 v[101:104], v143
	ds_read_b128 v[97:100], v143 offset:16
	ds_read_b128 v[93:96], v143 offset:32
	;; [unrolled: 1-line block ×3, first 2 shown]
	ds_read2_b64 v[33:36], v175 offset0:56 offset1:84
	ds_read2_b64 v[29:32], v175 offset0:112 offset1:140
	ds_read_b128 v[85:88], v143 offset:64
	ds_read_b128 v[77:80], v143 offset:80
	ds_read2_b64 v[25:28], v175 offset0:168 offset1:196
	ds_read_b128 v[81:84], v143 offset:96
	ds_read_b128 v[73:76], v143 offset:112
	;; [unrolled: 3-line block ×6, first 2 shown]
	s_or_b32 s25, s29, 16
	s_waitcnt lgkmcnt(0)
	s_mul_hi_i32 s39, s25, s31
	s_mul_i32 s38, s25, s31
	s_barrier
	s_lshl_b64 s[38:39], s[38:39], 2
	buffer_gl0_inv
	s_add_u32 s38, s40, s38
	s_addc_u32 s39, s41, s39
	s_and_saveexec_b32 s47, s3
	s_cbranch_execnz .LBB0_35
; %bb.24:                               ;   in Loop: Header=BB0_11 Depth=1
	s_or_b32 exec_lo, exec_lo, s47
	s_and_saveexec_b32 s47, s6
	s_cbranch_execnz .LBB0_36
.LBB0_25:                               ;   in Loop: Header=BB0_11 Depth=1
	s_or_b32 exec_lo, exec_lo, s47
	s_and_saveexec_b32 s47, s8
	s_cbranch_execz .LBB0_27
.LBB0_26:                               ;   in Loop: Header=BB0_11 Depth=1
	v_add_co_u32 v185, s25, s38, v118
	v_add_co_ci_u32_e64 v186, null, s39, v119, s25
	v_add_co_u32 v184, s25, v185, v184
	v_add_co_ci_u32_e64 v185, null, 0, v186, s25
	global_load_dwordx4 v[184:187], v[184:185], off
	s_waitcnt vmcnt(0)
	ds_write_b128 v148, v[184:187]
.LBB0_27:                               ;   in Loop: Header=BB0_11 Depth=1
	s_or_b32 exec_lo, exec_lo, s47
	v_mul_f32_e32 v241, 0x3fb8aa3b, v183
	v_mul_f32_e32 v243, 0x3fb8aa3b, v182
	;; [unrolled: 1-line block ×4, first 2 shown]
	v_mul_u32_u24_sdwa v184, v101, v152 dst_sel:DWORD dst_unused:UNUSED_PAD src0_sel:WORD_0 src1_sel:DWORD
	v_fma_f32 v245, 0x3fb8aa3b, v183, -v241
	v_rndne_f32_e32 v246, v241
	v_fma_f32 v247, 0x3fb8aa3b, v182, -v243
	v_rndne_f32_e32 v248, v243
	v_rndne_f32_e32 v252, v249
	v_fmac_f32_e32 v245, 0x32a5705f, v183
	v_sub_f32_e32 v183, v241, v246
	v_fmac_f32_e32 v247, 0x32a5705f, v182
	v_sub_f32_e32 v182, v243, v248
	v_cvt_i32_f32_e32 v246, v246
	v_cvt_i32_f32_e32 v248, v248
	v_add_f32_e32 v183, v183, v245
	v_rndne_f32_e32 v253, v251
	v_add_f32_e32 v182, v182, v247
	v_mul_u32_u24_sdwa v101, v101, v152 dst_sel:DWORD dst_unused:UNUSED_PAD src0_sel:WORD_1 src1_sel:DWORD
	v_mul_u32_u24_sdwa v185, v102, v152 dst_sel:DWORD dst_unused:UNUSED_PAD src0_sel:WORD_0 src1_sel:DWORD
	v_exp_f32_e32 v183, v183
	v_mul_u32_u24_sdwa v102, v102, v152 dst_sel:DWORD dst_unused:UNUSED_PAD src0_sel:WORD_1 src1_sel:DWORD
	v_exp_f32_e32 v182, v182
	v_mul_u32_u24_sdwa v186, v103, v152 dst_sel:DWORD dst_unused:UNUSED_PAD src0_sel:WORD_0 src1_sel:DWORD
	v_mul_u32_u24_sdwa v103, v103, v152 dst_sel:DWORD dst_unused:UNUSED_PAD src0_sel:WORD_1 src1_sel:DWORD
	v_mul_u32_u24_sdwa v187, v104, v152 dst_sel:DWORD dst_unused:UNUSED_PAD src0_sel:WORD_0 src1_sel:DWORD
	v_mul_u32_u24_sdwa v104, v104, v152 dst_sel:DWORD dst_unused:UNUSED_PAD src0_sel:WORD_1 src1_sel:DWORD
	;; [unrolled: 2-line block ×3, first 2 shown]
	v_mul_u32_u24_sdwa v189, v98, v152 dst_sel:DWORD dst_unused:UNUSED_PAD src0_sel:WORD_0 src1_sel:DWORD
	v_ldexp_f32 v183, v183, v246
	v_fma_f32 v246, 0x3fb8aa3b, v181, -v249
	v_ldexp_f32 v182, v182, v248
	v_fma_f32 v248, 0x3fb8aa3b, v180, -v251
	v_mul_u32_u24_sdwa v98, v98, v152 dst_sel:DWORD dst_unused:UNUSED_PAD src0_sel:WORD_1 src1_sel:DWORD
	v_cndmask_b32_e64 v183, 0, v183, s22
	v_fmac_f32_e32 v246, 0x32a5705f, v181
	v_sub_f32_e32 v181, v249, v252
	v_fmac_f32_e32 v248, 0x32a5705f, v180
	v_sub_f32_e32 v180, v251, v253
	v_cndmask_b32_e64 v182, 0, v182, s23
	v_cndmask_b32_e64 v183, 0x7f800000, v183, s20
	v_add_f32_e32 v181, v181, v246
	v_mul_f32_e32 v246, 0x3fb8aa3b, v179
	v_add_f32_e32 v180, v180, v248
	v_cndmask_b32_e64 v182, 0x7f800000, v182, s21
	v_fmac_f32_e32 v173, v159, v183
	v_exp_f32_e32 v181, v181
	v_rndne_f32_e32 v248, v246
	v_exp_f32_e32 v159, v180
	v_fma_f32 v180, 0x3fb8aa3b, v179, -v246
	v_fmac_f32_e32 v172, v160, v182
	v_cvt_i32_f32_e32 v160, v252
	v_mul_f32_e32 v251, 0x3fb8aa3b, v178
	v_cvt_i32_f32_e32 v249, v253
	v_fmac_f32_e32 v180, 0x32a5705f, v179
	v_sub_f32_e32 v179, v246, v248
	v_ldexp_f32 v160, v181, v160
	v_fma_f32 v181, 0x3fb8aa3b, v178, -v251
	v_mul_f32_e32 v246, 0x3fb8aa3b, v176
	v_ldexp_f32 v159, v159, v249
	v_add_f32_e32 v179, v179, v180
	v_mul_f32_e32 v180, 0x3fb8aa3b, v177
	v_fmac_f32_e32 v181, 0x32a5705f, v178
	v_rndne_f32_e32 v178, v251
	v_fma_f32 v249, 0x3fb8aa3b, v176, -v246
	v_rndne_f32_e32 v252, v246
	v_fma_f32 v253, 0x3fb8aa3b, v177, -v180
	v_rndne_f32_e32 v254, v180
	v_cndmask_b32_e64 v160, 0, v160, s19
	v_sub_f32_e32 v251, v251, v178
	v_fmac_f32_e32 v249, 0x32a5705f, v176
	v_sub_f32_e32 v176, v246, v252
	v_fmac_f32_e32 v253, 0x32a5705f, v177
	v_sub_f32_e32 v177, v180, v254
	v_add_f32_e32 v180, v251, v181
	v_exp_f32_e32 v179, v179
	v_add_f32_e32 v176, v176, v249
	v_cndmask_b32_e64 v160, 0x7f800000, v160, s18
	v_add_f32_e32 v177, v177, v253
	v_exp_f32_e32 v180, v180
	v_cvt_i32_f32_e32 v181, v248
	v_exp_f32_e32 v176, v176
	v_fmac_f32_e32 v171, v158, v160
	v_exp_f32_e32 v158, v177
	v_cvt_i32_f32_e32 v177, v178
	v_ldexp_f32 v178, v179, v181
	v_cvt_i32_f32_e32 v179, v252
	v_cndmask_b32_e64 v159, 0, v159, s15
	v_cvt_i32_f32_e32 v181, v254
	v_ldexp_f32 v177, v180, v177
	v_cndmask_b32_e64 v178, 0, v178, s16
	v_ldexp_f32 v176, v176, v179
	v_cndmask_b32_e64 v159, 0x7f800000, v159, s11
	;; [unrolled: 2-line block ×3, first 2 shown]
	v_cndmask_b32_e64 v178, 0x7f800000, v178, s12
	v_cndmask_b32_e64 v176, 0, v176, s17
	v_fmac_f32_e32 v170, v157, v159
	v_cndmask_b32_e64 v157, 0, v158, s14
	v_cndmask_b32_e64 v158, 0x7f800000, v177, s9
	v_fmac_f32_e32 v169, v156, v178
	v_cndmask_b32_e64 v156, 0x7f800000, v176, s10
	v_cvt_f16_f32_e32 v176, v183
	v_cndmask_b32_e64 v157, 0x7f800000, v157, s24
	v_fmac_f32_e32 v168, v155, v158
	v_cvt_f16_f32_e32 v155, v182
	v_fmac_f32_e32 v167, v153, v156
	v_mul_u32_u24_sdwa v153, v176, v152 dst_sel:DWORD dst_unused:UNUSED_PAD src0_sel:WORD_0 src1_sel:DWORD
	v_fmac_f32_e32 v166, v154, v157
	v_cvt_f16_f32_e32 v154, v160
	v_cvt_f16_f32_e32 v159, v159
	v_mul_u32_u24_sdwa v155, v155, v152 dst_sel:DWORD dst_unused:UNUSED_PAD src0_sel:WORD_0 src1_sel:DWORD
	v_pk_mul_f16 v142, v142, v153
	v_pk_mul_f16 v144, v144, v153
	v_mul_u32_u24_sdwa v153, v154, v152 dst_sel:DWORD dst_unused:UNUSED_PAD src0_sel:WORD_0 src1_sel:DWORD
	v_mul_u32_u24_sdwa v154, v159, v152 dst_sel:DWORD dst_unused:UNUSED_PAD src0_sel:WORD_0 src1_sel:DWORD
	v_pk_mul_f16 v135, v135, v155
	v_pk_mul_f16 v136, v136, v155
	v_cvt_f16_f32_e32 v155, v178
	v_pk_mul_f16 v133, v133, v153
	v_pk_mul_f16 v134, v134, v153
	;; [unrolled: 1-line block ×3, first 2 shown]
	v_cvt_f16_f32_e32 v153, v158
	v_cvt_f16_f32_e32 v156, v156
	v_pk_mul_f16 v131, v131, v154
	v_cvt_f16_f32_e32 v154, v157
	v_mul_u32_u24_sdwa v155, v155, v152 dst_sel:DWORD dst_unused:UNUSED_PAD src0_sel:WORD_0 src1_sel:DWORD
	v_mul_u32_u24_sdwa v153, v153, v152 dst_sel:DWORD dst_unused:UNUSED_PAD src0_sel:WORD_0 src1_sel:DWORD
	;; [unrolled: 1-line block ×3, first 2 shown]
	v_pk_fma_f16 v142, v37, v184, v142
	v_mul_u32_u24_sdwa v154, v154, v152 dst_sel:DWORD dst_unused:UNUSED_PAD src0_sel:WORD_0 src1_sel:DWORD
	v_pk_mul_f16 v127, v127, v155
	v_pk_mul_f16 v128, v128, v155
	;; [unrolled: 1-line block ×8, first 2 shown]
	v_mul_u32_u24_sdwa v190, v99, v152 dst_sel:DWORD dst_unused:UNUSED_PAD src0_sel:WORD_0 src1_sel:DWORD
	v_mul_u32_u24_sdwa v99, v99, v152 dst_sel:DWORD dst_unused:UNUSED_PAD src0_sel:WORD_1 src1_sel:DWORD
	v_mul_u32_u24_sdwa v191, v100, v152 dst_sel:DWORD dst_unused:UNUSED_PAD src0_sel:WORD_0 src1_sel:DWORD
	v_mul_u32_u24_sdwa v100, v100, v152 dst_sel:DWORD dst_unused:UNUSED_PAD src0_sel:WORD_1 src1_sel:DWORD
	v_mul_u32_u24_sdwa v192, v93, v152 dst_sel:DWORD dst_unused:UNUSED_PAD src0_sel:WORD_0 src1_sel:DWORD
	v_pk_fma_f16 v144, v38, v184, v144
	v_pk_fma_f16 v135, v37, v101, v135
	v_pk_fma_f16 v101, v38, v101, v136
	v_pk_fma_f16 v133, v37, v185, v133
	v_pk_fma_f16 v134, v38, v185, v134
	v_pk_fma_f16 v130, v37, v102, v130
	v_pk_fma_f16 v102, v38, v102, v131
	v_pk_fma_f16 v127, v37, v186, v127
	v_pk_fma_f16 v128, v38, v186, v128
	v_pk_fma_f16 v125, v37, v103, v125
	v_pk_fma_f16 v103, v38, v103, v126
	v_pk_fma_f16 v123, v37, v187, v123
	v_pk_fma_f16 v124, v38, v187, v124
	v_pk_fma_f16 v37, v37, v104, v121
	v_pk_fma_f16 v38, v38, v104, v120
	v_pk_fma_f16 v104, v39, v188, v142
	v_mul_u32_u24_sdwa v93, v93, v152 dst_sel:DWORD dst_unused:UNUSED_PAD src0_sel:WORD_1 src1_sel:DWORD
	v_mul_u32_u24_sdwa v193, v94, v152 dst_sel:DWORD dst_unused:UNUSED_PAD src0_sel:WORD_0 src1_sel:DWORD
	v_mul_u32_u24_sdwa v94, v94, v152 dst_sel:DWORD dst_unused:UNUSED_PAD src0_sel:WORD_1 src1_sel:DWORD
	v_mul_u32_u24_sdwa v194, v95, v152 dst_sel:DWORD dst_unused:UNUSED_PAD src0_sel:WORD_0 src1_sel:DWORD
	v_mul_u32_u24_sdwa v95, v95, v152 dst_sel:DWORD dst_unused:UNUSED_PAD src0_sel:WORD_1 src1_sel:DWORD
	v_mul_u32_u24_sdwa v195, v96, v152 dst_sel:DWORD dst_unused:UNUSED_PAD src0_sel:WORD_0 src1_sel:DWORD
	v_mul_u32_u24_sdwa v96, v96, v152 dst_sel:DWORD dst_unused:UNUSED_PAD src0_sel:WORD_1 src1_sel:DWORD
	v_mul_u32_u24_sdwa v196, v89, v152 dst_sel:DWORD dst_unused:UNUSED_PAD src0_sel:WORD_0 src1_sel:DWORD
	v_pk_fma_f16 v120, v39, v97, v135
	v_pk_fma_f16 v121, v39, v189, v133
	v_pk_fma_f16 v126, v39, v98, v130
	v_pk_fma_f16 v127, v39, v190, v127
	v_pk_fma_f16 v125, v39, v99, v125
	v_pk_fma_f16 v123, v39, v191, v123
	v_pk_fma_f16 v37, v39, v100, v37
	v_pk_fma_f16 v39, v40, v188, v144
	v_pk_fma_f16 v97, v40, v97, v101
	v_pk_fma_f16 v101, v40, v189, v134
	v_pk_fma_f16 v98, v40, v98, v102
	v_pk_fma_f16 v102, v40, v190, v128
	v_pk_fma_f16 v99, v40, v99, v103
	v_pk_fma_f16 v103, v40, v191, v124
	v_pk_fma_f16 v38, v40, v100, v38
	v_pk_fma_f16 v40, v33, v192, v104
	v_mul_u32_u24_sdwa v89, v89, v152 dst_sel:DWORD dst_unused:UNUSED_PAD src0_sel:WORD_1 src1_sel:DWORD
	v_mul_u32_u24_sdwa v197, v90, v152 dst_sel:DWORD dst_unused:UNUSED_PAD src0_sel:WORD_0 src1_sel:DWORD
	v_mul_u32_u24_sdwa v90, v90, v152 dst_sel:DWORD dst_unused:UNUSED_PAD src0_sel:WORD_1 src1_sel:DWORD
	;; [unrolled: 24-line block ×13, first 2 shown]
	v_mul_u32_u24_sdwa v244, v47, v152 dst_sel:DWORD dst_unused:UNUSED_PAD src0_sel:WORD_0 src1_sel:DWORD
	v_mul_u32_u24_sdwa v47, v47, v152 dst_sel:DWORD dst_unused:UNUSED_PAD src0_sel:WORD_1 src1_sel:DWORD
	v_mul_u32_u24_sdwa v241, v48, v152 dst_sel:DWORD dst_unused:UNUSED_PAD src0_sel:WORD_0 src1_sel:DWORD
	v_mul_u32_u24_sdwa v48, v48, v152 dst_sel:DWORD dst_unused:UNUSED_PAD src0_sel:WORD_1 src1_sel:DWORD
	v_mul_u32_u24_sdwa v243, v41, v152 dst_sel:DWORD dst_unused:UNUSED_PAD src0_sel:WORD_0 src1_sel:DWORD
	v_pk_fma_f16 v20, v15, v49, v22
	v_pk_fma_f16 v22, v15, v237, v24
	;; [unrolled: 1-line block ×16, first 2 shown]
	v_mul_u32_u24_sdwa v41, v41, v152 dst_sel:DWORD dst_unused:UNUSED_PAD src0_sel:WORD_1 src1_sel:DWORD
	v_mul_u32_u24_sdwa v245, v42, v152 dst_sel:DWORD dst_unused:UNUSED_PAD src0_sel:WORD_0 src1_sel:DWORD
	v_pk_fma_f16 v18, v9, v45, v20
	v_pk_fma_f16 v20, v9, v242, v22
	;; [unrolled: 1-line block ×16, first 2 shown]
	s_waitcnt lgkmcnt(0)
	s_barrier
	buffer_gl0_inv
	ds_read_b128 v[13:16], v143 offset:256
	v_mul_u32_u24_sdwa v42, v42, v152 dst_sel:DWORD dst_unused:UNUSED_PAD src0_sel:WORD_1 src1_sel:DWORD
	v_mul_u32_u24_sdwa v247, v43, v152 dst_sel:DWORD dst_unused:UNUSED_PAD src0_sel:WORD_0 src1_sel:DWORD
	v_mul_u32_u24_sdwa v43, v43, v152 dst_sel:DWORD dst_unused:UNUSED_PAD src0_sel:WORD_1 src1_sel:DWORD
	v_mul_u32_u24_sdwa v250, v44, v152 dst_sel:DWORD dst_unused:UNUSED_PAD src0_sel:WORD_0 src1_sel:DWORD
	v_mul_u32_u24_sdwa v44, v44, v152 dst_sel:DWORD dst_unused:UNUSED_PAD src0_sel:WORD_1 src1_sel:DWORD
	v_pk_fma_f16 v33, v11, v41, v18
	v_pk_fma_f16 v34, v11, v245, v20
	ds_read2_b64 v[17:20], v175 offset1:28
	v_pk_fma_f16 v35, v11, v42, v22
	v_pk_fma_f16 v36, v11, v247, v24
	;; [unrolled: 1-line block ×13, first 2 shown]
	ds_read_b128 v[9:12], v143 offset:272
	ds_read_b128 v[21:24], v143 offset:288
	;; [unrolled: 1-line block ×3, first 2 shown]
	s_waitcnt lgkmcnt(4)
	v_mul_u32_u24_sdwa v45, v13, v152 dst_sel:DWORD dst_unused:UNUSED_PAD src0_sel:WORD_0 src1_sel:DWORD
	v_mul_u32_u24_sdwa v13, v13, v152 dst_sel:DWORD dst_unused:UNUSED_PAD src0_sel:WORD_1 src1_sel:DWORD
	v_mul_u32_u24_sdwa v46, v14, v152 dst_sel:DWORD dst_unused:UNUSED_PAD src0_sel:WORD_0 src1_sel:DWORD
	v_mul_u32_u24_sdwa v14, v14, v152 dst_sel:DWORD dst_unused:UNUSED_PAD src0_sel:WORD_1 src1_sel:DWORD
	;; [unrolled: 2-line block ×4, first 2 shown]
	s_waitcnt lgkmcnt(3)
	v_pk_fma_f16 v32, v17, v45, v32
	v_pk_fma_f16 v33, v17, v13, v33
	;; [unrolled: 1-line block ×16, first 2 shown]
	s_waitcnt lgkmcnt(2)
	v_mul_u32_u24_sdwa v18, v9, v152 dst_sel:DWORD dst_unused:UNUSED_PAD src0_sel:WORD_0 src1_sel:DWORD
	v_mul_u32_u24_sdwa v40, v9, v152 dst_sel:DWORD dst_unused:UNUSED_PAD src0_sel:WORD_1 src1_sel:DWORD
	v_mul_u32_u24_sdwa v41, v10, v152 dst_sel:DWORD dst_unused:UNUSED_PAD src0_sel:WORD_0 src1_sel:DWORD
	v_mul_u32_u24_sdwa v42, v10, v152 dst_sel:DWORD dst_unused:UNUSED_PAD src0_sel:WORD_1 src1_sel:DWORD
	;; [unrolled: 2-line block ×4, first 2 shown]
	ds_read2_b64 v[9:12], v175 offset0:56 offset1:84
	v_pk_fma_f16 v32, v19, v18, v32
	v_pk_fma_f16 v33, v19, v40, v33
	v_pk_fma_f16 v34, v19, v41, v34
	v_pk_fma_f16 v35, v19, v42, v35
	v_pk_fma_f16 v36, v19, v43, v36
	v_pk_fma_f16 v37, v19, v44, v37
	v_pk_fma_f16 v38, v19, v45, v38
	v_pk_fma_f16 v17, v19, v46, v17
	v_pk_fma_f16 v18, v20, v18, v29
	v_pk_fma_f16 v13, v20, v40, v13
	v_pk_fma_f16 v19, v20, v41, v30
	v_pk_fma_f16 v14, v20, v42, v14
	v_pk_fma_f16 v29, v20, v43, v31
	v_pk_fma_f16 v15, v20, v44, v15
	v_pk_fma_f16 v30, v20, v45, v39
	v_pk_fma_f16 v16, v20, v46, v16
	s_waitcnt lgkmcnt(2)
	v_mul_u32_u24_sdwa v20, v21, v152 dst_sel:DWORD dst_unused:UNUSED_PAD src0_sel:WORD_0 src1_sel:DWORD
	v_mul_u32_u24_sdwa v21, v21, v152 dst_sel:DWORD dst_unused:UNUSED_PAD src0_sel:WORD_1 src1_sel:DWORD
	v_mul_u32_u24_sdwa v31, v22, v152 dst_sel:DWORD dst_unused:UNUSED_PAD src0_sel:WORD_0 src1_sel:DWORD
	v_mul_u32_u24_sdwa v22, v22, v152 dst_sel:DWORD dst_unused:UNUSED_PAD src0_sel:WORD_1 src1_sel:DWORD
	;; [unrolled: 2-line block ×4, first 2 shown]
	s_waitcnt lgkmcnt(0)
	v_pk_fma_f16 v32, v9, v20, v32
	v_pk_fma_f16 v33, v9, v21, v33
	;; [unrolled: 1-line block ×16, first 2 shown]
	v_mul_u32_u24_sdwa v24, v25, v152 dst_sel:DWORD dst_unused:UNUSED_PAD src0_sel:WORD_0 src1_sel:DWORD
	v_mul_u32_u24_sdwa v25, v25, v152 dst_sel:DWORD dst_unused:UNUSED_PAD src0_sel:WORD_1 src1_sel:DWORD
	v_mul_u32_u24_sdwa v39, v26, v152 dst_sel:DWORD dst_unused:UNUSED_PAD src0_sel:WORD_0 src1_sel:DWORD
	v_mul_u32_u24_sdwa v26, v26, v152 dst_sel:DWORD dst_unused:UNUSED_PAD src0_sel:WORD_1 src1_sel:DWORD
	v_mul_u32_u24_sdwa v40, v27, v152 dst_sel:DWORD dst_unused:UNUSED_PAD src0_sel:WORD_0 src1_sel:DWORD
	v_mul_u32_u24_sdwa v27, v27, v152 dst_sel:DWORD dst_unused:UNUSED_PAD src0_sel:WORD_1 src1_sel:DWORD
	v_mul_u32_u24_sdwa v42, v28, v152 dst_sel:DWORD dst_unused:UNUSED_PAD src0_sel:WORD_0 src1_sel:DWORD
	ds_read_b128 v[13:16], v143 offset:320
	v_mul_u32_u24_sdwa v28, v28, v152 dst_sel:DWORD dst_unused:UNUSED_PAD src0_sel:WORD_1 src1_sel:DWORD
	v_pk_fma_f16 v32, v11, v24, v32
	v_pk_fma_f16 v33, v11, v25, v33
	v_pk_fma_f16 v34, v11, v39, v34
	v_pk_fma_f16 v35, v11, v26, v35
	v_pk_fma_f16 v36, v11, v40, v36
	v_pk_fma_f16 v37, v11, v27, v37
	ds_read2_b64 v[17:20], v175 offset0:112 offset1:140
	v_pk_fma_f16 v38, v11, v42, v38
	v_pk_fma_f16 v43, v11, v28, v9
	v_pk_fma_f16 v24, v12, v24, v41
	v_pk_fma_f16 v21, v12, v25, v21
	v_pk_fma_f16 v25, v12, v39, v31
	v_pk_fma_f16 v22, v12, v26, v22
	v_pk_fma_f16 v26, v12, v40, v29
	v_pk_fma_f16 v23, v12, v27, v23
	v_pk_fma_f16 v27, v12, v42, v30
	v_pk_fma_f16 v28, v12, v28, v10
	ds_read_b128 v[9:12], v143 offset:336
	s_waitcnt lgkmcnt(2)
	v_mul_u32_u24_sdwa v29, v13, v152 dst_sel:DWORD dst_unused:UNUSED_PAD src0_sel:WORD_0 src1_sel:DWORD
	v_mul_u32_u24_sdwa v13, v13, v152 dst_sel:DWORD dst_unused:UNUSED_PAD src0_sel:WORD_1 src1_sel:DWORD
	v_mul_u32_u24_sdwa v30, v14, v152 dst_sel:DWORD dst_unused:UNUSED_PAD src0_sel:WORD_0 src1_sel:DWORD
	v_mul_u32_u24_sdwa v14, v14, v152 dst_sel:DWORD dst_unused:UNUSED_PAD src0_sel:WORD_1 src1_sel:DWORD
	v_mul_u32_u24_sdwa v31, v15, v152 dst_sel:DWORD dst_unused:UNUSED_PAD src0_sel:WORD_0 src1_sel:DWORD
	v_mul_u32_u24_sdwa v15, v15, v152 dst_sel:DWORD dst_unused:UNUSED_PAD src0_sel:WORD_1 src1_sel:DWORD
	v_mul_u32_u24_sdwa v39, v16, v152 dst_sel:DWORD dst_unused:UNUSED_PAD src0_sel:WORD_0 src1_sel:DWORD
	v_mul_u32_u24_sdwa v16, v16, v152 dst_sel:DWORD dst_unused:UNUSED_PAD src0_sel:WORD_1 src1_sel:DWORD
	s_waitcnt lgkmcnt(1)
	v_pk_fma_f16 v32, v17, v29, v32
	v_pk_fma_f16 v33, v17, v13, v33
	v_pk_fma_f16 v34, v17, v30, v34
	v_pk_fma_f16 v35, v17, v14, v35
	v_pk_fma_f16 v36, v17, v31, v36
	v_pk_fma_f16 v37, v17, v15, v37
	v_pk_fma_f16 v38, v17, v39, v38
	v_pk_fma_f16 v17, v17, v16, v43
	v_pk_fma_f16 v24, v18, v29, v24
	v_pk_fma_f16 v21, v18, v13, v21
	v_pk_fma_f16 v25, v18, v30, v25
	v_pk_fma_f16 v22, v18, v14, v22
	v_pk_fma_f16 v26, v18, v31, v26
	v_pk_fma_f16 v23, v18, v15, v23
	v_pk_fma_f16 v27, v18, v39, v27
	v_pk_fma_f16 v18, v18, v16, v28
	s_waitcnt lgkmcnt(0)
	v_mul_u32_u24_sdwa v28, v9, v152 dst_sel:DWORD dst_unused:UNUSED_PAD src0_sel:WORD_0 src1_sel:DWORD
	v_mul_u32_u24_sdwa v29, v9, v152 dst_sel:DWORD dst_unused:UNUSED_PAD src0_sel:WORD_1 src1_sel:DWORD
	v_mul_u32_u24_sdwa v30, v10, v152 dst_sel:DWORD dst_unused:UNUSED_PAD src0_sel:WORD_0 src1_sel:DWORD
	v_mul_u32_u24_sdwa v31, v10, v152 dst_sel:DWORD dst_unused:UNUSED_PAD src0_sel:WORD_1 src1_sel:DWORD
	v_mul_u32_u24_sdwa v39, v11, v152 dst_sel:DWORD dst_unused:UNUSED_PAD src0_sel:WORD_0 src1_sel:DWORD
	v_mul_u32_u24_sdwa v40, v11, v152 dst_sel:DWORD dst_unused:UNUSED_PAD src0_sel:WORD_1 src1_sel:DWORD
	v_mul_u32_u24_sdwa v41, v12, v152 dst_sel:DWORD dst_unused:UNUSED_PAD src0_sel:WORD_0 src1_sel:DWORD
	ds_read_b128 v[13:16], v143 offset:352
	v_mul_u32_u24_sdwa v42, v12, v152 dst_sel:DWORD dst_unused:UNUSED_PAD src0_sel:WORD_1 src1_sel:DWORD
	v_pk_fma_f16 v32, v19, v28, v32
	v_pk_fma_f16 v33, v19, v29, v33
	v_pk_fma_f16 v34, v19, v30, v34
	v_pk_fma_f16 v35, v19, v31, v35
	v_pk_fma_f16 v36, v19, v39, v36
	v_pk_fma_f16 v37, v19, v40, v37
	ds_read2_b64 v[9:12], v175 offset0:168 offset1:196
	v_pk_fma_f16 v38, v19, v41, v38
	v_pk_fma_f16 v43, v19, v42, v17
	v_pk_fma_f16 v24, v20, v28, v24
	v_pk_fma_f16 v21, v20, v29, v21
	v_pk_fma_f16 v25, v20, v30, v25
	v_pk_fma_f16 v22, v20, v31, v22
	v_pk_fma_f16 v26, v20, v39, v26
	v_pk_fma_f16 v23, v20, v40, v23
	v_pk_fma_f16 v27, v20, v41, v27
	v_pk_fma_f16 v28, v20, v42, v18
	ds_read_b128 v[17:20], v143 offset:368
	s_waitcnt lgkmcnt(2)
	v_mul_u32_u24_sdwa v29, v13, v152 dst_sel:DWORD dst_unused:UNUSED_PAD src0_sel:WORD_0 src1_sel:DWORD
	v_mul_u32_u24_sdwa v13, v13, v152 dst_sel:DWORD dst_unused:UNUSED_PAD src0_sel:WORD_1 src1_sel:DWORD
	v_mul_u32_u24_sdwa v30, v14, v152 dst_sel:DWORD dst_unused:UNUSED_PAD src0_sel:WORD_0 src1_sel:DWORD
	v_mul_u32_u24_sdwa v14, v14, v152 dst_sel:DWORD dst_unused:UNUSED_PAD src0_sel:WORD_1 src1_sel:DWORD
	v_mul_u32_u24_sdwa v31, v15, v152 dst_sel:DWORD dst_unused:UNUSED_PAD src0_sel:WORD_0 src1_sel:DWORD
	v_mul_u32_u24_sdwa v15, v15, v152 dst_sel:DWORD dst_unused:UNUSED_PAD src0_sel:WORD_1 src1_sel:DWORD
	v_mul_u32_u24_sdwa v39, v16, v152 dst_sel:DWORD dst_unused:UNUSED_PAD src0_sel:WORD_0 src1_sel:DWORD
	v_mul_u32_u24_sdwa v16, v16, v152 dst_sel:DWORD dst_unused:UNUSED_PAD src0_sel:WORD_1 src1_sel:DWORD
	s_waitcnt lgkmcnt(1)
	v_pk_fma_f16 v32, v9, v29, v32
	v_pk_fma_f16 v33, v9, v13, v33
	v_pk_fma_f16 v34, v9, v30, v34
	v_pk_fma_f16 v35, v9, v14, v35
	v_pk_fma_f16 v36, v9, v31, v36
	v_pk_fma_f16 v37, v9, v15, v37
	v_pk_fma_f16 v38, v9, v39, v38
	v_pk_fma_f16 v9, v9, v16, v43
	v_pk_fma_f16 v24, v10, v29, v24
	v_pk_fma_f16 v21, v10, v13, v21
	v_pk_fma_f16 v25, v10, v30, v25
	v_pk_fma_f16 v22, v10, v14, v22
	v_pk_fma_f16 v26, v10, v31, v26
	v_pk_fma_f16 v23, v10, v15, v23
	v_pk_fma_f16 v27, v10, v39, v27
	v_pk_fma_f16 v10, v10, v16, v28
	s_waitcnt lgkmcnt(0)
	;; [unrolled: 54-line block ×5, first 2 shown]
	v_mul_u32_u24_sdwa v28, v9, v152 dst_sel:DWORD dst_unused:UNUSED_PAD src0_sel:WORD_0 src1_sel:DWORD
	v_mul_u32_u24_sdwa v29, v9, v152 dst_sel:DWORD dst_unused:UNUSED_PAD src0_sel:WORD_1 src1_sel:DWORD
	v_mul_u32_u24_sdwa v30, v10, v152 dst_sel:DWORD dst_unused:UNUSED_PAD src0_sel:WORD_0 src1_sel:DWORD
	v_mul_u32_u24_sdwa v31, v10, v152 dst_sel:DWORD dst_unused:UNUSED_PAD src0_sel:WORD_1 src1_sel:DWORD
	;; [unrolled: 2-line block ×3, first 2 shown]
	v_mul_u32_u24_sdwa v41, v12, v152 dst_sel:DWORD dst_unused:UNUSED_PAD src0_sel:WORD_0 src1_sel:DWORD
	ds_read_b128 v[13:16], v143 offset:480
	v_mul_u32_u24_sdwa v42, v12, v152 dst_sel:DWORD dst_unused:UNUSED_PAD src0_sel:WORD_1 src1_sel:DWORD
	v_pk_fma_f16 v32, v19, v28, v32
	v_pk_fma_f16 v33, v19, v29, v33
	;; [unrolled: 1-line block ×6, first 2 shown]
	ds_read2_b64 v[9:12], v174 offset0:136 offset1:164
	v_pk_fma_f16 v38, v19, v41, v38
	v_pk_fma_f16 v43, v19, v42, v17
	;; [unrolled: 1-line block ×10, first 2 shown]
	ds_read_b128 v[17:20], v143 offset:496
	s_waitcnt lgkmcnt(0)
	s_barrier
	buffer_gl0_inv
	s_load_dword s9, s[36:37], 0x4
	v_mul_u32_u24_sdwa v29, v13, v152 dst_sel:DWORD dst_unused:UNUSED_PAD src0_sel:WORD_0 src1_sel:DWORD
	v_mul_u32_u24_sdwa v13, v13, v152 dst_sel:DWORD dst_unused:UNUSED_PAD src0_sel:WORD_1 src1_sel:DWORD
	v_mul_u32_u24_sdwa v30, v14, v152 dst_sel:DWORD dst_unused:UNUSED_PAD src0_sel:WORD_0 src1_sel:DWORD
	v_mul_u32_u24_sdwa v14, v14, v152 dst_sel:DWORD dst_unused:UNUSED_PAD src0_sel:WORD_1 src1_sel:DWORD
	;; [unrolled: 2-line block ×4, first 2 shown]
	v_pk_fma_f16 v32, v9, v29, v32
	v_pk_fma_f16 v33, v9, v13, v33
	;; [unrolled: 1-line block ×16, first 2 shown]
	v_mul_u32_u24_sdwa v16, v17, v152 dst_sel:DWORD dst_unused:UNUSED_PAD src0_sel:WORD_0 src1_sel:DWORD
	v_mul_u32_u24_sdwa v17, v17, v152 dst_sel:DWORD dst_unused:UNUSED_PAD src0_sel:WORD_1 src1_sel:DWORD
	v_mul_u32_u24_sdwa v25, v18, v152 dst_sel:DWORD dst_unused:UNUSED_PAD src0_sel:WORD_0 src1_sel:DWORD
	v_mul_u32_u24_sdwa v18, v18, v152 dst_sel:DWORD dst_unused:UNUSED_PAD src0_sel:WORD_1 src1_sel:DWORD
	;; [unrolled: 2-line block ×4, first 2 shown]
	s_waitcnt lgkmcnt(0)
	s_lshl_b32 s9, s9, 5
	v_pk_fma_f16 v142, v11, v16, v32
	v_pk_fma_f16 v135, v11, v17, v33
	;; [unrolled: 1-line block ×16, first 2 shown]
	s_add_i32 s29, s9, s29
	s_cmp_ge_i32 s29, s30
	s_cbranch_scc1 .LBB0_37
; %bb.28:                               ;   in Loop: Header=BB0_11 Depth=1
	v_mov_b32_e32 v9, v1
	v_mov_b32_e32 v10, v2
	;; [unrolled: 1-line block ×16, first 2 shown]
	s_branch .LBB0_11
.LBB0_29:                               ;   in Loop: Header=BB0_11 Depth=1
	v_add_co_u32 v1, s9, s10, v108
	v_add_co_ci_u32_e64 v2, null, s11, v109, s9
	global_load_dwordx4 v[1:4], v[1:2], off offset:96
	s_waitcnt vmcnt(0)
	ds_write_b128 v139, v[1:4]
	s_or_b32 exec_lo, exec_lo, s12
	s_and_saveexec_b32 s12, s1
	s_cbranch_execz .LBB0_13
.LBB0_30:                               ;   in Loop: Header=BB0_11 Depth=1
	v_add_co_u32 v1, s9, s10, v110
	v_add_co_ci_u32_e64 v2, null, s11, v111, s9
	v_add_co_u32 v1, s9, v1, v150
	v_add_co_ci_u32_e64 v2, null, 0, v2, s9
	global_load_dwordx4 v[1:4], v[1:2], off offset:64
	s_waitcnt vmcnt(0)
	ds_write_b128 v140, v[1:4]
	s_or_b32 exec_lo, exec_lo, s12
	s_and_saveexec_b32 s12, s2
	s_cbranch_execnz .LBB0_14
	s_branch .LBB0_15
.LBB0_31:                               ;   in Loop: Header=BB0_11 Depth=1
	v_add_co_u32 v17, s9, s10, v108
	v_add_co_ci_u32_e64 v18, null, s11, v109, s9
	global_load_dwordx4 v[17:20], v[17:18], off offset:208
	s_waitcnt vmcnt(0)
	ds_write_b128 v139, v[17:20]
	s_or_b32 exec_lo, exec_lo, s12
	s_and_saveexec_b32 s12, s1
	s_cbranch_execz .LBB0_17
.LBB0_32:                               ;   in Loop: Header=BB0_11 Depth=1
	v_add_co_u32 v17, s9, s10, v110
	v_add_co_ci_u32_e64 v18, null, s11, v111, s9
	v_add_co_u32 v17, s9, v17, v150
	v_add_co_ci_u32_e64 v18, null, 0, v18, s9
	global_load_dwordx4 v[17:20], v[17:18], off offset:176
	s_waitcnt vmcnt(0)
	ds_write_b128 v140, v[17:20]
	s_or_b32 exec_lo, exec_lo, s12
	s_and_saveexec_b32 s12, s2
	s_cbranch_execnz .LBB0_18
	s_branch .LBB0_19
.LBB0_33:                               ;   in Loop: Header=BB0_11 Depth=1
	v_add_co_u32 v9, s25, s38, v114
	v_add_co_ci_u32_e64 v10, null, s39, v115, s25
	v_add_co_u32 v9, s25, v9, v150
	v_add_co_ci_u32_e64 v10, null, 0, v10, s25
	global_load_dwordx4 v[9:12], v[9:10], off offset:192
	s_waitcnt vmcnt(0)
	ds_write_b128 v146, v[9:12]
	s_or_b32 exec_lo, exec_lo, s47
	s_and_saveexec_b32 s47, s6
	s_cbranch_execz .LBB0_21
.LBB0_34:                               ;   in Loop: Header=BB0_11 Depth=1
	v_add_co_u32 v9, s25, s38, v116
	v_add_co_ci_u32_e64 v10, null, s39, v117, s25
	v_add_co_u32 v9, s25, v9, v151
	v_add_co_ci_u32_e64 v10, null, 0, v10, s25
	global_load_dwordx4 v[9:12], v[9:10], off offset:128
	s_waitcnt vmcnt(0)
	ds_write_b128 v147, v[9:12]
	s_or_b32 exec_lo, exec_lo, s47
	v_lshlrev_b32_e32 v184, 2, v145
	s_and_saveexec_b32 s47, s8
	s_cbranch_execnz .LBB0_22
	s_branch .LBB0_23
.LBB0_35:                               ;   in Loop: Header=BB0_11 Depth=1
	v_add_co_u32 v185, s25, s38, v114
	v_add_co_ci_u32_e64 v186, null, s39, v115, s25
	v_add_co_u32 v185, s25, v185, v150
	v_add_co_ci_u32_e64 v186, null, 0, v186, s25
	global_load_dwordx4 v[185:188], v[185:186], off offset:192
	s_waitcnt vmcnt(0)
	ds_write_b128 v146, v[185:188]
	s_or_b32 exec_lo, exec_lo, s47
	s_and_saveexec_b32 s47, s6
	s_cbranch_execz .LBB0_25
.LBB0_36:                               ;   in Loop: Header=BB0_11 Depth=1
	v_add_co_u32 v185, s25, s38, v116
	v_add_co_ci_u32_e64 v186, null, s39, v117, s25
	v_add_co_u32 v185, s25, v185, v151
	v_add_co_ci_u32_e64 v186, null, 0, v186, s25
	global_load_dwordx4 v[185:188], v[185:186], off offset:128
	s_waitcnt vmcnt(0)
	ds_write_b128 v147, v[185:188]
	s_or_b32 exec_lo, exec_lo, s47
	s_and_saveexec_b32 s47, s8
	s_cbranch_execnz .LBB0_26
	s_branch .LBB0_27
.LBB0_37:
	v_mov_b32_e32 v9, v132
.LBB0_38:
	v_cmp_lt_i32_e32 vcc_lo, v161, v129
	s_cmp_lg_u64 s[44:45], 0
	s_cselect_b32 s1, -1, 0
	s_cmp_eq_u32 s7, 0
	v_cndmask_b32_e32 v10, v9, v161, vcc_lo
	v_cmp_lt_i32_e32 vcc_lo, v162, v129
	s_cselect_b32 s2, -1, 0
	s_and_b32 s1, s2, s1
	v_lshlrev_b32_e32 v10, 2, v10
	v_cndmask_b32_e32 v18, v9, v162, vcc_lo
	v_cmp_lt_i32_e32 vcc_lo, v163, v129
	ds_bpermute_b32 v11, v10, v173
	ds_bpermute_b32 v12, v10, v172
	;; [unrolled: 1-line block ×8, first 2 shown]
	v_lshlrev_b32_e32 v18, 2, v18
	v_cndmask_b32_e32 v26, v9, v163, vcc_lo
	v_cmp_lt_i32_e32 vcc_lo, v164, v129
	v_lshlrev_b32_e32 v26, 2, v26
	s_waitcnt lgkmcnt(7)
	v_add_f32_e32 v11, v173, v11
	s_waitcnt lgkmcnt(6)
	v_add_f32_e32 v12, v172, v12
	;; [unrolled: 2-line block ×8, first 2 shown]
	ds_bpermute_b32 v19, v18, v11
	ds_bpermute_b32 v20, v18, v12
	;; [unrolled: 1-line block ×8, first 2 shown]
	s_waitcnt lgkmcnt(7)
	v_add_f32_e32 v11, v11, v19
	s_waitcnt lgkmcnt(6)
	v_add_f32_e32 v12, v12, v20
	;; [unrolled: 2-line block ×8, first 2 shown]
	ds_bpermute_b32 v18, v26, v11
	ds_bpermute_b32 v19, v26, v12
	ds_bpermute_b32 v20, v26, v13
	ds_bpermute_b32 v21, v26, v14
	ds_bpermute_b32 v22, v26, v15
	ds_bpermute_b32 v23, v26, v16
	ds_bpermute_b32 v24, v26, v17
	ds_bpermute_b32 v25, v26, v10
	v_cndmask_b32_e32 v26, v9, v164, vcc_lo
	v_cmp_lt_i32_e32 vcc_lo, v165, v129
	v_lshlrev_b32_e32 v26, 2, v26
	v_cndmask_b32_e32 v9, v9, v165, vcc_lo
	s_and_b32 vcc_lo, exec_lo, s1
	v_lshlrev_b32_e32 v9, 2, v9
	s_waitcnt lgkmcnt(7)
	v_add_f32_e32 v11, v11, v18
	s_waitcnt lgkmcnt(6)
	v_add_f32_e32 v12, v12, v19
	;; [unrolled: 2-line block ×8, first 2 shown]
	ds_bpermute_b32 v18, v26, v11
	ds_bpermute_b32 v19, v26, v12
	;; [unrolled: 1-line block ×8, first 2 shown]
	s_waitcnt lgkmcnt(7)
	v_add_f32_e32 v11, v11, v18
	s_waitcnt lgkmcnt(6)
	v_add_f32_e32 v12, v12, v19
	;; [unrolled: 2-line block ×8, first 2 shown]
	ds_bpermute_b32 v10, v9, v11
	ds_bpermute_b32 v19, v9, v12
	;; [unrolled: 1-line block ×8, first 2 shown]
	s_waitcnt lgkmcnt(7)
	v_add_f32_e32 v9, v11, v10
	s_waitcnt lgkmcnt(6)
	v_add_f32_e32 v10, v12, v19
	;; [unrolled: 2-line block ×8, first 2 shown]
	s_cbranch_vccz .LBB0_41
; %bb.39:
	s_ashr_i32 s29, s28, 31
	v_mov_b32_e32 v17, 0
	s_lshl_b64 s[2:3], s[28:29], 2
	v_max_f32_e32 v18, v2, v2
	s_add_u32 s2, s44, s2
	s_addc_u32 s3, s45, s3
	v_max_f32_e32 v19, v3, v3
	s_clause 0x1
	global_load_dwordx4 v[26:29], v17, s[2:3]
	global_load_dwordx4 v[30:33], v17, s[2:3] offset:16
	v_max_f32_e32 v17, v1, v1
	v_max_f32_e32 v20, v4, v4
	;; [unrolled: 1-line block ×6, first 2 shown]
	v_mov_b32_e32 v25, 0x10001
	s_waitcnt vmcnt(1)
	v_max_f32_e32 v34, v26, v26
	v_max_f32_e32 v35, v27, v27
	;; [unrolled: 1-line block ×4, first 2 shown]
	s_waitcnt vmcnt(0)
	v_max_f32_e32 v38, v30, v30
	v_max_f32_e32 v39, v31, v31
	;; [unrolled: 1-line block ×12, first 2 shown]
	v_sub_f32_e32 v34, v1, v17
	v_sub_f32_e32 v35, v2, v18
	;; [unrolled: 1-line block ×8, first 2 shown]
	v_mov_b32_e32 v1, v17
	v_sub_f32_e32 v26, v26, v17
	v_mov_b32_e32 v2, v18
	v_mov_b32_e32 v3, v19
	;; [unrolled: 1-line block ×7, first 2 shown]
	v_mul_f32_e32 v17, 0x3fb8aa3b, v34
	v_sub_f32_e32 v27, v27, v18
	v_mul_f32_e32 v18, 0x3fb8aa3b, v26
	v_sub_f32_e32 v28, v28, v19
	v_mul_f32_e32 v19, 0x3fb8aa3b, v35
	v_fma_f32 v50, 0x3fb8aa3b, v34, -v17
	v_rndne_f32_e32 v51, v17
	v_fma_f32 v52, 0x3fb8aa3b, v26, -v18
	v_rndne_f32_e32 v53, v18
	v_sub_f32_e32 v29, v29, v20
	v_fmac_f32_e32 v50, 0x32a5705f, v34
	v_sub_f32_e32 v17, v17, v51
	v_mul_f32_e32 v20, 0x3fb8aa3b, v27
	v_fma_f32 v54, 0x3fb8aa3b, v35, -v19
	v_rndne_f32_e32 v55, v19
	v_fmac_f32_e32 v52, 0x32a5705f, v26
	v_sub_f32_e32 v18, v18, v53
	v_add_f32_e32 v17, v17, v50
	v_sub_f32_e32 v30, v30, v21
	v_mul_f32_e32 v21, 0x3fb8aa3b, v36
	v_fma_f32 v56, 0x3fb8aa3b, v27, -v20
	v_rndne_f32_e32 v57, v20
	v_fmac_f32_e32 v54, 0x32a5705f, v35
	v_sub_f32_e32 v19, v19, v55
	v_add_f32_e32 v18, v18, v52
	v_exp_f32_e32 v17, v17
	v_sub_f32_e32 v31, v31, v22
	v_mul_f32_e32 v22, 0x3fb8aa3b, v28
	v_fma_f32 v58, 0x3fb8aa3b, v36, -v21
	v_rndne_f32_e32 v59, v21
	v_cvt_i32_f32_e32 v51, v51
	v_fmac_f32_e32 v56, 0x32a5705f, v27
	v_sub_f32_e32 v20, v20, v57
	v_add_f32_e32 v19, v19, v54
	v_exp_f32_e32 v18, v18
	v_sub_f32_e32 v32, v32, v23
	v_mul_f32_e32 v23, 0x3fb8aa3b, v37
	v_fma_f32 v60, 0x3fb8aa3b, v28, -v22
	v_rndne_f32_e32 v61, v22
	v_cvt_i32_f32_e32 v53, v53
	v_fmac_f32_e32 v58, 0x32a5705f, v36
	v_sub_f32_e32 v21, v21, v59
	v_add_f32_e32 v20, v20, v56
	v_exp_f32_e32 v19, v19
	v_ldexp_f32 v17, v17, v51
	v_cmp_ngt_f32_e32 vcc_lo, 0xc2ce8ed0, v34
	v_sub_f32_e32 v33, v33, v24
	v_mul_f32_e32 v24, 0x3fb8aa3b, v29
	v_fma_f32 v62, 0x3fb8aa3b, v37, -v23
	v_rndne_f32_e32 v63, v23
	v_cvt_i32_f32_e32 v55, v55
	v_fmac_f32_e32 v60, 0x32a5705f, v28
	v_sub_f32_e32 v22, v22, v61
	v_add_f32_e32 v21, v21, v58
	v_exp_f32_e32 v20, v20
	v_ldexp_f32 v18, v18, v53
	v_cndmask_b32_e32 v17, 0, v17, vcc_lo
	v_cmp_ngt_f32_e32 vcc_lo, 0xc2ce8ed0, v26
	v_mul_f32_e32 v42, 0x3fb8aa3b, v38
	v_fma_f32 v64, 0x3fb8aa3b, v29, -v24
	v_rndne_f32_e32 v65, v24
	v_cvt_i32_f32_e32 v57, v57
	v_fmac_f32_e32 v62, 0x32a5705f, v37
	v_sub_f32_e32 v23, v23, v63
	v_add_f32_e32 v22, v22, v60
	v_exp_f32_e32 v21, v21
	v_ldexp_f32 v19, v19, v55
	v_cndmask_b32_e32 v18, 0, v18, vcc_lo
	v_cmp_ngt_f32_e32 vcc_lo, 0xc2ce8ed0, v35
	;; [unrolled: 11-line block ×9, first 2 shown]
	v_fma_f32 v80, 0x3fb8aa3b, v33, -v49
	v_rndne_f32_e32 v81, v49
	v_cvt_i32_f32_e32 v73, v73
	v_fmac_f32_e32 v78, 0x32a5705f, v41
	v_sub_f32_e32 v48, v48, v79
	v_add_f32_e32 v47, v47, v76
	v_exp_f32_e32 v46, v46
	v_ldexp_f32 v44, v44, v71
	v_cndmask_b32_e32 v43, 0, v43, vcc_lo
	v_cmp_ngt_f32_e32 vcc_lo, 0xc2ce8ed0, v39
	v_cvt_i32_f32_e32 v75, v75
	v_fmac_f32_e32 v80, 0x32a5705f, v33
	v_sub_f32_e32 v49, v49, v81
	v_add_f32_e32 v48, v48, v78
	v_exp_f32_e32 v47, v47
	v_ldexp_f32 v45, v45, v73
	v_cndmask_b32_e32 v44, 0, v44, vcc_lo
	v_cmp_ngt_f32_e32 vcc_lo, 0xc2ce8ed0, v31
	v_cvt_i32_f32_e32 v77, v77
	v_add_f32_e32 v49, v49, v80
	v_exp_f32_e32 v48, v48
	v_ldexp_f32 v46, v46, v75
	v_cndmask_b32_e32 v45, 0, v45, vcc_lo
	v_cmp_ngt_f32_e32 vcc_lo, 0xc2ce8ed0, v40
	v_cvt_i32_f32_e32 v79, v79
	v_exp_f32_e32 v49, v49
	v_ldexp_f32 v47, v47, v77
	v_cvt_i32_f32_e32 v81, v81
	v_cndmask_b32_e32 v46, 0, v46, vcc_lo
	v_cmp_ngt_f32_e32 vcc_lo, 0xc2ce8ed0, v32
	v_ldexp_f32 v48, v48, v79
	v_cndmask_b32_e32 v47, 0, v47, vcc_lo
	v_cmp_ngt_f32_e32 vcc_lo, 0xc2ce8ed0, v41
	v_ldexp_f32 v49, v49, v81
	v_cndmask_b32_e32 v48, 0, v48, vcc_lo
	v_cmp_ngt_f32_e32 vcc_lo, 0xc2ce8ed0, v33
	v_cndmask_b32_e32 v49, 0, v49, vcc_lo
	v_cmp_nlt_f32_e32 vcc_lo, 0x42b17218, v34
	v_cndmask_b32_e32 v34, 0x7f800000, v17, vcc_lo
	v_cmp_nlt_f32_e32 vcc_lo, 0x42b17218, v26
	;; [unrolled: 2-line block ×3, first 2 shown]
	v_fmac_f32_e32 v17, v9, v34
	v_cndmask_b32_e32 v26, 0x7f800000, v19, vcc_lo
	v_cmp_nlt_f32_e32 vcc_lo, 0x42b17218, v27
	v_cvt_f16_f32_e32 v9, v34
	v_cndmask_b32_e32 v18, 0x7f800000, v20, vcc_lo
	v_cmp_nlt_f32_e32 vcc_lo, 0x42b17218, v36
	v_fmac_f32_e32 v18, v10, v26
	v_cndmask_b32_e32 v27, 0x7f800000, v21, vcc_lo
	v_cmp_nlt_f32_e32 vcc_lo, 0x42b17218, v28
	v_cvt_f16_f32_e32 v10, v26
	v_mul_u32_u24_sdwa v26, v9, v25 dst_sel:DWORD dst_unused:UNUSED_PAD src0_sel:WORD_0 src1_sel:DWORD
	v_mov_b32_e32 v9, v17
	v_cndmask_b32_e32 v19, 0x7f800000, v22, vcc_lo
	v_cmp_nlt_f32_e32 vcc_lo, 0x42b17218, v37
	v_pk_mul_f16 v142, v142, v26
	v_pk_mul_f16 v144, v144, v26
	v_fmac_f32_e32 v19, v11, v27
	v_cndmask_b32_e32 v28, 0x7f800000, v23, vcc_lo
	v_cmp_nlt_f32_e32 vcc_lo, 0x42b17218, v29
	v_cvt_f16_f32_e32 v11, v27
	v_mul_u32_u24_sdwa v27, v10, v25 dst_sel:DWORD dst_unused:UNUSED_PAD src0_sel:WORD_0 src1_sel:DWORD
	v_mov_b32_e32 v10, v18
	v_cndmask_b32_e32 v20, 0x7f800000, v24, vcc_lo
	v_cmp_nlt_f32_e32 vcc_lo, 0x42b17218, v38
	v_pk_mul_f16 v135, v135, v27
	v_pk_mul_f16 v136, v136, v27
	;; [unrolled: 10-line block ×5, first 2 shown]
	v_fmac_f32_e32 v23, v15, v31
	v_cndmask_b32_e32 v32, 0x7f800000, v48, vcc_lo
	v_cmp_nlt_f32_e32 vcc_lo, 0x42b17218, v33
	v_cvt_f16_f32_e32 v15, v31
	v_mul_u32_u24_sdwa v31, v14, v25 dst_sel:DWORD dst_unused:UNUSED_PAD src0_sel:WORD_0 src1_sel:DWORD
	v_mov_b32_e32 v14, v22
	v_cndmask_b32_e32 v24, 0x7f800000, v49, vcc_lo
	v_pk_mul_f16 v125, v125, v31
	v_pk_mul_f16 v126, v126, v31
	v_fmac_f32_e32 v24, v16, v32
	v_cvt_f16_f32_e32 v16, v32
	v_mul_u32_u24_sdwa v32, v15, v25 dst_sel:DWORD dst_unused:UNUSED_PAD src0_sel:WORD_0 src1_sel:DWORD
	v_mov_b32_e32 v15, v23
	v_mul_u32_u24_sdwa v16, v16, v25 dst_sel:DWORD dst_unused:UNUSED_PAD src0_sel:WORD_0 src1_sel:DWORD
	v_pk_mul_f16 v123, v123, v32
	v_pk_mul_f16 v124, v124, v32
	;; [unrolled: 1-line block ×4, first 2 shown]
	v_mov_b32_e32 v16, v24
	s_mov_b32 s1, exec_lo
	v_cmpx_gt_i32_e64 s26, v106
	s_cbranch_execnz .LBB0_42
.LBB0_40:
	s_endpgm
.LBB0_41:
	v_mov_b32_e32 v24, v16
	v_mov_b32_e32 v23, v15
	;; [unrolled: 1-line block ×8, first 2 shown]
	s_mov_b32 s1, exec_lo
	v_cmpx_gt_i32_e64 s26, v106
	s_cbranch_execz .LBB0_40
.LBB0_42:
	s_load_dword s1, s[4:5], 0xd4
	v_mov_b32_e32 v26, 1.0
	s_waitcnt lgkmcnt(0)
	s_cmp_lg_u32 s1, 1
	s_cselect_b32 s2, -1, 0
	s_cmp_eq_u32 s1, 1
	s_cselect_b32 s3, -1, 0
	s_and_b32 vcc_lo, exec_lo, s2
	s_cbranch_vccnz .LBB0_44
; %bb.43:
	v_div_scale_f32 v25, null, v9, v9, 1.0
	v_rcp_f32_e32 v26, v25
	v_fma_f32 v27, -v25, v26, 1.0
	v_fmac_f32_e32 v26, v27, v26
	v_div_scale_f32 v27, vcc_lo, 1.0, v9, 1.0
	v_mul_f32_e32 v28, v27, v26
	v_fma_f32 v29, -v25, v28, v27
	v_fmac_f32_e32 v28, v29, v26
	v_fma_f32 v25, -v25, v28, v27
	v_div_fmas_f32 v25, v25, v26, v28
	v_div_fixup_f32 v26, v25, v9, 1.0
.LBB0_44:
	v_mad_u64_u32 v[27:28], null, s33, s26, v[106:107]
	v_mad_u64_u32 v[27:28], null, v27, s27, s[28:29]
	v_mul_lo_u32 v27, s1, v27
	v_add_nc_u32_e32 v25, s7, v27
	s_and_saveexec_b32 s4, s0
	s_cbranch_execz .LBB0_46
; %bb.45:
	v_mad_u64_u32 v[28:29], null, 0x70, v25, v[105:106]
	v_mov_b32_e32 v29, 0
	v_cvt_f32_f16_sdwa v9, v144 dst_sel:DWORD dst_unused:UNUSED_PAD src0_sel:WORD_1
	v_cvt_f32_f16_e32 v30, v144
	v_cvt_f32_f16_sdwa v34, v142 dst_sel:DWORD dst_unused:UNUSED_PAD src0_sel:WORD_1
	v_mul_f32_e32 v31, v26, v9
	v_lshlrev_b64 v[32:33], 2, v[28:29]
	v_cvt_f32_f16_e32 v28, v142
	v_mul_f32_e32 v30, v26, v30
	v_mul_f32_e32 v29, v26, v34
	;; [unrolled: 1-line block ×3, first 2 shown]
	v_add_co_u32 v32, vcc_lo, s48, v32
	v_add_co_ci_u32_e64 v33, null, s49, v33, vcc_lo
	global_store_dwordx4 v[32:33], v[28:31], off
.LBB0_46:
	s_or_b32 exec_lo, exec_lo, s4
	v_cmp_eq_u32_e32 vcc_lo, 0, v0
	s_and_b32 s2, vcc_lo, s2
	s_and_saveexec_b32 s4, s2
	s_cbranch_execz .LBB0_48
; %bb.47:
	v_ashrrev_i32_e32 v26, 31, v25
	v_mov_b32_e32 v0, v1
	v_mov_b32_e32 v1, v17
	v_lshlrev_b64 v[25:26], 3, v[25:26]
	v_add_co_u32 v25, vcc_lo, s50, v25
	v_add_co_ci_u32_e64 v26, null, s51, v26, vcc_lo
	global_store_dwordx2 v[25:26], v[0:1], off
.LBB0_48:
	s_or_b32 exec_lo, exec_lo, s4
	v_cndmask_b32_e64 v9, 0, 1, s3
	v_mov_b32_e32 v1, 1.0
	s_andn2_b32 vcc_lo, exec_lo, s3
	s_cbranch_vccz .LBB0_75
; %bb.49:
	v_add_nc_u32_e32 v10, s1, v27
	v_add_nc_u32_e32 v0, s7, v10
	s_and_saveexec_b32 s3, s0
	s_cbranch_execnz .LBB0_76
.LBB0_50:
	s_or_b32 exec_lo, exec_lo, s3
	s_and_saveexec_b32 s3, s2
	s_cbranch_execz .LBB0_52
.LBB0_51:
	v_ashrrev_i32_e32 v1, 31, v0
	v_mov_b32_e32 v17, v2
	v_lshlrev_b64 v[0:1], 3, v[0:1]
	v_add_co_u32 v0, vcc_lo, s50, v0
	v_add_co_ci_u32_e64 v1, null, s51, v1, vcc_lo
	global_store_dwordx2 v[0:1], v[17:18], off
.LBB0_52:
	s_or_b32 exec_lo, exec_lo, s3
	v_cmp_ne_u32_e32 vcc_lo, 1, v9
	v_mov_b32_e32 v1, 1.0
	s_cbranch_vccz .LBB0_77
; %bb.53:
	v_add_nc_u32_e32 v2, s1, v10
	v_add_nc_u32_e32 v0, s7, v2
	s_and_saveexec_b32 s3, s0
	s_cbranch_execnz .LBB0_78
.LBB0_54:
	s_or_b32 exec_lo, exec_lo, s3
	s_and_saveexec_b32 s3, s2
	s_cbranch_execz .LBB0_56
.LBB0_55:
	v_ashrrev_i32_e32 v1, 31, v0
	v_mov_b32_e32 v18, v3
	v_lshlrev_b64 v[0:1], 3, v[0:1]
	v_add_co_u32 v0, vcc_lo, s50, v0
	v_add_co_ci_u32_e64 v1, null, s51, v1, vcc_lo
	global_store_dwordx2 v[0:1], v[18:19], off
.LBB0_56:
	s_or_b32 exec_lo, exec_lo, s3
	v_cmp_ne_u32_e32 vcc_lo, 1, v9
	v_mov_b32_e32 v1, 1.0
	s_cbranch_vccz .LBB0_79
; %bb.57:
	v_add_nc_u32_e32 v2, s1, v2
	v_add_nc_u32_e32 v0, s7, v2
	s_and_saveexec_b32 s3, s0
	s_cbranch_execnz .LBB0_80
.LBB0_58:
	s_or_b32 exec_lo, exec_lo, s3
	s_and_saveexec_b32 s3, s2
	s_cbranch_execz .LBB0_60
.LBB0_59:
	v_ashrrev_i32_e32 v1, 31, v0
	v_mov_b32_e32 v19, v4
	v_lshlrev_b64 v[0:1], 3, v[0:1]
	v_add_co_u32 v0, vcc_lo, s50, v0
	v_add_co_ci_u32_e64 v1, null, s51, v1, vcc_lo
	global_store_dwordx2 v[0:1], v[19:20], off
.LBB0_60:
	s_or_b32 exec_lo, exec_lo, s3
	v_cmp_ne_u32_e32 vcc_lo, 1, v9
	v_mov_b32_e32 v1, 1.0
	s_cbranch_vccz .LBB0_81
; %bb.61:
	v_add_nc_u32_e32 v2, s1, v2
	v_add_nc_u32_e32 v0, s7, v2
	s_and_saveexec_b32 s3, s0
	s_cbranch_execnz .LBB0_82
.LBB0_62:
	s_or_b32 exec_lo, exec_lo, s3
	s_and_saveexec_b32 s3, s2
	s_cbranch_execz .LBB0_64
.LBB0_63:
	v_ashrrev_i32_e32 v1, 31, v0
	v_mov_b32_e32 v20, v5
	v_lshlrev_b64 v[0:1], 3, v[0:1]
	v_add_co_u32 v0, vcc_lo, s50, v0
	v_add_co_ci_u32_e64 v1, null, s51, v1, vcc_lo
	global_store_dwordx2 v[0:1], v[20:21], off
.LBB0_64:
	s_or_b32 exec_lo, exec_lo, s3
	v_cmp_ne_u32_e32 vcc_lo, 1, v9
	v_mov_b32_e32 v1, 1.0
	s_cbranch_vccz .LBB0_83
; %bb.65:
	v_add_nc_u32_e32 v2, s1, v2
	v_add_nc_u32_e32 v0, s7, v2
	s_and_saveexec_b32 s3, s0
	s_cbranch_execnz .LBB0_84
.LBB0_66:
	s_or_b32 exec_lo, exec_lo, s3
	s_and_saveexec_b32 s3, s2
	s_cbranch_execz .LBB0_68
.LBB0_67:
	v_ashrrev_i32_e32 v1, 31, v0
	v_mov_b32_e32 v21, v6
	v_lshlrev_b64 v[0:1], 3, v[0:1]
	v_add_co_u32 v0, vcc_lo, s50, v0
	v_add_co_ci_u32_e64 v1, null, s51, v1, vcc_lo
	global_store_dwordx2 v[0:1], v[21:22], off
.LBB0_68:
	s_or_b32 exec_lo, exec_lo, s3
	v_cmp_ne_u32_e32 vcc_lo, 1, v9
	v_mov_b32_e32 v1, 1.0
	s_cbranch_vccz .LBB0_85
; %bb.69:
	v_add_nc_u32_e32 v2, s1, v2
	v_add_nc_u32_e32 v0, s7, v2
	s_and_saveexec_b32 s3, s0
	s_cbranch_execnz .LBB0_86
.LBB0_70:
	s_or_b32 exec_lo, exec_lo, s3
	s_and_saveexec_b32 s3, s2
	s_cbranch_execz .LBB0_72
.LBB0_71:
	v_ashrrev_i32_e32 v1, 31, v0
	v_mov_b32_e32 v22, v7
	v_lshlrev_b64 v[0:1], 3, v[0:1]
	v_add_co_u32 v0, vcc_lo, s50, v0
	v_add_co_ci_u32_e64 v1, null, s51, v1, vcc_lo
	global_store_dwordx2 v[0:1], v[22:23], off
.LBB0_72:
	s_or_b32 exec_lo, exec_lo, s3
	v_cmp_ne_u32_e32 vcc_lo, 1, v9
	v_mov_b32_e32 v1, 1.0
	s_cbranch_vccz .LBB0_87
; %bb.73:
	v_add3_u32 v0, s7, s1, v2
	s_and_saveexec_b32 s1, s0
	s_cbranch_execnz .LBB0_88
.LBB0_74:
	s_or_b32 exec_lo, exec_lo, s1
	s_and_b32 exec_lo, exec_lo, s2
	s_cbranch_execz .LBB0_40
	s_branch .LBB0_89
.LBB0_75:
	v_div_scale_f32 v0, null, v10, v10, 1.0
	v_rcp_f32_e32 v1, v0
	v_fma_f32 v17, -v0, v1, 1.0
	v_fmac_f32_e32 v1, v17, v1
	v_div_scale_f32 v17, vcc_lo, 1.0, v10, 1.0
	v_mul_f32_e32 v25, v17, v1
	v_fma_f32 v26, -v0, v25, v17
	v_fmac_f32_e32 v25, v26, v1
	v_fma_f32 v0, -v0, v25, v17
	v_div_fmas_f32 v0, v0, v1, v25
	v_div_fixup_f32 v1, v0, v10, 1.0
	v_add_nc_u32_e32 v10, s1, v27
	v_add_nc_u32_e32 v0, s7, v10
	s_and_saveexec_b32 s3, s0
	s_cbranch_execz .LBB0_50
.LBB0_76:
	v_mad_u64_u32 v[25:26], null, 0x70, v0, v[105:106]
	v_mov_b32_e32 v26, 0
	v_cvt_f32_f16_sdwa v17, v136 dst_sel:DWORD dst_unused:UNUSED_PAD src0_sel:WORD_1
	v_cvt_f32_f16_e32 v27, v136
	v_cvt_f32_f16_sdwa v31, v135 dst_sel:DWORD dst_unused:UNUSED_PAD src0_sel:WORD_1
	v_mul_f32_e32 v28, v1, v17
	v_lshlrev_b64 v[29:30], 2, v[25:26]
	v_cvt_f32_f16_e32 v25, v135
	v_mul_f32_e32 v27, v1, v27
	v_mul_f32_e32 v26, v1, v31
	;; [unrolled: 1-line block ×3, first 2 shown]
	v_add_co_u32 v29, vcc_lo, s48, v29
	v_add_co_ci_u32_e64 v30, null, s49, v30, vcc_lo
	global_store_dwordx4 v[29:30], v[25:28], off
	s_or_b32 exec_lo, exec_lo, s3
	s_and_saveexec_b32 s3, s2
	s_cbranch_execnz .LBB0_51
	s_branch .LBB0_52
.LBB0_77:
	v_div_scale_f32 v0, null, v11, v11, 1.0
	v_rcp_f32_e32 v1, v0
	v_fma_f32 v2, -v0, v1, 1.0
	v_fmac_f32_e32 v1, v2, v1
	v_div_scale_f32 v2, vcc_lo, 1.0, v11, 1.0
	v_mul_f32_e32 v17, v2, v1
	v_fma_f32 v18, -v0, v17, v2
	v_fmac_f32_e32 v17, v18, v1
	v_fma_f32 v0, -v0, v17, v2
	v_div_fmas_f32 v0, v0, v1, v17
	v_div_fixup_f32 v1, v0, v11, 1.0
	v_add_nc_u32_e32 v2, s1, v10
	v_add_nc_u32_e32 v0, s7, v2
	s_and_saveexec_b32 s3, s0
	s_cbranch_execz .LBB0_54
.LBB0_78:
	v_mad_u64_u32 v[10:11], null, 0x70, v0, v[105:106]
	v_mov_b32_e32 v11, 0
	v_cvt_f32_f16_sdwa v17, v134 dst_sel:DWORD dst_unused:UNUSED_PAD src0_sel:WORD_1
	v_cvt_f32_f16_e32 v18, v134
	v_cvt_f32_f16_sdwa v25, v133 dst_sel:DWORD dst_unused:UNUSED_PAD src0_sel:WORD_1
	v_cvt_f32_f16_e32 v29, v133
	v_mul_f32_e32 v28, v1, v17
	v_lshlrev_b64 v[10:11], 2, v[10:11]
	v_mul_f32_e32 v27, v1, v18
	v_mul_f32_e32 v26, v1, v25
	;; [unrolled: 1-line block ×3, first 2 shown]
	v_add_co_u32 v10, vcc_lo, s48, v10
	v_add_co_ci_u32_e64 v11, null, s49, v11, vcc_lo
	global_store_dwordx4 v[10:11], v[25:28], off
	s_or_b32 exec_lo, exec_lo, s3
	s_and_saveexec_b32 s3, s2
	s_cbranch_execnz .LBB0_55
	s_branch .LBB0_56
.LBB0_79:
	v_div_scale_f32 v0, null, v12, v12, 1.0
	v_rcp_f32_e32 v1, v0
	v_fma_f32 v3, -v0, v1, 1.0
	v_fmac_f32_e32 v1, v3, v1
	v_div_scale_f32 v3, vcc_lo, 1.0, v12, 1.0
	v_mul_f32_e32 v10, v3, v1
	v_fma_f32 v11, -v0, v10, v3
	v_fmac_f32_e32 v10, v11, v1
	v_fma_f32 v0, -v0, v10, v3
	v_div_fmas_f32 v0, v0, v1, v10
	v_div_fixup_f32 v1, v0, v12, 1.0
	v_add_nc_u32_e32 v2, s1, v2
	v_add_nc_u32_e32 v0, s7, v2
	s_and_saveexec_b32 s3, s0
	s_cbranch_execz .LBB0_58
.LBB0_80:
	v_mad_u64_u32 v[10:11], null, 0x70, v0, v[105:106]
	v_mov_b32_e32 v11, 0
	v_cvt_f32_f16_sdwa v3, v131 dst_sel:DWORD dst_unused:UNUSED_PAD src0_sel:WORD_1
	v_cvt_f32_f16_e32 v12, v131
	v_cvt_f32_f16_sdwa v17, v130 dst_sel:DWORD dst_unused:UNUSED_PAD src0_sel:WORD_1
	v_cvt_f32_f16_e32 v18, v130
	v_mul_f32_e32 v28, v1, v3
	v_lshlrev_b64 v[10:11], 2, v[10:11]
	v_mul_f32_e32 v27, v1, v12
	v_mul_f32_e32 v26, v1, v17
	;; [unrolled: 1-line block ×3, first 2 shown]
	v_add_co_u32 v10, vcc_lo, s48, v10
	v_add_co_ci_u32_e64 v11, null, s49, v11, vcc_lo
	global_store_dwordx4 v[10:11], v[25:28], off
	s_or_b32 exec_lo, exec_lo, s3
	s_and_saveexec_b32 s3, s2
	s_cbranch_execnz .LBB0_59
	s_branch .LBB0_60
.LBB0_81:
	v_div_scale_f32 v0, null, v13, v13, 1.0
	v_rcp_f32_e32 v1, v0
	v_fma_f32 v3, -v0, v1, 1.0
	v_fmac_f32_e32 v1, v3, v1
	v_div_scale_f32 v3, vcc_lo, 1.0, v13, 1.0
	v_mul_f32_e32 v4, v3, v1
	v_fma_f32 v10, -v0, v4, v3
	v_fmac_f32_e32 v4, v10, v1
	v_fma_f32 v0, -v0, v4, v3
	v_div_fmas_f32 v0, v0, v1, v4
	v_div_fixup_f32 v1, v0, v13, 1.0
	v_add_nc_u32_e32 v2, s1, v2
	v_add_nc_u32_e32 v0, s7, v2
	s_and_saveexec_b32 s3, s0
	s_cbranch_execz .LBB0_62
.LBB0_82:
	v_mad_u64_u32 v[3:4], null, 0x70, v0, v[105:106]
	v_mov_b32_e32 v4, 0
	v_cvt_f32_f16_sdwa v10, v128 dst_sel:DWORD dst_unused:UNUSED_PAD src0_sel:WORD_1
	v_cvt_f32_f16_e32 v11, v128
	v_cvt_f32_f16_sdwa v17, v127 dst_sel:DWORD dst_unused:UNUSED_PAD src0_sel:WORD_1
	v_cvt_f32_f16_e32 v18, v127
	v_mul_f32_e32 v13, v1, v10
	v_lshlrev_b64 v[3:4], 2, v[3:4]
	v_mul_f32_e32 v12, v1, v11
	v_mul_f32_e32 v11, v1, v17
	;; [unrolled: 1-line block ×3, first 2 shown]
	v_add_co_u32 v3, vcc_lo, s48, v3
	v_add_co_ci_u32_e64 v4, null, s49, v4, vcc_lo
	global_store_dwordx4 v[3:4], v[10:13], off
	s_or_b32 exec_lo, exec_lo, s3
	s_and_saveexec_b32 s3, s2
	s_cbranch_execnz .LBB0_63
	s_branch .LBB0_64
.LBB0_83:
	v_div_scale_f32 v0, null, v14, v14, 1.0
	v_rcp_f32_e32 v1, v0
	v_fma_f32 v3, -v0, v1, 1.0
	v_fmac_f32_e32 v1, v3, v1
	v_div_scale_f32 v3, vcc_lo, 1.0, v14, 1.0
	v_mul_f32_e32 v4, v3, v1
	v_fma_f32 v5, -v0, v4, v3
	v_fmac_f32_e32 v4, v5, v1
	v_fma_f32 v0, -v0, v4, v3
	v_div_fmas_f32 v0, v0, v1, v4
	v_div_fixup_f32 v1, v0, v14, 1.0
	v_add_nc_u32_e32 v2, s1, v2
	v_add_nc_u32_e32 v0, s7, v2
	s_and_saveexec_b32 s3, s0
	s_cbranch_execz .LBB0_66
.LBB0_84:
	v_mad_u64_u32 v[3:4], null, 0x70, v0, v[105:106]
	v_mov_b32_e32 v4, 0
	v_cvt_f32_f16_sdwa v5, v126 dst_sel:DWORD dst_unused:UNUSED_PAD src0_sel:WORD_1
	v_cvt_f32_f16_e32 v10, v126
	v_cvt_f32_f16_sdwa v11, v125 dst_sel:DWORD dst_unused:UNUSED_PAD src0_sel:WORD_1
	v_cvt_f32_f16_e32 v14, v125
	v_mul_f32_e32 v13, v1, v5
	v_lshlrev_b64 v[3:4], 2, v[3:4]
	v_mul_f32_e32 v12, v1, v10
	v_mul_f32_e32 v11, v1, v11
	;; [unrolled: 1-line block ×3, first 2 shown]
	v_add_co_u32 v3, vcc_lo, s48, v3
	v_add_co_ci_u32_e64 v4, null, s49, v4, vcc_lo
	global_store_dwordx4 v[3:4], v[10:13], off
	s_or_b32 exec_lo, exec_lo, s3
	s_and_saveexec_b32 s3, s2
	s_cbranch_execnz .LBB0_67
	s_branch .LBB0_68
.LBB0_85:
	v_div_scale_f32 v0, null, v15, v15, 1.0
	v_rcp_f32_e32 v1, v0
	v_fma_f32 v3, -v0, v1, 1.0
	v_fmac_f32_e32 v1, v3, v1
	v_div_scale_f32 v3, vcc_lo, 1.0, v15, 1.0
	v_mul_f32_e32 v4, v3, v1
	v_fma_f32 v5, -v0, v4, v3
	v_fmac_f32_e32 v4, v5, v1
	v_fma_f32 v0, -v0, v4, v3
	v_div_fmas_f32 v0, v0, v1, v4
	v_div_fixup_f32 v1, v0, v15, 1.0
	v_add_nc_u32_e32 v2, s1, v2
	v_add_nc_u32_e32 v0, s7, v2
	s_and_saveexec_b32 s3, s0
	s_cbranch_execz .LBB0_70
.LBB0_86:
	v_mad_u64_u32 v[3:4], null, 0x70, v0, v[105:106]
	v_mov_b32_e32 v4, 0
	v_cvt_f32_f16_sdwa v5, v124 dst_sel:DWORD dst_unused:UNUSED_PAD src0_sel:WORD_1
	v_cvt_f32_f16_e32 v12, v124
	v_cvt_f32_f16_sdwa v13, v123 dst_sel:DWORD dst_unused:UNUSED_PAD src0_sel:WORD_1
	v_mul_f32_e32 v6, v1, v5
	v_lshlrev_b64 v[10:11], 2, v[3:4]
	v_cvt_f32_f16_e32 v3, v123
	v_mul_f32_e32 v5, v1, v12
	v_mul_f32_e32 v4, v1, v13
	;; [unrolled: 1-line block ×3, first 2 shown]
	v_add_co_u32 v10, vcc_lo, s48, v10
	v_add_co_ci_u32_e64 v11, null, s49, v11, vcc_lo
	global_store_dwordx4 v[10:11], v[3:6], off
	s_or_b32 exec_lo, exec_lo, s3
	s_and_saveexec_b32 s3, s2
	s_cbranch_execnz .LBB0_71
	s_branch .LBB0_72
.LBB0_87:
	v_div_scale_f32 v0, null, v16, v16, 1.0
	v_rcp_f32_e32 v1, v0
	v_fma_f32 v3, -v0, v1, 1.0
	v_fmac_f32_e32 v1, v3, v1
	v_div_scale_f32 v3, vcc_lo, 1.0, v16, 1.0
	v_mul_f32_e32 v4, v3, v1
	v_fma_f32 v5, -v0, v4, v3
	v_fmac_f32_e32 v4, v5, v1
	v_fma_f32 v0, -v0, v4, v3
	v_div_fmas_f32 v0, v0, v1, v4
	v_div_fixup_f32 v1, v0, v16, 1.0
	v_add3_u32 v0, s7, s1, v2
	s_and_saveexec_b32 s1, s0
	s_cbranch_execz .LBB0_74
.LBB0_88:
	v_mad_u64_u32 v[2:3], null, 0x70, v0, v[105:106]
	v_mov_b32_e32 v3, 0
	v_cvt_f32_f16_sdwa v4, v120 dst_sel:DWORD dst_unused:UNUSED_PAD src0_sel:WORD_1
	v_cvt_f32_f16_e32 v7, v120
	v_cvt_f32_f16_sdwa v9, v121 dst_sel:DWORD dst_unused:UNUSED_PAD src0_sel:WORD_1
	v_cvt_f32_f16_e32 v10, v121
	v_mul_f32_e32 v4, v1, v4
	v_lshlrev_b64 v[5:6], 2, v[2:3]
	v_mul_f32_e32 v3, v1, v7
	v_mul_f32_e32 v2, v1, v9
	;; [unrolled: 1-line block ×3, first 2 shown]
	v_add_co_u32 v5, vcc_lo, s48, v5
	v_add_co_ci_u32_e64 v6, null, s49, v6, vcc_lo
	global_store_dwordx4 v[5:6], v[1:4], off
	s_or_b32 exec_lo, exec_lo, s1
	s_and_b32 exec_lo, exec_lo, s2
	s_cbranch_execz .LBB0_40
.LBB0_89:
	v_ashrrev_i32_e32 v1, 31, v0
	v_mov_b32_e32 v23, v8
	v_lshlrev_b64 v[0:1], 3, v[0:1]
	v_add_co_u32 v0, vcc_lo, s50, v0
	v_add_co_ci_u32_e64 v1, null, s51, v1, vcc_lo
	global_store_dwordx2 v[0:1], v[23:24], off
	s_endpgm
	.section	.rodata,"a",@progbits
	.p2align	6, 0x0
	.amdhsa_kernel _ZL15flash_attn_tileILi112ELi112ELi8ELi8ELb0EEvPKcS1_S1_S1_S1_PKiPfP15HIP_vector_typeIfLj2EEffffjfiS5_IjLj3EEiiiiiiiiiiiliiliiiiil
		.amdhsa_group_segment_fixed_size 22592
		.amdhsa_private_segment_fixed_size 0
		.amdhsa_kernarg_size 464
		.amdhsa_user_sgpr_count 6
		.amdhsa_user_sgpr_private_segment_buffer 1
		.amdhsa_user_sgpr_dispatch_ptr 0
		.amdhsa_user_sgpr_queue_ptr 0
		.amdhsa_user_sgpr_kernarg_segment_ptr 1
		.amdhsa_user_sgpr_dispatch_id 0
		.amdhsa_user_sgpr_flat_scratch_init 0
		.amdhsa_user_sgpr_private_segment_size 0
		.amdhsa_wavefront_size32 1
		.amdhsa_uses_dynamic_stack 0
		.amdhsa_system_sgpr_private_segment_wavefront_offset 0
		.amdhsa_system_sgpr_workgroup_id_x 1
		.amdhsa_system_sgpr_workgroup_id_y 1
		.amdhsa_system_sgpr_workgroup_id_z 1
		.amdhsa_system_sgpr_workgroup_info 0
		.amdhsa_system_vgpr_workitem_id 1
		.amdhsa_next_free_vgpr 255
		.amdhsa_next_free_sgpr 52
		.amdhsa_reserve_vcc 1
		.amdhsa_reserve_flat_scratch 0
		.amdhsa_float_round_mode_32 0
		.amdhsa_float_round_mode_16_64 0
		.amdhsa_float_denorm_mode_32 3
		.amdhsa_float_denorm_mode_16_64 3
		.amdhsa_dx10_clamp 1
		.amdhsa_ieee_mode 1
		.amdhsa_fp16_overflow 0
		.amdhsa_workgroup_processor_mode 1
		.amdhsa_memory_ordered 1
		.amdhsa_forward_progress 1
		.amdhsa_shared_vgpr_count 0
		.amdhsa_exception_fp_ieee_invalid_op 0
		.amdhsa_exception_fp_denorm_src 0
		.amdhsa_exception_fp_ieee_div_zero 0
		.amdhsa_exception_fp_ieee_overflow 0
		.amdhsa_exception_fp_ieee_underflow 0
		.amdhsa_exception_fp_ieee_inexact 0
		.amdhsa_exception_int_div_zero 0
	.end_amdhsa_kernel
	.section	.text._ZL15flash_attn_tileILi112ELi112ELi8ELi8ELb0EEvPKcS1_S1_S1_S1_PKiPfP15HIP_vector_typeIfLj2EEffffjfiS5_IjLj3EEiiiiiiiiiiiliiliiiiil,"axG",@progbits,_ZL15flash_attn_tileILi112ELi112ELi8ELi8ELb0EEvPKcS1_S1_S1_S1_PKiPfP15HIP_vector_typeIfLj2EEffffjfiS5_IjLj3EEiiiiiiiiiiiliiliiiiil,comdat
.Lfunc_end0:
	.size	_ZL15flash_attn_tileILi112ELi112ELi8ELi8ELb0EEvPKcS1_S1_S1_S1_PKiPfP15HIP_vector_typeIfLj2EEffffjfiS5_IjLj3EEiiiiiiiiiiiliiliiiiil, .Lfunc_end0-_ZL15flash_attn_tileILi112ELi112ELi8ELi8ELb0EEvPKcS1_S1_S1_S1_PKiPfP15HIP_vector_typeIfLj2EEffffjfiS5_IjLj3EEiiiiiiiiiiiliiliiiiil
                                        ; -- End function
	.set _ZL15flash_attn_tileILi112ELi112ELi8ELi8ELb0EEvPKcS1_S1_S1_S1_PKiPfP15HIP_vector_typeIfLj2EEffffjfiS5_IjLj3EEiiiiiiiiiiiliiliiiiil.num_vgpr, 255
	.set _ZL15flash_attn_tileILi112ELi112ELi8ELi8ELb0EEvPKcS1_S1_S1_S1_PKiPfP15HIP_vector_typeIfLj2EEffffjfiS5_IjLj3EEiiiiiiiiiiiliiliiiiil.num_agpr, 0
	.set _ZL15flash_attn_tileILi112ELi112ELi8ELi8ELb0EEvPKcS1_S1_S1_S1_PKiPfP15HIP_vector_typeIfLj2EEffffjfiS5_IjLj3EEiiiiiiiiiiiliiliiiiil.numbered_sgpr, 52
	.set _ZL15flash_attn_tileILi112ELi112ELi8ELi8ELb0EEvPKcS1_S1_S1_S1_PKiPfP15HIP_vector_typeIfLj2EEffffjfiS5_IjLj3EEiiiiiiiiiiiliiliiiiil.num_named_barrier, 0
	.set _ZL15flash_attn_tileILi112ELi112ELi8ELi8ELb0EEvPKcS1_S1_S1_S1_PKiPfP15HIP_vector_typeIfLj2EEffffjfiS5_IjLj3EEiiiiiiiiiiiliiliiiiil.private_seg_size, 0
	.set _ZL15flash_attn_tileILi112ELi112ELi8ELi8ELb0EEvPKcS1_S1_S1_S1_PKiPfP15HIP_vector_typeIfLj2EEffffjfiS5_IjLj3EEiiiiiiiiiiiliiliiiiil.uses_vcc, 1
	.set _ZL15flash_attn_tileILi112ELi112ELi8ELi8ELb0EEvPKcS1_S1_S1_S1_PKiPfP15HIP_vector_typeIfLj2EEffffjfiS5_IjLj3EEiiiiiiiiiiiliiliiiiil.uses_flat_scratch, 0
	.set _ZL15flash_attn_tileILi112ELi112ELi8ELi8ELb0EEvPKcS1_S1_S1_S1_PKiPfP15HIP_vector_typeIfLj2EEffffjfiS5_IjLj3EEiiiiiiiiiiiliiliiiiil.has_dyn_sized_stack, 0
	.set _ZL15flash_attn_tileILi112ELi112ELi8ELi8ELb0EEvPKcS1_S1_S1_S1_PKiPfP15HIP_vector_typeIfLj2EEffffjfiS5_IjLj3EEiiiiiiiiiiiliiliiiiil.has_recursion, 0
	.set _ZL15flash_attn_tileILi112ELi112ELi8ELi8ELb0EEvPKcS1_S1_S1_S1_PKiPfP15HIP_vector_typeIfLj2EEffffjfiS5_IjLj3EEiiiiiiiiiiiliiliiiiil.has_indirect_call, 0
	.section	.AMDGPU.csdata,"",@progbits
; Kernel info:
; codeLenInByte = 28916
; TotalNumSgprs: 54
; NumVgprs: 255
; ScratchSize: 0
; MemoryBound: 0
; FloatMode: 240
; IeeeMode: 1
; LDSByteSize: 22592 bytes/workgroup (compile time only)
; SGPRBlocks: 0
; VGPRBlocks: 31
; NumSGPRsForWavesPerEU: 54
; NumVGPRsForWavesPerEU: 255
; Occupancy: 4
; WaveLimiterHint : 1
; COMPUTE_PGM_RSRC2:SCRATCH_EN: 0
; COMPUTE_PGM_RSRC2:USER_SGPR: 6
; COMPUTE_PGM_RSRC2:TRAP_HANDLER: 0
; COMPUTE_PGM_RSRC2:TGID_X_EN: 1
; COMPUTE_PGM_RSRC2:TGID_Y_EN: 1
; COMPUTE_PGM_RSRC2:TGID_Z_EN: 1
; COMPUTE_PGM_RSRC2:TIDIG_COMP_CNT: 1
	.section	.text._ZL25flash_attn_mask_to_KV_maxILi8EEvPK7__half2Piiii,"axG",@progbits,_ZL25flash_attn_mask_to_KV_maxILi8EEvPK7__half2Piiii,comdat
	.globl	_ZL25flash_attn_mask_to_KV_maxILi8EEvPK7__half2Piiii ; -- Begin function _ZL25flash_attn_mask_to_KV_maxILi8EEvPK7__half2Piiii
	.p2align	8
	.type	_ZL25flash_attn_mask_to_KV_maxILi8EEvPK7__half2Piiii,@function
_ZL25flash_attn_mask_to_KV_maxILi8EEvPK7__half2Piiii: ; @_ZL25flash_attn_mask_to_KV_maxILi8EEvPK7__half2Piiii
; %bb.0:
	s_load_dwordx4 s[8:11], s[4:5], 0x0
	s_mov_b32 s0, exec_lo
	v_cmpx_gt_u32_e32 32, v0
; %bb.1:
	v_lshlrev_b32_e32 v1, 2, v0
	v_mov_b32_e32 v2, 1
	ds_write_b32 v1, v2
; %bb.2:
	s_or_b32 exec_lo, exec_lo, s0
	s_clause 0x1
	s_load_dwordx4 s[12:15], s[4:5], 0x10
	s_load_dword s1, s[4:5], 0x20
	v_and_b32_e32 v1, 31, v0
	v_lshrrev_b32_e32 v5, 3, v0
	v_mov_b32_e32 v2, 0
	v_mov_b32_e32 v6, 0x204
	s_waitcnt lgkmcnt(0)
	v_lshlrev_b32_e32 v7, 2, v1
	s_barrier
	buffer_gl0_inv
	s_mul_i32 s0, s6, s13
	s_mul_i32 s2, s14, s7
	s_lshl_b32 s0, s0, 3
	s_add_i32 s2, s2, s0
	v_cmp_eq_u32_e64 s0, 0, v1
	s_ashr_i32 s3, s2, 31
	s_lshl_b64 s[4:5], s[2:3], 2
	s_add_u32 s3, s8, s4
	s_addc_u32 s4, s9, s5
	s_lshl_b32 s5, s12, 8
	s_branch .LBB1_4
.LBB1_3:                                ;   in Loop: Header=BB1_4 Depth=1
	s_or_b32 exec_lo, exec_lo, s8
	s_waitcnt lgkmcnt(0)
	s_barrier
	buffer_gl0_inv
	ds_read_b32 v1, v7
	s_waitcnt lgkmcnt(0)
	s_barrier
	buffer_gl0_inv
	v_cmp_ne_u32_e32 vcc_lo, 0, v1
	s_cmp_lg_u32 vcc_lo, exec_lo
	s_cselect_b32 s8, -1, 0
	s_and_b32 vcc_lo, exec_lo, s8
	s_cbranch_vccnz .LBB1_36
.LBB1_4:                                ; =>This Inner Loop Header: Depth=1
	s_mov_b32 s2, s5
	s_addk_i32 s5, 0xff00
	s_cmp_lt_i32 s5, 0
	s_cbranch_scc1 .LBB1_35
; %bb.5:                                ;   in Loop: Header=BB1_4 Depth=1
	s_lshr_b32 s8, s5, 1
	v_add_nc_u32_e32 v1, s8, v0
	v_lshlrev_b64 v[3:4], 2, v[1:2]
	v_add_co_u32 v3, vcc_lo, s3, v3
	v_add_co_ci_u32_e64 v4, null, s4, v4, vcc_lo
	global_load_dword v3, v[3:4], off
	s_waitcnt vmcnt(0)
	v_cmp_class_f16_e64 s8, v3, 0x204
	v_cmp_class_f16_sdwa s9, v3, v6 src0_sel:WORD_1 src1_sel:DWORD
	s_and_b32 s12, s8, s9
	s_mov_b32 s9, 0
	s_and_saveexec_b32 s8, s12
	s_cbranch_execz .LBB1_33
; %bb.6:                                ;   in Loop: Header=BB1_4 Depth=1
	v_add_nc_u32_e32 v3, s13, v1
	s_mov_b32 s12, 0
	v_ashrrev_i32_e32 v4, 31, v3
	v_lshlrev_b64 v[8:9], 2, v[3:4]
	v_add_co_u32 v8, vcc_lo, s3, v8
	v_add_co_ci_u32_e64 v9, null, s4, v9, vcc_lo
	global_load_dword v1, v[8:9], off
	s_waitcnt vmcnt(0)
	v_cmp_class_f16_e64 s14, v1, 0x204
	s_and_saveexec_b32 s9, s14
	s_cbranch_execz .LBB1_32
; %bb.7:                                ;   in Loop: Header=BB1_4 Depth=1
	v_cmp_class_f16_sdwa s15, v1, v6 src0_sel:WORD_1 src1_sel:DWORD
	s_mov_b32 s14, 0
	s_and_saveexec_b32 s12, s15
	s_cbranch_execz .LBB1_31
; %bb.8:                                ;   in Loop: Header=BB1_4 Depth=1
	v_add_nc_u32_e32 v3, s13, v3
	s_mov_b32 s15, 0
	v_ashrrev_i32_e32 v4, 31, v3
	v_lshlrev_b64 v[8:9], 2, v[3:4]
	v_add_co_u32 v8, vcc_lo, s3, v8
	v_add_co_ci_u32_e64 v9, null, s4, v9, vcc_lo
	global_load_dword v1, v[8:9], off
	s_waitcnt vmcnt(0)
	v_cmp_class_f16_e64 s16, v1, 0x204
	s_and_saveexec_b32 s14, s16
	s_cbranch_execz .LBB1_30
; %bb.9:                                ;   in Loop: Header=BB1_4 Depth=1
	v_cmp_class_f16_sdwa s17, v1, v6 src0_sel:WORD_1 src1_sel:DWORD
	s_mov_b32 s16, 0
	s_and_saveexec_b32 s15, s17
	s_cbranch_execz .LBB1_29
; %bb.10:                               ;   in Loop: Header=BB1_4 Depth=1
	v_add_nc_u32_e32 v3, s13, v3
	s_mov_b32 s17, 0
	v_ashrrev_i32_e32 v4, 31, v3
	v_lshlrev_b64 v[8:9], 2, v[3:4]
	v_add_co_u32 v8, vcc_lo, s3, v8
	v_add_co_ci_u32_e64 v9, null, s4, v9, vcc_lo
	global_load_dword v1, v[8:9], off
	s_waitcnt vmcnt(0)
	v_cmp_class_f16_e64 s18, v1, 0x204
	s_and_saveexec_b32 s16, s18
	s_cbranch_execz .LBB1_28
; %bb.11:                               ;   in Loop: Header=BB1_4 Depth=1
	v_cmp_class_f16_sdwa s19, v1, v6 src0_sel:WORD_1 src1_sel:DWORD
	s_mov_b32 s18, 0
	s_and_saveexec_b32 s17, s19
	s_cbranch_execz .LBB1_27
; %bb.12:                               ;   in Loop: Header=BB1_4 Depth=1
	v_add_nc_u32_e32 v3, s13, v3
	s_mov_b32 s19, 0
	v_ashrrev_i32_e32 v4, 31, v3
	v_lshlrev_b64 v[8:9], 2, v[3:4]
	v_add_co_u32 v8, vcc_lo, s3, v8
	v_add_co_ci_u32_e64 v9, null, s4, v9, vcc_lo
	global_load_dword v1, v[8:9], off
	s_waitcnt vmcnt(0)
	v_cmp_class_f16_e64 s20, v1, 0x204
	s_and_saveexec_b32 s18, s20
	s_cbranch_execz .LBB1_26
; %bb.13:                               ;   in Loop: Header=BB1_4 Depth=1
	;; [unrolled: 17-line block ×4, first 2 shown]
	v_cmp_class_f16_sdwa s25, v1, v6 src0_sel:WORD_1 src1_sel:DWORD
	s_mov_b32 s24, 0
	s_and_saveexec_b32 s23, s25
	s_cbranch_execz .LBB1_21
; %bb.18:                               ;   in Loop: Header=BB1_4 Depth=1
	v_add_nc_u32_e32 v3, s13, v3
	v_ashrrev_i32_e32 v4, 31, v3
	v_lshlrev_b64 v[3:4], 2, v[3:4]
	v_add_co_u32 v3, vcc_lo, s3, v3
	v_add_co_ci_u32_e64 v4, null, s4, v4, vcc_lo
	global_load_dword v1, v[3:4], off
	s_waitcnt vmcnt(0)
	v_cmp_class_f16_e64 s26, v1, 0x204
	s_and_saveexec_b32 s25, s26
; %bb.19:                               ;   in Loop: Header=BB1_4 Depth=1
	v_cmp_class_f16_sdwa s24, v1, v6 src0_sel:WORD_1 src1_sel:DWORD
	s_and_b32 s24, s24, exec_lo
; %bb.20:                               ;   in Loop: Header=BB1_4 Depth=1
	s_or_b32 exec_lo, exec_lo, s25
	s_and_b32 s24, s24, exec_lo
.LBB1_21:                               ;   in Loop: Header=BB1_4 Depth=1
	s_or_b32 exec_lo, exec_lo, s23
	s_and_b32 s23, s24, exec_lo
.LBB1_22:                               ;   in Loop: Header=BB1_4 Depth=1
	s_or_b32 exec_lo, exec_lo, s22
	s_and_b32 s22, s23, exec_lo
.LBB1_23:                               ;   in Loop: Header=BB1_4 Depth=1
	s_or_b32 exec_lo, exec_lo, s21
	s_and_b32 s21, s22, exec_lo
.LBB1_24:                               ;   in Loop: Header=BB1_4 Depth=1
	s_or_b32 exec_lo, exec_lo, s20
	s_and_b32 s20, s21, exec_lo
.LBB1_25:                               ;   in Loop: Header=BB1_4 Depth=1
	s_or_b32 exec_lo, exec_lo, s19
	s_and_b32 s19, s20, exec_lo
.LBB1_26:                               ;   in Loop: Header=BB1_4 Depth=1
	s_or_b32 exec_lo, exec_lo, s18
	s_and_b32 s18, s19, exec_lo
.LBB1_27:                               ;   in Loop: Header=BB1_4 Depth=1
	s_or_b32 exec_lo, exec_lo, s17
	s_and_b32 s17, s18, exec_lo
.LBB1_28:                               ;   in Loop: Header=BB1_4 Depth=1
	s_or_b32 exec_lo, exec_lo, s16
	s_and_b32 s16, s17, exec_lo
.LBB1_29:                               ;   in Loop: Header=BB1_4 Depth=1
	s_or_b32 exec_lo, exec_lo, s15
	s_and_b32 s15, s16, exec_lo
.LBB1_30:                               ;   in Loop: Header=BB1_4 Depth=1
	s_or_b32 exec_lo, exec_lo, s14
	s_and_b32 s14, s15, exec_lo
.LBB1_31:                               ;   in Loop: Header=BB1_4 Depth=1
	s_or_b32 exec_lo, exec_lo, s12
	s_and_b32 s12, s14, exec_lo
.LBB1_32:                               ;   in Loop: Header=BB1_4 Depth=1
	s_or_b32 exec_lo, exec_lo, s9
	s_and_b32 s9, s12, exec_lo
.LBB1_33:                               ;   in Loop: Header=BB1_4 Depth=1
	s_or_b32 exec_lo, exec_lo, s8
	v_cndmask_b32_e64 v1, 0, 1, s9
	s_mov_b32 s12, exec_lo
	v_cmp_ne_u32_e32 vcc_lo, 0, v1
	s_and_saveexec_b32 s8, s0
	s_cbranch_execz .LBB1_3
; %bb.34:                               ;   in Loop: Header=BB1_4 Depth=1
	s_cmp_eq_u32 vcc_lo, s12
	s_cselect_b32 s9, -1, 0
	v_cndmask_b32_e64 v1, 0, 1, s9
	ds_write_b32 v5, v1
	s_branch .LBB1_3
.LBB1_35:                               ;   in Loop: Header=BB1_4 Depth=1
	s_cbranch_execz .LBB1_4
.LBB1_36:
	s_mov_b32 s0, exec_lo
	v_cmpx_eq_u32_e32 0, v0
	s_cbranch_execz .LBB1_38
; %bb.37:
	s_mul_i32 s0, s1, s7
	v_mov_b32_e32 v0, 0
	s_add_i32 s0, s0, s6
	v_mov_b32_e32 v1, s2
	s_ashr_i32 s1, s0, 31
	s_lshl_b64 s[0:1], s[0:1], 2
	s_add_u32 s0, s10, s0
	s_addc_u32 s1, s11, s1
	global_store_dword v0, v1, s[0:1]
.LBB1_38:
	s_endpgm
	.section	.rodata,"a",@progbits
	.p2align	6, 0x0
	.amdhsa_kernel _ZL25flash_attn_mask_to_KV_maxILi8EEvPK7__half2Piiii
		.amdhsa_group_segment_fixed_size 128
		.amdhsa_private_segment_fixed_size 0
		.amdhsa_kernarg_size 288
		.amdhsa_user_sgpr_count 6
		.amdhsa_user_sgpr_private_segment_buffer 1
		.amdhsa_user_sgpr_dispatch_ptr 0
		.amdhsa_user_sgpr_queue_ptr 0
		.amdhsa_user_sgpr_kernarg_segment_ptr 1
		.amdhsa_user_sgpr_dispatch_id 0
		.amdhsa_user_sgpr_flat_scratch_init 0
		.amdhsa_user_sgpr_private_segment_size 0
		.amdhsa_wavefront_size32 1
		.amdhsa_uses_dynamic_stack 0
		.amdhsa_system_sgpr_private_segment_wavefront_offset 0
		.amdhsa_system_sgpr_workgroup_id_x 1
		.amdhsa_system_sgpr_workgroup_id_y 1
		.amdhsa_system_sgpr_workgroup_id_z 0
		.amdhsa_system_sgpr_workgroup_info 0
		.amdhsa_system_vgpr_workitem_id 0
		.amdhsa_next_free_vgpr 10
		.amdhsa_next_free_sgpr 27
		.amdhsa_reserve_vcc 1
		.amdhsa_reserve_flat_scratch 0
		.amdhsa_float_round_mode_32 0
		.amdhsa_float_round_mode_16_64 0
		.amdhsa_float_denorm_mode_32 3
		.amdhsa_float_denorm_mode_16_64 3
		.amdhsa_dx10_clamp 1
		.amdhsa_ieee_mode 1
		.amdhsa_fp16_overflow 0
		.amdhsa_workgroup_processor_mode 1
		.amdhsa_memory_ordered 1
		.amdhsa_forward_progress 1
		.amdhsa_shared_vgpr_count 0
		.amdhsa_exception_fp_ieee_invalid_op 0
		.amdhsa_exception_fp_denorm_src 0
		.amdhsa_exception_fp_ieee_div_zero 0
		.amdhsa_exception_fp_ieee_overflow 0
		.amdhsa_exception_fp_ieee_underflow 0
		.amdhsa_exception_fp_ieee_inexact 0
		.amdhsa_exception_int_div_zero 0
	.end_amdhsa_kernel
	.section	.text._ZL25flash_attn_mask_to_KV_maxILi8EEvPK7__half2Piiii,"axG",@progbits,_ZL25flash_attn_mask_to_KV_maxILi8EEvPK7__half2Piiii,comdat
.Lfunc_end1:
	.size	_ZL25flash_attn_mask_to_KV_maxILi8EEvPK7__half2Piiii, .Lfunc_end1-_ZL25flash_attn_mask_to_KV_maxILi8EEvPK7__half2Piiii
                                        ; -- End function
	.set _ZL25flash_attn_mask_to_KV_maxILi8EEvPK7__half2Piiii.num_vgpr, 10
	.set _ZL25flash_attn_mask_to_KV_maxILi8EEvPK7__half2Piiii.num_agpr, 0
	.set _ZL25flash_attn_mask_to_KV_maxILi8EEvPK7__half2Piiii.numbered_sgpr, 27
	.set _ZL25flash_attn_mask_to_KV_maxILi8EEvPK7__half2Piiii.num_named_barrier, 0
	.set _ZL25flash_attn_mask_to_KV_maxILi8EEvPK7__half2Piiii.private_seg_size, 0
	.set _ZL25flash_attn_mask_to_KV_maxILi8EEvPK7__half2Piiii.uses_vcc, 1
	.set _ZL25flash_attn_mask_to_KV_maxILi8EEvPK7__half2Piiii.uses_flat_scratch, 0
	.set _ZL25flash_attn_mask_to_KV_maxILi8EEvPK7__half2Piiii.has_dyn_sized_stack, 0
	.set _ZL25flash_attn_mask_to_KV_maxILi8EEvPK7__half2Piiii.has_recursion, 0
	.set _ZL25flash_attn_mask_to_KV_maxILi8EEvPK7__half2Piiii.has_indirect_call, 0
	.section	.AMDGPU.csdata,"",@progbits
; Kernel info:
; codeLenInByte = 1124
; TotalNumSgprs: 29
; NumVgprs: 10
; ScratchSize: 0
; MemoryBound: 0
; FloatMode: 240
; IeeeMode: 1
; LDSByteSize: 128 bytes/workgroup (compile time only)
; SGPRBlocks: 0
; VGPRBlocks: 1
; NumSGPRsForWavesPerEU: 29
; NumVGPRsForWavesPerEU: 10
; Occupancy: 16
; WaveLimiterHint : 0
; COMPUTE_PGM_RSRC2:SCRATCH_EN: 0
; COMPUTE_PGM_RSRC2:USER_SGPR: 6
; COMPUTE_PGM_RSRC2:TRAP_HANDLER: 0
; COMPUTE_PGM_RSRC2:TGID_X_EN: 1
; COMPUTE_PGM_RSRC2:TGID_Y_EN: 1
; COMPUTE_PGM_RSRC2:TGID_Z_EN: 0
; COMPUTE_PGM_RSRC2:TIDIG_COMP_CNT: 0
	.section	.text._ZL33flash_attn_stream_k_fixup_uniformILi112ELi8ELi8EEvPfPK15HIP_vector_typeIfLj2EEiiiiiiS1_IjLj3EES5_S5_,"axG",@progbits,_ZL33flash_attn_stream_k_fixup_uniformILi112ELi8ELi8EEvPfPK15HIP_vector_typeIfLj2EEiiiiiiS1_IjLj3EES5_S5_,comdat
	.globl	_ZL33flash_attn_stream_k_fixup_uniformILi112ELi8ELi8EEvPfPK15HIP_vector_typeIfLj2EEiiiiiiS1_IjLj3EES5_S5_ ; -- Begin function _ZL33flash_attn_stream_k_fixup_uniformILi112ELi8ELi8EEvPfPK15HIP_vector_typeIfLj2EEiiiiiiS1_IjLj3EES5_S5_
	.p2align	8
	.type	_ZL33flash_attn_stream_k_fixup_uniformILi112ELi8ELi8EEvPfPK15HIP_vector_typeIfLj2EEiiiiiiS1_IjLj3EES5_S5_,@function
_ZL33flash_attn_stream_k_fixup_uniformILi112ELi8ELi8EEvPfPK15HIP_vector_typeIfLj2EEiiiiiiS1_IjLj3EES5_S5_: ; @_ZL33flash_attn_stream_k_fixup_uniformILi112ELi8ELi8EEvPfPK15HIP_vector_typeIfLj2EEiiiiiiS1_IjLj3EES5_S5_
; %bb.0:
	s_clause 0x2
	s_load_dwordx8 s[12:19], s[4:5], 0x1c
	s_load_dwordx4 s[20:23], s[4:5], 0x3c
	s_load_dwordx2 s[10:11], s[4:5], 0x10
	s_waitcnt lgkmcnt(0)
	s_mul_hi_u32 s0, s15, s6
	s_add_i32 s0, s6, s0
	s_lshr_b32 s0, s0, s16
	s_mul_i32 s1, s0, s17
	s_sub_i32 s1, s6, s1
	s_mul_hi_u32 s2, s1, s18
	s_add_i32 s2, s1, s2
	s_lshr_b32 s9, s2, s19
	s_mul_i32 s2, s9, s20
	s_sub_i32 s1, s1, s2
	s_mul_hi_u32 s2, s1, s21
	s_add_i32 s2, s1, s2
	s_lshr_b32 s2, s2, s22
	s_mul_i32 s3, s2, s23
	s_lshl_b32 s16, s2, 3
	s_sub_i32 s15, s1, s3
	s_lshl_b32 s1, s15, 3
	s_add_i32 s1, s1, s7
	s_cmp_lt_i32 s1, s10
	s_cselect_b32 s1, -1, 0
	s_add_i32 s16, s16, s8
	s_cmp_lt_i32 s16, s13
	s_cselect_b32 s2, -1, 0
	s_and_b32 s1, s1, s2
	s_andn2_b32 vcc_lo, exec_lo, s1
	s_cbranch_vccnz .LBB2_6
; %bb.1:
	s_mul_i32 s10, s0, s10
	s_load_dwordx4 s[0:3], s[4:5], 0x0
	s_add_i32 s4, s10, s7
	s_mul_i32 s9, s9, s13
	s_mul_i32 s4, s4, s11
	s_add_i32 s5, s16, s9
	s_mul_i32 s9, s11, s15
	s_add_i32 s4, s5, s4
	s_mulk_i32 s9, 0x380
	s_mulk_i32 s4, 0x70
	s_lshl_b32 s10, s7, 3
	v_add3_u32 v1, s4, s9, v0
	s_mul_i32 s4, s14, s6
	s_add_i32 s11, s4, s14
	v_ashrrev_i32_e32 v2, 31, v1
	v_lshlrev_b64 v[1:2], 2, v[1:2]
	s_waitcnt lgkmcnt(0)
	v_add_co_u32 v1, vcc_lo, s0, v1
	v_add_co_ci_u32_e64 v2, null, s1, v2, vcc_lo
	s_add_i32 s0, s10, s8
	s_lshl_b32 s1, s11, 6
	global_load_dword v5, v[1:2], off
	s_add_i32 s0, s0, s1
	s_sub_i32 s0, s0, 64
	s_ashr_i32 s1, s0, 31
	s_lshl_b64 s[0:1], s[0:1], 3
	s_add_u32 s0, s2, s0
	s_addc_u32 s1, s3, s1
	s_add_i32 s5, s11, -2
	s_load_dword s13, s[0:1], 0x4
	s_cmp_lt_i32 s5, s4
	s_cbranch_scc1 .LBB2_4
; %bb.2:
	s_load_dword s15, s[0:1], 0x0
	s_lshl_b32 s16, s12, 8
	s_mulk_i32 s7, 0x380
	s_ashr_i32 s17, s16, 31
	s_waitcnt lgkmcnt(0)
	v_mov_b32_e32 v6, s13
	s_lshl_b64 s[0:1], s[16:17], 2
	s_add_u32 s5, s2, s0
	s_addc_u32 s9, s3, s1
	s_add_i32 s6, s6, 1
	s_mul_i32 s0, s14, s6
	s_mul_i32 s6, s8, 0x70
	s_lshl_b32 s1, s0, 6
	s_mulk_i32 s0, 0x1c00
	s_add_i32 s6, s6, s7
	s_add_i32 s1, s8, s1
	s_lshl_b32 s7, s12, 6
	s_add_i32 s6, s6, s0
	s_add_i32 s0, s1, s7
	v_add3_u32 v3, s6, v0, 0xffffc800
	v_mov_b32_e32 v0, s15
	s_add_i32 s0, s0, s10
	s_add_i32 s6, s11, -1
	s_addk_i32 s0, 0xff80
.LBB2_3:                                ; =>This Inner Loop Header: Depth=1
	v_ashrrev_i32_e32 v4, 31, v3
	s_ashr_i32 s1, s0, 31
	s_lshl_b64 s[10:11], s[0:1], 3
	s_add_u32 s10, s2, s10
	v_lshlrev_b64 v[7:8], 2, v[3:4]
	s_addc_u32 s11, s3, s11
	v_add_nc_u32_e32 v3, 0xffffe400, v3
	s_add_i32 s6, s6, -1
	s_sub_i32 s0, s0, 64
	s_cmp_le_i32 s6, s4
	v_add_co_u32 v7, vcc_lo, s5, v7
	v_add_co_ci_u32_e64 v8, null, s9, v8, vcc_lo
	s_load_dwordx2 s[10:11], s[10:11], 0x0
	global_load_dword v4, v[7:8], off
	v_max_f32_e32 v7, v0, v0
	s_waitcnt lgkmcnt(0)
	v_max_f32_e64 v8, s10, s10
	v_max_f32_e32 v7, v7, v8
	v_sub_f32_e32 v8, s10, v7
	v_sub_f32_e32 v0, v0, v7
	v_mul_f32_e32 v9, 0x3fb8aa3b, v8
	v_mul_f32_e32 v12, 0x3fb8aa3b, v0
	v_cmp_ngt_f32_e32 vcc_lo, 0xc2ce8ed0, v8
	v_fma_f32 v10, 0x3fb8aa3b, v8, -v9
	v_rndne_f32_e32 v11, v9
	v_fma_f32 v13, 0x3fb8aa3b, v0, -v12
	v_rndne_f32_e32 v14, v12
	v_fmac_f32_e32 v10, 0x32a5705f, v8
	v_sub_f32_e32 v9, v9, v11
	v_fmac_f32_e32 v13, 0x32a5705f, v0
	v_cvt_i32_f32_e32 v11, v11
	v_add_f32_e32 v9, v9, v10
	v_sub_f32_e32 v10, v12, v14
	v_exp_f32_e32 v9, v9
	v_add_f32_e32 v10, v10, v13
	v_exp_f32_e32 v10, v10
	v_ldexp_f32 v9, v9, v11
	v_cvt_i32_f32_e32 v11, v14
	v_cndmask_b32_e32 v9, 0, v9, vcc_lo
	v_cmp_nlt_f32_e32 vcc_lo, 0x42b17218, v8
	v_ldexp_f32 v10, v10, v11
	v_mov_b32_e32 v11, v6
	v_cndmask_b32_e32 v9, 0x7f800000, v9, vcc_lo
	v_cmp_ngt_f32_e32 vcc_lo, 0xc2ce8ed0, v0
	v_cndmask_b32_e32 v10, 0, v10, vcc_lo
	v_cmp_le_f32_e32 vcc_lo, 0xc1a00000, v8
	v_cndmask_b32_e32 v8, 0, v9, vcc_lo
	v_cmp_nlt_f32_e32 vcc_lo, 0x42b17218, v0
	s_waitcnt vmcnt(1)
	v_mov_b32_e32 v9, v5
	v_cndmask_b32_e32 v5, 0x7f800000, v10, vcc_lo
	v_mul_f32_e32 v10, s11, v8
	v_cmp_le_f32_e32 vcc_lo, 0xc1a00000, v0
	v_mov_b32_e32 v0, v7
	v_mov_b32_e32 v6, v10
	v_cndmask_b32_e32 v12, 0, v5, vcc_lo
	v_fmac_f32_e32 v6, v11, v12
	s_waitcnt vmcnt(0)
	v_mul_f32_e32 v5, v4, v8
	v_fmac_f32_e32 v5, v9, v12
	s_cbranch_scc0 .LBB2_3
	s_branch .LBB2_5
.LBB2_4:
	s_waitcnt lgkmcnt(0)
	v_mov_b32_e32 v6, s13
.LBB2_5:
	s_waitcnt vmcnt(0)
	v_div_scale_f32 v0, null, v6, v6, v5
	v_rcp_f32_e32 v3, v0
	v_fma_f32 v4, -v0, v3, 1.0
	v_fmac_f32_e32 v3, v4, v3
	v_div_scale_f32 v4, vcc_lo, v5, v6, v5
	v_mul_f32_e32 v7, v4, v3
	v_fma_f32 v8, -v0, v7, v4
	v_fmac_f32_e32 v7, v8, v3
	v_fma_f32 v0, -v0, v7, v4
	v_div_fmas_f32 v0, v0, v3, v7
	v_div_fixup_f32 v0, v0, v6, v5
	global_store_dword v[1:2], v0, off
.LBB2_6:
	s_endpgm
	.section	.rodata,"a",@progbits
	.p2align	6, 0x0
	.amdhsa_kernel _ZL33flash_attn_stream_k_fixup_uniformILi112ELi8ELi8EEvPfPK15HIP_vector_typeIfLj2EEiiiiiiS1_IjLj3EES5_S5_
		.amdhsa_group_segment_fixed_size 0
		.amdhsa_private_segment_fixed_size 0
		.amdhsa_kernarg_size 76
		.amdhsa_user_sgpr_count 6
		.amdhsa_user_sgpr_private_segment_buffer 1
		.amdhsa_user_sgpr_dispatch_ptr 0
		.amdhsa_user_sgpr_queue_ptr 0
		.amdhsa_user_sgpr_kernarg_segment_ptr 1
		.amdhsa_user_sgpr_dispatch_id 0
		.amdhsa_user_sgpr_flat_scratch_init 0
		.amdhsa_user_sgpr_private_segment_size 0
		.amdhsa_wavefront_size32 1
		.amdhsa_uses_dynamic_stack 0
		.amdhsa_system_sgpr_private_segment_wavefront_offset 0
		.amdhsa_system_sgpr_workgroup_id_x 1
		.amdhsa_system_sgpr_workgroup_id_y 1
		.amdhsa_system_sgpr_workgroup_id_z 1
		.amdhsa_system_sgpr_workgroup_info 0
		.amdhsa_system_vgpr_workitem_id 0
		.amdhsa_next_free_vgpr 15
		.amdhsa_next_free_sgpr 24
		.amdhsa_reserve_vcc 1
		.amdhsa_reserve_flat_scratch 0
		.amdhsa_float_round_mode_32 0
		.amdhsa_float_round_mode_16_64 0
		.amdhsa_float_denorm_mode_32 3
		.amdhsa_float_denorm_mode_16_64 3
		.amdhsa_dx10_clamp 1
		.amdhsa_ieee_mode 1
		.amdhsa_fp16_overflow 0
		.amdhsa_workgroup_processor_mode 1
		.amdhsa_memory_ordered 1
		.amdhsa_forward_progress 1
		.amdhsa_shared_vgpr_count 0
		.amdhsa_exception_fp_ieee_invalid_op 0
		.amdhsa_exception_fp_denorm_src 0
		.amdhsa_exception_fp_ieee_div_zero 0
		.amdhsa_exception_fp_ieee_overflow 0
		.amdhsa_exception_fp_ieee_underflow 0
		.amdhsa_exception_fp_ieee_inexact 0
		.amdhsa_exception_int_div_zero 0
	.end_amdhsa_kernel
	.section	.text._ZL33flash_attn_stream_k_fixup_uniformILi112ELi8ELi8EEvPfPK15HIP_vector_typeIfLj2EEiiiiiiS1_IjLj3EES5_S5_,"axG",@progbits,_ZL33flash_attn_stream_k_fixup_uniformILi112ELi8ELi8EEvPfPK15HIP_vector_typeIfLj2EEiiiiiiS1_IjLj3EES5_S5_,comdat
.Lfunc_end2:
	.size	_ZL33flash_attn_stream_k_fixup_uniformILi112ELi8ELi8EEvPfPK15HIP_vector_typeIfLj2EEiiiiiiS1_IjLj3EES5_S5_, .Lfunc_end2-_ZL33flash_attn_stream_k_fixup_uniformILi112ELi8ELi8EEvPfPK15HIP_vector_typeIfLj2EEiiiiiiS1_IjLj3EES5_S5_
                                        ; -- End function
	.set _ZL33flash_attn_stream_k_fixup_uniformILi112ELi8ELi8EEvPfPK15HIP_vector_typeIfLj2EEiiiiiiS1_IjLj3EES5_S5_.num_vgpr, 15
	.set _ZL33flash_attn_stream_k_fixup_uniformILi112ELi8ELi8EEvPfPK15HIP_vector_typeIfLj2EEiiiiiiS1_IjLj3EES5_S5_.num_agpr, 0
	.set _ZL33flash_attn_stream_k_fixup_uniformILi112ELi8ELi8EEvPfPK15HIP_vector_typeIfLj2EEiiiiiiS1_IjLj3EES5_S5_.numbered_sgpr, 24
	.set _ZL33flash_attn_stream_k_fixup_uniformILi112ELi8ELi8EEvPfPK15HIP_vector_typeIfLj2EEiiiiiiS1_IjLj3EES5_S5_.num_named_barrier, 0
	.set _ZL33flash_attn_stream_k_fixup_uniformILi112ELi8ELi8EEvPfPK15HIP_vector_typeIfLj2EEiiiiiiS1_IjLj3EES5_S5_.private_seg_size, 0
	.set _ZL33flash_attn_stream_k_fixup_uniformILi112ELi8ELi8EEvPfPK15HIP_vector_typeIfLj2EEiiiiiiS1_IjLj3EES5_S5_.uses_vcc, 1
	.set _ZL33flash_attn_stream_k_fixup_uniformILi112ELi8ELi8EEvPfPK15HIP_vector_typeIfLj2EEiiiiiiS1_IjLj3EES5_S5_.uses_flat_scratch, 0
	.set _ZL33flash_attn_stream_k_fixup_uniformILi112ELi8ELi8EEvPfPK15HIP_vector_typeIfLj2EEiiiiiiS1_IjLj3EES5_S5_.has_dyn_sized_stack, 0
	.set _ZL33flash_attn_stream_k_fixup_uniformILi112ELi8ELi8EEvPfPK15HIP_vector_typeIfLj2EEiiiiiiS1_IjLj3EES5_S5_.has_recursion, 0
	.set _ZL33flash_attn_stream_k_fixup_uniformILi112ELi8ELi8EEvPfPK15HIP_vector_typeIfLj2EEiiiiiiS1_IjLj3EES5_S5_.has_indirect_call, 0
	.section	.AMDGPU.csdata,"",@progbits
; Kernel info:
; codeLenInByte = 848
; TotalNumSgprs: 26
; NumVgprs: 15
; ScratchSize: 0
; MemoryBound: 0
; FloatMode: 240
; IeeeMode: 1
; LDSByteSize: 0 bytes/workgroup (compile time only)
; SGPRBlocks: 0
; VGPRBlocks: 1
; NumSGPRsForWavesPerEU: 26
; NumVGPRsForWavesPerEU: 15
; Occupancy: 16
; WaveLimiterHint : 0
; COMPUTE_PGM_RSRC2:SCRATCH_EN: 0
; COMPUTE_PGM_RSRC2:USER_SGPR: 6
; COMPUTE_PGM_RSRC2:TRAP_HANDLER: 0
; COMPUTE_PGM_RSRC2:TGID_X_EN: 1
; COMPUTE_PGM_RSRC2:TGID_Y_EN: 1
; COMPUTE_PGM_RSRC2:TGID_Z_EN: 1
; COMPUTE_PGM_RSRC2:TIDIG_COMP_CNT: 0
	.section	.text._ZL33flash_attn_stream_k_fixup_generalILi112ELi8ELi8EEvPfPK15HIP_vector_typeIfLj2EEiiiiS1_IjLj3EES5_S5_S5_,"axG",@progbits,_ZL33flash_attn_stream_k_fixup_generalILi112ELi8ELi8EEvPfPK15HIP_vector_typeIfLj2EEiiiiS1_IjLj3EES5_S5_S5_,comdat
	.globl	_ZL33flash_attn_stream_k_fixup_generalILi112ELi8ELi8EEvPfPK15HIP_vector_typeIfLj2EEiiiiS1_IjLj3EES5_S5_S5_ ; -- Begin function _ZL33flash_attn_stream_k_fixup_generalILi112ELi8ELi8EEvPfPK15HIP_vector_typeIfLj2EEiiiiS1_IjLj3EES5_S5_S5_
	.p2align	8
	.type	_ZL33flash_attn_stream_k_fixup_generalILi112ELi8ELi8EEvPfPK15HIP_vector_typeIfLj2EEiiiiS1_IjLj3EES5_S5_S5_,@function
_ZL33flash_attn_stream_k_fixup_generalILi112ELi8ELi8EEvPfPK15HIP_vector_typeIfLj2EEiiiiS1_IjLj3EES5_S5_S5_: ; @_ZL33flash_attn_stream_k_fixup_generalILi112ELi8ELi8EEvPfPK15HIP_vector_typeIfLj2EEiiiiS1_IjLj3EES5_S5_S5_
; %bb.0:
	s_clause 0x1
	s_load_dwordx4 s[0:3], s[4:5], 0x10
	s_load_dword s9, s[4:5], 0x50
	s_mov_b32 s16, 0
	s_waitcnt lgkmcnt(0)
	s_mul_hi_i32 s17, s3, s6
	s_mul_i32 s18, s3, s6
	s_cmp_lg_u64 s[16:17], 0
	s_cbranch_scc0 .LBB3_21
; %bb.1:
	s_add_u32 s10, s9, 0
	s_addc_u32 s11, 0, 0
	s_xor_b64 s[10:11], s[10:11], 0
	v_cvt_f32_u32_e32 v1, s10
	v_cvt_f32_u32_e32 v2, s11
	s_sub_u32 s14, 0, s10
	s_subb_u32 s15, 0, s11
	v_fmamk_f32 v1, v2, 0x4f800000, v1
	v_rcp_f32_e32 v1, v1
	v_mul_f32_e32 v1, 0x5f7ffffc, v1
	v_mul_f32_e32 v2, 0x2f800000, v1
	v_trunc_f32_e32 v2, v2
	v_fmamk_f32 v1, v2, 0xcf800000, v1
	v_cvt_u32_f32_e32 v2, v2
	v_cvt_u32_f32_e32 v1, v1
	v_readfirstlane_b32 s12, v2
	v_readfirstlane_b32 s13, v1
	s_mul_i32 s19, s14, s12
	s_mul_hi_u32 s21, s14, s13
	s_mul_i32 s20, s15, s13
	s_add_i32 s19, s21, s19
	s_mul_i32 s22, s14, s13
	s_add_i32 s19, s19, s20
	s_mul_hi_u32 s21, s13, s22
	s_mul_i32 s24, s13, s19
	s_mul_hi_u32 s23, s12, s22
	s_mul_i32 s20, s12, s22
	s_mul_hi_u32 s22, s13, s19
	s_add_u32 s21, s21, s24
	s_addc_u32 s22, 0, s22
	s_mul_hi_u32 s25, s12, s19
	s_add_u32 s20, s21, s20
	s_mul_i32 s19, s12, s19
	s_addc_u32 s20, s22, s23
	s_addc_u32 s21, s25, 0
	s_add_u32 s19, s20, s19
	s_addc_u32 s20, 0, s21
	s_add_u32 s13, s13, s19
	s_cselect_b32 s19, -1, 0
	s_mul_hi_u32 s21, s14, s13
	s_cmp_lg_u32 s19, 0
	s_mul_i32 s19, s14, s13
	s_addc_u32 s12, s12, s20
	s_mul_i32 s15, s15, s13
	s_mul_i32 s14, s14, s12
	s_mul_hi_u32 s20, s13, s19
	s_add_i32 s14, s21, s14
	s_mul_hi_u32 s21, s12, s19
	s_add_i32 s14, s14, s15
	s_mul_i32 s15, s12, s19
	s_mul_i32 s23, s13, s14
	s_mul_hi_u32 s22, s13, s14
	s_add_u32 s20, s20, s23
	s_addc_u32 s22, 0, s22
	s_mul_hi_u32 s19, s12, s14
	s_add_u32 s15, s20, s15
	s_mul_i32 s14, s12, s14
	s_addc_u32 s15, s22, s21
	s_addc_u32 s19, s19, 0
	s_add_u32 s14, s15, s14
	s_addc_u32 s15, 0, s19
	s_add_u32 s19, s13, s14
	s_cselect_b32 s13, -1, 0
	s_cmp_lg_u32 s13, 0
	s_addc_u32 s20, s12, s15
	s_ashr_i32 s12, s17, 31
	s_add_u32 s14, s18, s12
	s_mov_b32 s13, s12
	s_addc_u32 s15, s17, s12
	s_xor_b64 s[14:15], s[14:15], s[12:13]
	s_mul_i32 s21, s14, s20
	s_mul_hi_u32 s22, s14, s19
	s_mul_hi_u32 s17, s14, s20
	;; [unrolled: 1-line block ×3, first 2 shown]
	s_mul_i32 s19, s15, s19
	s_add_u32 s21, s22, s21
	s_addc_u32 s17, 0, s17
	s_mul_hi_u32 s23, s15, s20
	s_add_u32 s19, s21, s19
	s_mul_i32 s20, s15, s20
	s_addc_u32 s17, s17, s24
	s_addc_u32 s19, s23, 0
	s_add_u32 s17, s17, s20
	s_addc_u32 s19, 0, s19
	s_mul_hi_u32 s20, s10, s17
	s_mul_i32 s21, s10, s19
	s_mul_i32 s22, s11, s17
	s_add_i32 s20, s20, s21
	s_mul_i32 s21, s10, s17
	s_add_i32 s20, s20, s22
	s_sub_i32 s22, s15, s20
	s_sub_u32 s14, s14, s21
	s_cselect_b32 s21, -1, 0
	s_cmp_lg_u32 s21, 0
	s_subb_u32 s22, s22, s11
	s_sub_u32 s23, s14, s10
	s_cselect_b32 s24, -1, 0
	s_cmp_lg_u32 s24, 0
	s_subb_u32 s22, s22, 0
	s_cmp_ge_u32 s22, s11
	s_cselect_b32 s24, -1, 0
	s_cmp_ge_u32 s23, s10
	s_cselect_b32 s23, -1, 0
	s_cmp_eq_u32 s22, s11
	s_cselect_b32 s22, s23, s24
	s_add_u32 s23, s17, 1
	s_addc_u32 s24, s19, 0
	s_add_u32 s25, s17, 2
	s_addc_u32 s26, s19, 0
	s_cmp_lg_u32 s22, 0
	s_cselect_b32 s22, s25, s23
	s_cselect_b32 s23, s26, s24
	s_cmp_lg_u32 s21, 0
	s_subb_u32 s15, s15, s20
	s_cmp_ge_u32 s15, s11
	s_cselect_b32 s20, -1, 0
	s_cmp_ge_u32 s14, s10
	s_cselect_b32 s10, -1, 0
	s_cmp_eq_u32 s15, s11
	s_cselect_b32 s10, s10, s20
	s_cmp_lg_u32 s10, 0
	s_cselect_b32 s11, s23, s19
	s_cselect_b32 s10, s22, s17
	s_xor_b64 s[12:13], s[12:13], 0
	s_xor_b64 s[10:11], s[10:11], s[12:13]
	s_sub_u32 s10, s10, s12
	s_load_dwordx4 s[12:15], s[4:5], 0x44
	s_andn2_b32 vcc_lo, exec_lo, s16
	s_cbranch_vccnz .LBB3_3
.LBB3_2:
	v_cvt_f32_u32_e32 v1, s9
	s_sub_i32 s11, 0, s9
	v_rcp_iflag_f32_e32 v1, v1
	v_mul_f32_e32 v1, 0x4f7ffffe, v1
	v_cvt_u32_f32_e32 v1, v1
	v_readfirstlane_b32 s10, v1
	s_mul_i32 s11, s11, s10
	s_mul_hi_u32 s11, s10, s11
	s_add_i32 s10, s10, s11
	s_mul_hi_u32 s10, s18, s10
	s_mul_i32 s11, s10, s9
	s_waitcnt lgkmcnt(0)
	s_add_i32 s15, s10, 1
	s_sub_i32 s11, s18, s11
	s_sub_i32 s16, s11, s9
	s_cmp_ge_u32 s11, s9
	s_cselect_b32 s10, s15, s10
	s_cselect_b32 s11, s16, s11
	s_add_i32 s15, s10, 1
	s_cmp_ge_u32 s11, s9
	s_cselect_b32 s10, s15, s10
.LBB3_3:
	s_add_i32 s11, s6, 1
	s_mov_b32 s16, 0
	s_mul_hi_i32 s17, s3, s11
	s_mul_i32 s11, s3, s11
	s_cmp_lg_u64 s[16:17], 0
	s_cbranch_scc0 .LBB3_22
; %bb.4:
	s_add_u32 s18, s9, 0
	s_addc_u32 s19, 0, 0
	s_xor_b64 s[18:19], s[18:19], 0
	v_cvt_f32_u32_e32 v1, s18
	v_cvt_f32_u32_e32 v2, s19
	s_sub_u32 s21, 0, s18
	s_subb_u32 s22, 0, s19
	v_fmamk_f32 v1, v2, 0x4f800000, v1
	v_rcp_f32_e32 v1, v1
	v_mul_f32_e32 v1, 0x5f7ffffc, v1
	v_mul_f32_e32 v2, 0x2f800000, v1
	v_trunc_f32_e32 v2, v2
	v_fmamk_f32 v1, v2, 0xcf800000, v1
	v_cvt_u32_f32_e32 v2, v2
	v_cvt_u32_f32_e32 v1, v1
	s_waitcnt lgkmcnt(0)
	v_readfirstlane_b32 s15, v2
	v_readfirstlane_b32 s20, v1
	s_mul_i32 s23, s21, s15
	s_mul_hi_u32 s25, s21, s20
	s_mul_i32 s24, s22, s20
	s_add_i32 s23, s25, s23
	s_mul_i32 s26, s21, s20
	s_add_i32 s23, s23, s24
	s_mul_hi_u32 s25, s20, s26
	s_mul_i32 s28, s20, s23
	s_mul_hi_u32 s27, s15, s26
	s_mul_i32 s24, s15, s26
	s_mul_hi_u32 s26, s20, s23
	s_add_u32 s25, s25, s28
	s_addc_u32 s26, 0, s26
	s_mul_hi_u32 s29, s15, s23
	s_add_u32 s24, s25, s24
	s_mul_i32 s23, s15, s23
	s_addc_u32 s24, s26, s27
	s_addc_u32 s25, s29, 0
	s_add_u32 s23, s24, s23
	s_addc_u32 s24, 0, s25
	s_add_u32 s20, s20, s23
	s_cselect_b32 s23, -1, 0
	s_mul_hi_u32 s25, s21, s20
	s_cmp_lg_u32 s23, 0
	s_mul_i32 s23, s21, s20
	s_addc_u32 s15, s15, s24
	s_mul_i32 s22, s22, s20
	s_mul_i32 s21, s21, s15
	s_mul_hi_u32 s24, s20, s23
	s_add_i32 s21, s25, s21
	s_mul_hi_u32 s25, s15, s23
	s_add_i32 s21, s21, s22
	s_mul_i32 s22, s15, s23
	s_mul_i32 s27, s20, s21
	s_mul_hi_u32 s26, s20, s21
	s_add_u32 s24, s24, s27
	s_addc_u32 s26, 0, s26
	s_mul_hi_u32 s23, s15, s21
	s_add_u32 s22, s24, s22
	s_mul_i32 s21, s15, s21
	s_addc_u32 s22, s26, s25
	s_addc_u32 s23, s23, 0
	s_add_u32 s21, s22, s21
	s_addc_u32 s22, 0, s23
	s_add_u32 s24, s20, s21
	s_cselect_b32 s20, -1, 0
	s_cmp_lg_u32 s20, 0
	s_addc_u32 s15, s15, s22
	s_ashr_i32 s20, s17, 31
	s_add_u32 s22, s11, s20
	s_mov_b32 s21, s20
	s_addc_u32 s23, s17, s20
	s_xor_b64 s[22:23], s[22:23], s[20:21]
	s_mul_i32 s25, s22, s15
	s_mul_hi_u32 s26, s22, s24
	s_mul_hi_u32 s17, s22, s15
	;; [unrolled: 1-line block ×3, first 2 shown]
	s_mul_i32 s24, s23, s24
	s_add_u32 s25, s26, s25
	s_addc_u32 s17, 0, s17
	s_mul_hi_u32 s27, s23, s15
	s_add_u32 s24, s25, s24
	s_mul_i32 s15, s23, s15
	s_addc_u32 s17, s17, s28
	s_addc_u32 s24, s27, 0
	s_add_u32 s15, s17, s15
	s_addc_u32 s17, 0, s24
	s_mul_hi_u32 s24, s18, s15
	s_mul_i32 s25, s18, s17
	s_mul_i32 s26, s19, s15
	s_add_i32 s24, s24, s25
	s_mul_i32 s25, s18, s15
	s_add_i32 s24, s24, s26
	s_sub_i32 s26, s23, s24
	s_sub_u32 s22, s22, s25
	s_cselect_b32 s25, -1, 0
	s_cmp_lg_u32 s25, 0
	s_subb_u32 s26, s26, s19
	s_sub_u32 s27, s22, s18
	s_cselect_b32 s28, -1, 0
	s_cmp_lg_u32 s28, 0
	s_subb_u32 s26, s26, 0
	s_cmp_ge_u32 s26, s19
	s_cselect_b32 s28, -1, 0
	s_cmp_ge_u32 s27, s18
	s_cselect_b32 s27, -1, 0
	s_cmp_eq_u32 s26, s19
	s_cselect_b32 s26, s27, s28
	s_add_u32 s27, s15, 1
	s_addc_u32 s28, s17, 0
	s_add_u32 s29, s15, 2
	s_addc_u32 s30, s17, 0
	s_cmp_lg_u32 s26, 0
	s_cselect_b32 s26, s29, s27
	s_cselect_b32 s27, s30, s28
	s_cmp_lg_u32 s25, 0
	s_subb_u32 s23, s23, s24
	s_cmp_ge_u32 s23, s19
	s_cselect_b32 s24, -1, 0
	s_cmp_ge_u32 s22, s18
	s_cselect_b32 s18, -1, 0
	s_cmp_eq_u32 s23, s19
	s_cselect_b32 s18, s18, s24
	s_cmp_lg_u32 s18, 0
	s_cselect_b32 s19, s27, s17
	s_cselect_b32 s18, s26, s15
	s_xor_b64 s[20:21], s[20:21], 0
	s_xor_b64 s[18:19], s[18:19], s[20:21]
	s_sub_u32 s18, s18, s20
	s_andn2_b32 vcc_lo, exec_lo, s16
	s_cbranch_vccnz .LBB3_6
.LBB3_5:
	v_cvt_f32_u32_e32 v1, s9
	s_sub_i32 s16, 0, s9
	v_rcp_iflag_f32_e32 v1, v1
	v_mul_f32_e32 v1, 0x4f7ffffe, v1
	v_cvt_u32_f32_e32 v1, v1
	s_waitcnt lgkmcnt(0)
	v_readfirstlane_b32 s15, v1
	s_mul_i32 s16, s16, s15
	s_mul_hi_u32 s16, s15, s16
	s_add_i32 s15, s15, s16
	s_mul_hi_u32 s15, s11, s15
	s_mul_i32 s16, s15, s9
	s_sub_i32 s11, s11, s16
	s_add_i32 s16, s15, 1
	s_sub_i32 s17, s11, s9
	s_cmp_ge_u32 s11, s9
	s_cselect_b32 s15, s16, s15
	s_cselect_b32 s11, s17, s11
	s_add_i32 s16, s15, 1
	s_cmp_ge_u32 s11, s9
	s_cselect_b32 s18, s16, s15
.LBB3_6:
	s_cmp_eq_u32 s10, s18
	s_waitcnt lgkmcnt(0)
	s_mul_hi_u32 s11, s10, s12
	s_cselect_b32 s15, -1, 0
	s_add_i32 s11, s11, s10
	s_lshr_b32 s11, s11, s13
	s_mul_i32 s16, s11, s14
	s_cmp_eq_u32 s16, s10
	s_mul_hi_u32 s16, s18, s12
	s_cselect_b32 s17, -1, 0
	s_add_i32 s16, s16, s18
	s_lshr_b32 s16, s16, s13
	s_cmp_eq_u32 s11, s16
	s_mul_i32 s16, s16, s14
	s_cselect_b32 s19, -1, 0
	s_cmp_lg_u32 s16, s18
	s_cselect_b32 s16, -1, 0
	s_or_b32 s15, s15, s17
	s_and_b32 s16, s19, s16
	s_or_b32 s15, s15, s16
	s_and_b32 vcc_lo, exec_lo, s15
	s_cbranch_vccnz .LBB3_24
; %bb.7:
	s_clause 0x1
	s_load_dwordx8 s[20:27], s[4:5], 0x20
	s_load_dword s16, s[4:5], 0x40
	s_waitcnt lgkmcnt(0)
	s_mul_hi_u32 s15, s10, s20
	s_add_i32 s15, s15, s10
	s_lshr_b32 s15, s15, s21
	s_mul_i32 s17, s15, s22
	s_sub_i32 s17, s10, s17
	s_mul_hi_u32 s18, s17, s23
	s_add_i32 s18, s17, s18
	s_lshr_b32 s21, s18, s24
	s_mul_i32 s18, s21, s25
	s_sub_i32 s17, s17, s18
	s_mul_hi_u32 s18, s17, s26
	s_add_i32 s18, s17, s18
	s_lshr_b32 s18, s18, s27
	s_mul_i32 s16, s18, s16
	s_lshl_b32 s22, s18, 3
	s_sub_i32 s16, s17, s16
	s_mul_hi_u32 s17, s16, s12
	s_add_i32 s16, s16, s17
	s_lshr_b32 s20, s16, s13
	s_lshl_b32 s16, s20, 3
	s_add_i32 s16, s16, s7
	s_cmp_lt_i32 s16, s0
	s_cselect_b32 s16, -1, 0
	s_add_i32 s22, s22, s8
	s_cmp_lt_i32 s22, s2
	s_cselect_b32 s17, -1, 0
	s_and_b32 s16, s16, s17
	s_andn2_b32 vcc_lo, exec_lo, s16
	s_cbranch_vccnz .LBB3_24
; %bb.8:
	s_load_dwordx4 s[16:19], s[4:5], 0x0
	s_mov_b32 s4, 0
	s_lshl_b32 s24, s9, 8
	s_mov_b32 s25, s4
	s_lshl_b32 s5, s7, 3
	s_lshl_b64 s[24:25], s[24:25], 2
	s_mul_i32 s21, s21, s2
	s_mul_i32 s0, s15, s0
	s_add_i32 s2, s5, s8
	v_cvt_f32_u32_e32 v3, s9
	v_rcp_iflag_f32_e32 v3, v3
	s_waitcnt lgkmcnt(0)
	s_add_u32 s8, s18, s24
	s_addc_u32 s15, s19, s25
	s_add_i32 s0, s0, s7
	s_add_i32 s5, s22, s21
	s_mul_i32 s0, s0, s1
	s_mul_i32 s1, s1, s20
	s_add_i32 s0, s5, s0
	s_mulk_i32 s1, 0x380
	s_mulk_i32 s0, 0x70
	v_mul_f32_e32 v7, 0x4f7ffffe, v3
	v_add3_u32 v1, s1, s0, v0
	s_lshl_b32 s0, s6, 6
	s_add_i32 s0, s2, s0
	v_ashrrev_i32_e32 v2, 31, v1
	s_ashr_i32 s1, s0, 31
	s_lshl_b64 s[0:1], s[0:1], 3
	v_lshlrev_b64 v[1:2], 2, v[1:2]
	s_add_u32 s0, s18, s0
	s_addc_u32 s1, s19, s1
	s_load_dwordx2 s[0:1], s[0:1], 0x0
	v_add_co_u32 v1, vcc_lo, s16, v1
	v_add_co_ci_u32_e64 v2, null, s17, v2, vcc_lo
	s_add_i32 s17, s6, -1
	v_mad_u64_u32 v[3:4], null, 0x70, s2, v[0:1]
	global_load_dword v5, v[1:2], off
	v_cvt_u32_f32_e32 v0, v7
	s_sub_i32 s16, 0, s9
	s_waitcnt lgkmcnt(0)
	v_mov_b32_e32 v4, s1
	v_mov_b32_e32 v6, s0
.LBB3_9:                                ; =>This Inner Loop Header: Depth=1
	s_mul_hi_i32 s5, s17, s3
	s_mul_i32 s6, s17, s3
	s_cmp_lg_u64 s[4:5], 0
	s_mov_b32 s7, -1
                                        ; implicit-def: $sgpr0_sgpr1
	s_cbranch_scc0 .LBB3_11
; %bb.10:                               ;   in Loop: Header=BB3_9 Depth=1
	s_add_u32 s0, s9, 0
	s_addc_u32 s1, 0, 0
	s_xor_b64 s[0:1], s[0:1], 0
	v_cvt_f32_u32_e32 v7, s0
	v_cvt_f32_u32_e32 v8, s1
	s_sub_u32 s21, 0, s0
	s_subb_u32 s22, 0, s1
	v_fmac_f32_e32 v7, 0x4f800000, v8
	v_rcp_f32_e32 v7, v7
	v_mul_f32_e32 v7, 0x5f7ffffc, v7
	v_mul_f32_e32 v8, 0x2f800000, v7
	v_trunc_f32_e32 v8, v8
	v_fmac_f32_e32 v7, 0xcf800000, v8
	v_cvt_u32_f32_e32 v8, v8
	v_cvt_u32_f32_e32 v7, v7
	v_readfirstlane_b32 s7, v8
	v_readfirstlane_b32 s20, v7
	s_mul_i32 s23, s21, s7
	s_mul_hi_u32 s25, s21, s20
	s_mul_i32 s24, s22, s20
	s_add_i32 s23, s25, s23
	s_mul_i32 s26, s21, s20
	s_add_i32 s23, s23, s24
	s_mul_hi_u32 s25, s20, s26
	s_mul_i32 s28, s20, s23
	s_mul_hi_u32 s27, s7, s26
	s_mul_i32 s24, s7, s26
	s_mul_hi_u32 s26, s20, s23
	s_add_u32 s25, s25, s28
	s_addc_u32 s26, 0, s26
	s_mul_hi_u32 s29, s7, s23
	s_add_u32 s24, s25, s24
	s_mul_i32 s23, s7, s23
	s_addc_u32 s24, s26, s27
	s_addc_u32 s25, s29, 0
	s_add_u32 s23, s24, s23
	s_addc_u32 s24, 0, s25
	s_add_u32 s20, s20, s23
	s_cselect_b32 s23, -1, 0
	s_mul_hi_u32 s25, s21, s20
	s_cmp_lg_u32 s23, 0
	s_mul_i32 s23, s21, s20
	s_addc_u32 s7, s7, s24
	s_mul_i32 s22, s22, s20
	s_mul_i32 s21, s21, s7
	s_mul_hi_u32 s24, s20, s23
	s_add_i32 s21, s25, s21
	s_mul_hi_u32 s25, s7, s23
	s_add_i32 s21, s21, s22
	s_mul_i32 s22, s7, s23
	s_mul_i32 s27, s20, s21
	s_mul_hi_u32 s26, s20, s21
	s_add_u32 s24, s24, s27
	s_addc_u32 s26, 0, s26
	s_mul_hi_u32 s23, s7, s21
	s_add_u32 s22, s24, s22
	s_mul_i32 s21, s7, s21
	s_addc_u32 s22, s26, s25
	s_addc_u32 s23, s23, 0
	s_add_u32 s21, s22, s21
	s_addc_u32 s22, 0, s23
	s_add_u32 s24, s20, s21
	s_cselect_b32 s20, -1, 0
	s_cmp_lg_u32 s20, 0
	s_addc_u32 s7, s7, s22
	s_ashr_i32 s20, s5, 31
	s_add_u32 s22, s6, s20
	s_mov_b32 s21, s20
	s_addc_u32 s23, s5, s20
	s_xor_b64 s[22:23], s[22:23], s[20:21]
	s_mul_i32 s25, s22, s7
	s_mul_hi_u32 s26, s22, s24
	s_mul_hi_u32 s5, s22, s7
	;; [unrolled: 1-line block ×3, first 2 shown]
	s_mul_i32 s24, s23, s24
	s_add_u32 s25, s26, s25
	s_addc_u32 s5, 0, s5
	s_mul_hi_u32 s27, s23, s7
	s_add_u32 s24, s25, s24
	s_mul_i32 s7, s23, s7
	s_addc_u32 s5, s5, s28
	s_addc_u32 s24, s27, 0
	s_add_u32 s5, s5, s7
	s_addc_u32 s7, 0, s24
	s_mul_hi_u32 s24, s0, s5
	s_mul_i32 s25, s0, s7
	s_mul_i32 s26, s1, s5
	s_add_i32 s24, s24, s25
	s_mul_i32 s25, s0, s5
	s_add_i32 s24, s24, s26
	s_sub_i32 s26, s23, s24
	s_sub_u32 s22, s22, s25
	s_cselect_b32 s25, -1, 0
	s_cmp_lg_u32 s25, 0
	s_subb_u32 s26, s26, s1
	s_sub_u32 s27, s22, s0
	s_cselect_b32 s28, -1, 0
	s_cmp_lg_u32 s28, 0
	s_subb_u32 s26, s26, 0
	s_cmp_ge_u32 s26, s1
	s_cselect_b32 s28, -1, 0
	s_cmp_ge_u32 s27, s0
	s_cselect_b32 s27, -1, 0
	s_cmp_eq_u32 s26, s1
	s_cselect_b32 s26, s27, s28
	s_add_u32 s27, s5, 1
	s_addc_u32 s28, s7, 0
	s_add_u32 s29, s5, 2
	s_addc_u32 s30, s7, 0
	s_cmp_lg_u32 s26, 0
	s_cselect_b32 s26, s29, s27
	s_cselect_b32 s27, s30, s28
	s_cmp_lg_u32 s25, 0
	s_subb_u32 s23, s23, s24
	s_cmp_ge_u32 s23, s1
	s_cselect_b32 s24, -1, 0
	s_cmp_ge_u32 s22, s0
	s_cselect_b32 s0, -1, 0
	s_cmp_eq_u32 s23, s1
	s_cselect_b32 s0, s0, s24
	s_cmp_lg_u32 s0, 0
	s_cselect_b32 s1, s27, s7
	s_cselect_b32 s0, s26, s5
	s_xor_b64 s[20:21], s[20:21], 0
	s_mov_b32 s7, 0
	s_xor_b64 s[0:1], s[0:1], s[20:21]
	s_sub_u32 s0, s0, s20
.LBB3_11:                               ;   in Loop: Header=BB3_9 Depth=1
	s_andn2_b32 vcc_lo, exec_lo, s7
	s_cbranch_vccnz .LBB3_13
; %bb.12:                               ;   in Loop: Header=BB3_9 Depth=1
	v_readfirstlane_b32 s0, v0
	s_mul_i32 s1, s16, s0
	s_mul_hi_u32 s1, s0, s1
	s_add_i32 s0, s0, s1
	s_mul_hi_u32 s0, s6, s0
	s_mul_i32 s1, s0, s9
	s_add_i32 s5, s0, 1
	s_sub_i32 s1, s6, s1
	s_sub_i32 s6, s1, s9
	s_cmp_ge_u32 s1, s9
	s_cselect_b32 s0, s5, s0
	s_cselect_b32 s1, s6, s1
	s_add_i32 s5, s0, 1
	s_cmp_ge_u32 s1, s9
	s_cselect_b32 s0, s5, s0
.LBB3_13:                               ;   in Loop: Header=BB3_9 Depth=1
	s_cmp_lg_u32 s10, s0
	s_mov_b32 s6, -1
                                        ; implicit-def: $sgpr5
                                        ; implicit-def: $vgpr8
                                        ; implicit-def: $vgpr7
                                        ; implicit-def: $vgpr9
                                        ; implicit-def: $sgpr1
                                        ; implicit-def: $sgpr20
	s_cbranch_scc0 .LBB3_18
; %bb.14:                               ;   in Loop: Header=BB3_9 Depth=1
	s_add_i32 s1, s17, s9
	s_mov_b32 s7, s4
	s_lshl_b32 s1, s1, 6
	s_mov_b32 s20, s10
	s_add_i32 s6, s1, s2
	s_mul_hi_u32 s1, s0, s12
	s_lshl_b64 s[6:7], s[6:7], 3
	s_add_u32 s6, s18, s6
	s_addc_u32 s7, s19, s7
	s_add_i32 s1, s1, s0
	s_lshr_b32 s1, s1, s13
	s_mul_i32 s5, s1, s14
	s_cmp_eq_u32 s5, s0
	s_cselect_b32 s5, -1, 0
	s_cmp_lt_u32 s1, s11
	s_cselect_b32 s1, -1, 0
	s_or_b32 s1, s1, s5
	s_mov_b32 s5, -1
	s_and_b32 vcc_lo, exec_lo, s1
	s_mov_b32 s1, s17
	s_cbranch_vccnz .LBB3_16
; %bb.15:                               ;   in Loop: Header=BB3_9 Depth=1
	s_add_i32 s1, s17, -1
	s_mov_b32 s5, 0
	s_mov_b32 s20, s0
.LBB3_16:                               ;   in Loop: Header=BB3_9 Depth=1
	v_mad_u64_u32 v[7:8], null, 0x1c00, s17, v[3:4]
	s_load_dwordx2 s[6:7], s[6:7], 0x0
	v_ashrrev_i32_e32 v8, 31, v7
	v_lshlrev_b64 v[7:8], 2, v[7:8]
	v_add_co_u32 v7, vcc_lo, s8, v7
	v_add_co_ci_u32_e64 v8, null, s15, v8, vcc_lo
	s_waitcnt lgkmcnt(0)
	v_max_f32_e64 v9, s6, s6
	global_load_dword v8, v[7:8], off
	v_max_f32_e32 v7, v6, v6
	v_max_f32_e32 v7, v7, v9
	v_sub_f32_e32 v9, s6, v7
	v_sub_f32_e32 v10, v6, v7
	v_mul_f32_e32 v11, 0x3fb8aa3b, v9
	v_mul_f32_e32 v12, 0x3fb8aa3b, v10
	v_cmp_ngt_f32_e32 vcc_lo, 0xc2ce8ed0, v9
	v_fma_f32 v13, 0x3fb8aa3b, v9, -v11
	v_rndne_f32_e32 v14, v11
	v_fma_f32 v15, 0x3fb8aa3b, v10, -v12
	v_rndne_f32_e32 v16, v12
	v_fmac_f32_e32 v13, 0x32a5705f, v9
	v_sub_f32_e32 v11, v11, v14
	v_fmac_f32_e32 v15, 0x32a5705f, v10
	v_sub_f32_e32 v12, v12, v16
	v_add_f32_e32 v11, v11, v13
	v_cvt_i32_f32_e32 v13, v14
	v_add_f32_e32 v12, v12, v15
	v_cvt_i32_f32_e32 v14, v16
	v_exp_f32_e32 v11, v11
	v_exp_f32_e32 v12, v12
	v_ldexp_f32 v11, v11, v13
	v_ldexp_f32 v12, v12, v14
	v_cndmask_b32_e32 v11, 0, v11, vcc_lo
	v_cmp_ngt_f32_e32 vcc_lo, 0xc2ce8ed0, v10
	v_cndmask_b32_e32 v12, 0, v12, vcc_lo
	v_cmp_nlt_f32_e32 vcc_lo, 0x42b17218, v9
	v_cndmask_b32_e32 v11, 0x7f800000, v11, vcc_lo
	v_cmp_nlt_f32_e32 vcc_lo, 0x42b17218, v10
	v_cndmask_b32_e32 v12, 0x7f800000, v12, vcc_lo
	v_cmp_le_f32_e32 vcc_lo, 0xc1a00000, v9
	v_cndmask_b32_e32 v9, 0, v11, vcc_lo
	v_cmp_le_f32_e32 vcc_lo, 0xc1a00000, v10
	v_cndmask_b32_e32 v10, 0, v12, vcc_lo
	s_waitcnt vmcnt(0)
	v_mul_f32_e32 v8, v8, v9
	v_mul_f32_e32 v9, s7, v9
	v_fmac_f32_e32 v8, v5, v10
	v_fmac_f32_e32 v9, v4, v10
	s_cbranch_execz .LBB3_19
.LBB3_17:                               ;   in Loop: Header=BB3_9 Depth=1
	s_andn2_b32 vcc_lo, exec_lo, s5
	s_cbranch_vccnz .LBB3_20
	s_branch .LBB3_23
.LBB3_18:                               ;   in Loop: Header=BB3_9 Depth=1
	s_andn2_b32 vcc_lo, exec_lo, s6
	s_cbranch_vccnz .LBB3_17
.LBB3_19:                               ;   in Loop: Header=BB3_9 Depth=1
	v_mov_b32_e32 v9, v4
	v_mov_b32_e32 v7, v6
	s_waitcnt vmcnt(0)
	v_mov_b32_e32 v8, v5
	s_add_i32 s1, s17, -1
	s_mov_b32 s20, s10
	s_cbranch_execz .LBB3_23
.LBB3_20:                               ;   in Loop: Header=BB3_9 Depth=1
	v_mov_b32_e32 v4, v9
	v_mov_b32_e32 v6, v7
	s_waitcnt vmcnt(0)
	v_mov_b32_e32 v5, v8
	s_mov_b32 s10, s20
	s_mov_b32 s17, s1
	s_branch .LBB3_9
.LBB3_21:
                                        ; implicit-def: $sgpr10_sgpr11
	s_load_dwordx4 s[12:15], s[4:5], 0x44
	s_branch .LBB3_2
.LBB3_22:
                                        ; implicit-def: $sgpr18_sgpr19
	s_branch .LBB3_5
.LBB3_23:
	v_div_scale_f32 v0, null, v9, v9, v8
	v_rcp_f32_e32 v3, v0
	v_fma_f32 v4, -v0, v3, 1.0
	v_fmac_f32_e32 v3, v4, v3
	v_div_scale_f32 v4, vcc_lo, v8, v9, v8
	s_waitcnt vmcnt(0)
	v_mul_f32_e32 v5, v4, v3
	v_fma_f32 v6, -v0, v5, v4
	v_fmac_f32_e32 v5, v6, v3
	v_fma_f32 v0, -v0, v5, v4
	v_div_fmas_f32 v0, v0, v3, v5
	v_div_fixup_f32 v0, v0, v9, v8
	global_store_dword v[1:2], v0, off
.LBB3_24:
	s_endpgm
	.section	.rodata,"a",@progbits
	.p2align	6, 0x0
	.amdhsa_kernel _ZL33flash_attn_stream_k_fixup_generalILi112ELi8ELi8EEvPfPK15HIP_vector_typeIfLj2EEiiiiS1_IjLj3EES5_S5_S5_
		.amdhsa_group_segment_fixed_size 0
		.amdhsa_private_segment_fixed_size 0
		.amdhsa_kernarg_size 336
		.amdhsa_user_sgpr_count 6
		.amdhsa_user_sgpr_private_segment_buffer 1
		.amdhsa_user_sgpr_dispatch_ptr 0
		.amdhsa_user_sgpr_queue_ptr 0
		.amdhsa_user_sgpr_kernarg_segment_ptr 1
		.amdhsa_user_sgpr_dispatch_id 0
		.amdhsa_user_sgpr_flat_scratch_init 0
		.amdhsa_user_sgpr_private_segment_size 0
		.amdhsa_wavefront_size32 1
		.amdhsa_uses_dynamic_stack 0
		.amdhsa_system_sgpr_private_segment_wavefront_offset 0
		.amdhsa_system_sgpr_workgroup_id_x 1
		.amdhsa_system_sgpr_workgroup_id_y 1
		.amdhsa_system_sgpr_workgroup_id_z 1
		.amdhsa_system_sgpr_workgroup_info 0
		.amdhsa_system_vgpr_workitem_id 0
		.amdhsa_next_free_vgpr 17
		.amdhsa_next_free_sgpr 31
		.amdhsa_reserve_vcc 1
		.amdhsa_reserve_flat_scratch 0
		.amdhsa_float_round_mode_32 0
		.amdhsa_float_round_mode_16_64 0
		.amdhsa_float_denorm_mode_32 3
		.amdhsa_float_denorm_mode_16_64 3
		.amdhsa_dx10_clamp 1
		.amdhsa_ieee_mode 1
		.amdhsa_fp16_overflow 0
		.amdhsa_workgroup_processor_mode 1
		.amdhsa_memory_ordered 1
		.amdhsa_forward_progress 1
		.amdhsa_shared_vgpr_count 0
		.amdhsa_exception_fp_ieee_invalid_op 0
		.amdhsa_exception_fp_denorm_src 0
		.amdhsa_exception_fp_ieee_div_zero 0
		.amdhsa_exception_fp_ieee_overflow 0
		.amdhsa_exception_fp_ieee_underflow 0
		.amdhsa_exception_fp_ieee_inexact 0
		.amdhsa_exception_int_div_zero 0
	.end_amdhsa_kernel
	.section	.text._ZL33flash_attn_stream_k_fixup_generalILi112ELi8ELi8EEvPfPK15HIP_vector_typeIfLj2EEiiiiS1_IjLj3EES5_S5_S5_,"axG",@progbits,_ZL33flash_attn_stream_k_fixup_generalILi112ELi8ELi8EEvPfPK15HIP_vector_typeIfLj2EEiiiiS1_IjLj3EES5_S5_S5_,comdat
.Lfunc_end3:
	.size	_ZL33flash_attn_stream_k_fixup_generalILi112ELi8ELi8EEvPfPK15HIP_vector_typeIfLj2EEiiiiS1_IjLj3EES5_S5_S5_, .Lfunc_end3-_ZL33flash_attn_stream_k_fixup_generalILi112ELi8ELi8EEvPfPK15HIP_vector_typeIfLj2EEiiiiS1_IjLj3EES5_S5_S5_
                                        ; -- End function
	.set _ZL33flash_attn_stream_k_fixup_generalILi112ELi8ELi8EEvPfPK15HIP_vector_typeIfLj2EEiiiiS1_IjLj3EES5_S5_S5_.num_vgpr, 17
	.set _ZL33flash_attn_stream_k_fixup_generalILi112ELi8ELi8EEvPfPK15HIP_vector_typeIfLj2EEiiiiS1_IjLj3EES5_S5_S5_.num_agpr, 0
	.set _ZL33flash_attn_stream_k_fixup_generalILi112ELi8ELi8EEvPfPK15HIP_vector_typeIfLj2EEiiiiS1_IjLj3EES5_S5_S5_.numbered_sgpr, 31
	.set _ZL33flash_attn_stream_k_fixup_generalILi112ELi8ELi8EEvPfPK15HIP_vector_typeIfLj2EEiiiiS1_IjLj3EES5_S5_S5_.num_named_barrier, 0
	.set _ZL33flash_attn_stream_k_fixup_generalILi112ELi8ELi8EEvPfPK15HIP_vector_typeIfLj2EEiiiiS1_IjLj3EES5_S5_S5_.private_seg_size, 0
	.set _ZL33flash_attn_stream_k_fixup_generalILi112ELi8ELi8EEvPfPK15HIP_vector_typeIfLj2EEiiiiS1_IjLj3EES5_S5_S5_.uses_vcc, 1
	.set _ZL33flash_attn_stream_k_fixup_generalILi112ELi8ELi8EEvPfPK15HIP_vector_typeIfLj2EEiiiiS1_IjLj3EES5_S5_S5_.uses_flat_scratch, 0
	.set _ZL33flash_attn_stream_k_fixup_generalILi112ELi8ELi8EEvPfPK15HIP_vector_typeIfLj2EEiiiiS1_IjLj3EES5_S5_S5_.has_dyn_sized_stack, 0
	.set _ZL33flash_attn_stream_k_fixup_generalILi112ELi8ELi8EEvPfPK15HIP_vector_typeIfLj2EEiiiiS1_IjLj3EES5_S5_S5_.has_recursion, 0
	.set _ZL33flash_attn_stream_k_fixup_generalILi112ELi8ELi8EEvPfPK15HIP_vector_typeIfLj2EEiiiiS1_IjLj3EES5_S5_S5_.has_indirect_call, 0
	.section	.AMDGPU.csdata,"",@progbits
; Kernel info:
; codeLenInByte = 2948
; TotalNumSgprs: 33
; NumVgprs: 17
; ScratchSize: 0
; MemoryBound: 0
; FloatMode: 240
; IeeeMode: 1
; LDSByteSize: 0 bytes/workgroup (compile time only)
; SGPRBlocks: 0
; VGPRBlocks: 2
; NumSGPRsForWavesPerEU: 33
; NumVGPRsForWavesPerEU: 17
; Occupancy: 16
; WaveLimiterHint : 0
; COMPUTE_PGM_RSRC2:SCRATCH_EN: 0
; COMPUTE_PGM_RSRC2:USER_SGPR: 6
; COMPUTE_PGM_RSRC2:TRAP_HANDLER: 0
; COMPUTE_PGM_RSRC2:TGID_X_EN: 1
; COMPUTE_PGM_RSRC2:TGID_Y_EN: 1
; COMPUTE_PGM_RSRC2:TGID_Z_EN: 1
; COMPUTE_PGM_RSRC2:TIDIG_COMP_CNT: 0
	.section	.text._ZL26flash_attn_combine_resultsILi112EEvPKfPK15HIP_vector_typeIfLj2EEPfi,"axG",@progbits,_ZL26flash_attn_combine_resultsILi112EEvPKfPK15HIP_vector_typeIfLj2EEPfi,comdat
	.globl	_ZL26flash_attn_combine_resultsILi112EEvPKfPK15HIP_vector_typeIfLj2EEPfi ; -- Begin function _ZL26flash_attn_combine_resultsILi112EEvPKfPK15HIP_vector_typeIfLj2EEPfi
	.p2align	8
	.type	_ZL26flash_attn_combine_resultsILi112EEvPKfPK15HIP_vector_typeIfLj2EEPfi,@function
_ZL26flash_attn_combine_resultsILi112EEvPKfPK15HIP_vector_typeIfLj2EEPfi: ; @_ZL26flash_attn_combine_resultsILi112EEvPKfPK15HIP_vector_typeIfLj2EEPfi
; %bb.0:
	s_clause 0x3
	s_load_dwordx2 s[2:3], s[4:5], 0x20
	s_load_dword s9, s[4:5], 0x18
	s_load_dwordx4 s[12:15], s[4:5], 0x0
	s_load_dwordx2 s[10:11], s[4:5], 0x10
	v_lshlrev_b32_e32 v5, 2, v0
	s_mov_b32 s4, exec_lo
	s_waitcnt lgkmcnt(0)
	s_mul_i32 s0, s2, s8
	s_lshl_b32 s1, s9, 1
	s_add_i32 s0, s0, s6
	s_mul_i32 s8, s0, s3
	s_add_i32 s8, s8, s7
	s_mul_i32 s2, s8, s9
	v_cmpx_gt_i32_e64 s1, v0
	s_cbranch_execz .LBB4_3
; %bb.1:
	s_ashr_i32 s3, s2, 31
	v_add_nc_u32_e32 v3, 0, v5
	s_lshl_b64 s[6:7], s[2:3], 3
	v_mov_b32_e32 v4, v0
	s_add_u32 s0, s14, s6
	s_addc_u32 s3, s15, s7
	v_add_co_u32 v1, s0, s0, v5
	v_add_co_ci_u32_e64 v2, null, s3, 0, s0
	s_mov_b32 s3, 0
	.p2align	6
.LBB4_2:                                ; =>This Inner Loop Header: Depth=1
	global_load_dword v6, v[1:2], off
	v_add_nc_u32_e32 v4, 0x70, v4
	v_add_co_u32 v1, vcc_lo, 0x1c0, v1
	v_add_co_ci_u32_e64 v2, null, 0, v2, vcc_lo
	v_cmp_le_i32_e64 s0, s1, v4
	s_or_b32 s3, s0, s3
	s_waitcnt vmcnt(0)
	ds_write_b32 v3, v6
	v_add_nc_u32_e32 v3, 0x1c0, v3
	s_andn2_b32 exec_lo, exec_lo, s3
	s_cbranch_execnz .LBB4_2
.LBB4_3:
	s_or_b32 exec_lo, exec_lo, s4
	v_mov_b32_e32 v1, 0
	s_waitcnt lgkmcnt(0)
	s_barrier
	buffer_gl0_inv
	s_cmp_lt_i32 s9, 2
	ds_read_b32 v6, v1
	s_cbranch_scc1 .LBB4_11
; %bb.4:
	s_add_i32 s1, s9, -2
	s_add_i32 s0, s9, -1
	s_cmp_lt_u32 s1, 7
	s_cbranch_scc1 .LBB4_8
; %bb.5:
	s_mov_b32 s3, 0
	s_add_i32 s1, 0, 8
	s_and_b32 s4, s0, -8
	.p2align	6
.LBB4_6:                                ; =>This Inner Loop Header: Depth=1
	v_mov_b32_e32 v9, s1
	s_mov_b32 s5, s3
	s_add_i32 s3, s3, 8
	s_add_i32 s1, s1, 64
	s_cmp_eq_u32 s4, s3
	ds_read2_b32 v[1:2], v9 offset1:2
	ds_read2_b32 v[3:4], v9 offset0:4 offset1:6
	ds_read2_b32 v[7:8], v9 offset0:8 offset1:10
	;; [unrolled: 1-line block ×3, first 2 shown]
	s_waitcnt lgkmcnt(3)
	v_max3_f32 v1, v6, v1, v2
	s_waitcnt lgkmcnt(2)
	v_max3_f32 v1, v1, v3, v4
	;; [unrolled: 2-line block ×4, first 2 shown]
	s_cbranch_scc0 .LBB4_6
; %bb.7:
	s_add_i32 s1, s5, 9
	s_and_b32 s0, s0, 7
	s_cmp_eq_u32 s0, 0
	s_cbranch_scc0 .LBB4_9
	s_branch .LBB4_11
.LBB4_8:
	s_mov_b32 s1, 1
	s_and_b32 s0, s0, 7
	s_cmp_eq_u32 s0, 0
	s_cbranch_scc1 .LBB4_11
.LBB4_9:
	s_lshl_b32 s1, s1, 3
	s_add_i32 s1, s1, 0
.LBB4_10:                               ; =>This Inner Loop Header: Depth=1
	v_mov_b32_e32 v1, s1
	s_waitcnt lgkmcnt(0)
	v_max_f32_e32 v2, v6, v6
	s_add_i32 s0, s0, -1
	s_add_i32 s1, s1, 8
	s_cmp_lg_u32 s0, 0
	ds_read_b32 v1, v1
	s_waitcnt lgkmcnt(0)
	v_max_f32_e32 v1, v1, v1
	v_max_f32_e32 v6, v2, v1
	s_cbranch_scc1 .LBB4_10
.LBB4_11:
	s_cmp_lt_i32 s9, 1
	s_cbranch_scc1 .LBB4_16
; %bb.12:
	s_mul_i32 s6, s2, 0x70
	s_ashr_i32 s7, s6, 31
	s_cmp_lt_u32 s9, 8
	s_cbranch_scc1 .LBB4_17
; %bb.13:
	s_lshl_b64 s[0:1], s[6:7], 2
	v_add_nc_u32_e32 v1, 0x1c0, v0
	v_mov_b32_e32 v4, 0
	v_mov_b32_e32 v7, 0
	;; [unrolled: 1-line block ×3, first 2 shown]
	s_add_u32 s15, s12, s0
	s_addc_u32 s16, s13, s1
	s_and_b32 s14, s9, 0x7ffffff8
	s_mov_b32 s17, 0
	s_mov_b32 s18, 0
.LBB4_14:                               ; =>This Inner Loop Header: Depth=1
	v_add_nc_u32_e32 v3, 0xfffffe40, v1
	v_mov_b32_e32 v2, v4
	s_add_i32 s17, s17, 8
	v_lshlrev_b64 v[9:10], 2, v[3:4]
	v_add_nc_u32_e32 v3, 0xfffffeb0, v1
	v_lshlrev_b64 v[11:12], 2, v[1:2]
	v_lshlrev_b64 v[13:14], 2, v[3:4]
	v_add_co_u32 v9, vcc_lo, s15, v9
	v_add_nc_u32_e32 v3, 0xffffff20, v1
	v_add_co_ci_u32_e64 v10, null, s16, v10, vcc_lo
	v_add_co_u32 v11, vcc_lo, s15, v11
	v_add_co_ci_u32_e64 v12, null, s16, v12, vcc_lo
	v_add_co_u32 v13, vcc_lo, s15, v13
	v_lshlrev_b64 v[15:16], 2, v[3:4]
	v_add_nc_u32_e32 v3, 0xffffff90, v1
	v_add_co_ci_u32_e64 v14, null, s16, v14, vcc_lo
	s_clause 0x1
	global_load_dword v25, v[9:10], off
	global_load_dword v29, v[11:12], off
	v_lshlrev_b64 v[9:10], 2, v[3:4]
	global_load_dword v26, v[13:14], off
	v_add_co_u32 v13, vcc_lo, s15, v15
	v_add_nc_u32_e32 v3, 0x70, v1
	v_add_co_ci_u32_e64 v14, null, s16, v16, vcc_lo
	v_add_co_u32 v9, vcc_lo, s15, v9
	v_lshlrev_b64 v[15:16], 2, v[3:4]
	v_add_nc_u32_e32 v3, 0xe0, v1
	v_add_co_ci_u32_e64 v10, null, s16, v10, vcc_lo
	s_clause 0x1
	global_load_dword v27, v[13:14], off
	global_load_dword v28, v[9:10], off
	v_lshlrev_b64 v[13:14], 2, v[3:4]
	v_add_nc_u32_e32 v3, 0x150, v1
	v_add_co_u32 v9, vcc_lo, s15, v15
	v_add_co_ci_u32_e64 v10, null, s16, v16, vcc_lo
	v_lshlrev_b64 v[2:3], 2, v[3:4]
	v_add_nc_u32_e32 v1, 0x380, v1
	global_load_dword v30, v[9:10], off
	v_add_co_u32 v9, vcc_lo, s15, v13
	v_add_co_ci_u32_e64 v10, null, s16, v14, vcc_lo
	v_add_co_u32 v2, vcc_lo, s15, v2
	v_add_co_ci_u32_e64 v3, null, s16, v3, vcc_lo
	s_clause 0x1
	global_load_dword v31, v[9:10], off
	global_load_dword v2, v[2:3], off
	v_mov_b32_e32 v3, s18
	ds_read2_b64 v[9:12], v3 offset1:1
	ds_read2_b64 v[13:16], v3 offset0:2 offset1:3
	ds_read2_b64 v[17:20], v3 offset0:4 offset1:5
	;; [unrolled: 1-line block ×3, first 2 shown]
	s_add_i32 s18, s18, 64
	s_cmp_eq_u32 s14, s17
	s_waitcnt lgkmcnt(3)
	v_sub_f32_e32 v3, v9, v6
	v_sub_f32_e32 v9, v11, v6
	s_waitcnt lgkmcnt(2)
	v_sub_f32_e32 v11, v13, v6
	v_sub_f32_e32 v13, v15, v6
	s_waitcnt lgkmcnt(1)
	v_sub_f32_e32 v15, v17, v6
	v_sub_f32_e32 v17, v19, v6
	s_waitcnt lgkmcnt(0)
	v_sub_f32_e32 v19, v21, v6
	v_sub_f32_e32 v21, v23, v6
	v_mul_f32_e32 v23, 0x3fb8aa3b, v3
	v_mul_f32_e32 v32, 0x3fb8aa3b, v9
	;; [unrolled: 1-line block ×5, first 2 shown]
	v_fma_f32 v39, 0x3fb8aa3b, v3, -v23
	v_rndne_f32_e32 v40, v23
	v_fma_f32 v41, 0x3fb8aa3b, v9, -v32
	v_rndne_f32_e32 v42, v32
	v_fma_f32 v43, 0x3fb8aa3b, v11, -v33
	v_fmac_f32_e32 v39, 0x32a5705f, v3
	v_sub_f32_e32 v23, v23, v40
	v_rndne_f32_e32 v44, v33
	v_fmac_f32_e32 v41, 0x32a5705f, v9
	v_sub_f32_e32 v32, v32, v42
	v_fmac_f32_e32 v43, 0x32a5705f, v11
	v_add_f32_e32 v23, v23, v39
	v_sub_f32_e32 v33, v33, v44
	v_fma_f32 v45, 0x3fb8aa3b, v13, -v34
	v_add_f32_e32 v32, v32, v41
	v_rndne_f32_e32 v46, v34
	v_exp_f32_e32 v23, v23
	v_add_f32_e32 v33, v33, v43
	v_cvt_i32_f32_e32 v40, v40
	v_exp_f32_e32 v32, v32
	v_mul_f32_e32 v36, 0x3fb8aa3b, v17
	v_fma_f32 v47, 0x3fb8aa3b, v15, -v35
	v_rndne_f32_e32 v48, v35
	v_cvt_i32_f32_e32 v42, v42
	v_fmac_f32_e32 v45, 0x32a5705f, v13
	v_sub_f32_e32 v34, v34, v46
	v_exp_f32_e32 v33, v33
	v_ldexp_f32 v23, v23, v40
	v_cmp_ngt_f32_e64 s5, 0xc2ce8ed0, v3
	v_mul_f32_e32 v37, 0x3fb8aa3b, v19
	v_fma_f32 v49, 0x3fb8aa3b, v17, -v36
	v_rndne_f32_e32 v50, v36
	v_cvt_i32_f32_e32 v44, v44
	v_fmac_f32_e32 v47, 0x32a5705f, v15
	v_sub_f32_e32 v35, v35, v48
	v_add_f32_e32 v34, v34, v45
	v_ldexp_f32 v32, v32, v42
	v_cndmask_b32_e64 v23, 0, v23, s5
	v_cmp_ngt_f32_e64 s5, 0xc2ce8ed0, v9
	v_mul_f32_e32 v38, 0x3fb8aa3b, v21
	v_fma_f32 v51, 0x3fb8aa3b, v19, -v37
	v_rndne_f32_e32 v39, v37
	v_fmac_f32_e32 v49, 0x32a5705f, v17
	v_sub_f32_e32 v36, v36, v50
	v_add_f32_e32 v35, v35, v47
	v_exp_f32_e32 v34, v34
	v_ldexp_f32 v33, v33, v44
	v_cmp_ngt_f32_e32 vcc_lo, 0xc2ce8ed0, v11
	v_cndmask_b32_e64 v32, 0, v32, s5
	v_cmp_nlt_f32_e64 s5, 0x42b17218, v3
	v_fma_f32 v41, 0x3fb8aa3b, v21, -v38
	v_rndne_f32_e32 v43, v38
	v_cvt_i32_f32_e32 v46, v46
	v_fmac_f32_e32 v51, 0x32a5705f, v19
	v_sub_f32_e32 v37, v37, v39
	v_add_f32_e32 v36, v36, v49
	v_exp_f32_e32 v35, v35
	v_cndmask_b32_e64 v3, 0x7f800000, v23, s5
	v_cndmask_b32_e32 v23, 0, v33, vcc_lo
	v_cmp_nlt_f32_e32 vcc_lo, 0x42b17218, v9
	v_cvt_i32_f32_e32 v48, v48
	v_fmac_f32_e32 v41, 0x32a5705f, v21
	v_sub_f32_e32 v38, v38, v43
	v_add_f32_e32 v37, v37, v51
	v_exp_f32_e32 v36, v36
	v_ldexp_f32 v34, v34, v46
	v_cmp_ngt_f32_e64 s0, 0xc2ce8ed0, v13
	v_cndmask_b32_e32 v9, 0x7f800000, v32, vcc_lo
	v_fmac_f32_e32 v8, v3, v10
	v_cmp_nlt_f32_e32 vcc_lo, 0x42b17218, v11
	v_cvt_i32_f32_e32 v50, v50
	v_add_f32_e32 v38, v38, v41
	v_exp_f32_e32 v37, v37
	v_ldexp_f32 v35, v35, v48
	v_cmp_ngt_f32_e64 s1, 0xc2ce8ed0, v15
	v_cndmask_b32_e32 v10, 0x7f800000, v23, vcc_lo
	v_fmac_f32_e32 v8, v9, v12
	v_cmp_nlt_f32_e32 vcc_lo, 0x42b17218, v13
	v_cvt_i32_f32_e32 v39, v39
	v_exp_f32_e32 v38, v38
	v_ldexp_f32 v36, v36, v50
	v_cmp_ngt_f32_e64 s2, 0xc2ce8ed0, v17
	v_fmac_f32_e32 v8, v10, v14
	v_cvt_i32_f32_e32 v43, v43
	v_ldexp_f32 v37, v37, v39
	v_cmp_ngt_f32_e64 s3, 0xc2ce8ed0, v19
	v_cmp_ngt_f32_e64 s4, 0xc2ce8ed0, v21
	v_ldexp_f32 v38, v38, v43
	s_waitcnt vmcnt(7)
	v_fmac_f32_e32 v7, v25, v3
	v_cndmask_b32_e64 v3, 0, v34, s0
	s_waitcnt vmcnt(5)
	v_fmac_f32_e32 v7, v26, v9
	v_cndmask_b32_e64 v9, 0, v35, s1
	v_cndmask_b32_e32 v3, 0x7f800000, v3, vcc_lo
	v_cmp_nlt_f32_e32 vcc_lo, 0x42b17218, v15
	v_fmac_f32_e32 v8, v3, v16
	v_cndmask_b32_e32 v9, 0x7f800000, v9, vcc_lo
	v_cmp_nlt_f32_e32 vcc_lo, 0x42b17218, v17
	s_waitcnt vmcnt(4)
	v_fmac_f32_e32 v7, v27, v10
	v_cndmask_b32_e64 v10, 0, v36, s2
	v_fmac_f32_e32 v8, v9, v18
	s_waitcnt vmcnt(3)
	v_fmac_f32_e32 v7, v28, v3
	v_cndmask_b32_e64 v3, 0, v37, s3
	v_cndmask_b32_e32 v10, 0x7f800000, v10, vcc_lo
	v_cmp_nlt_f32_e32 vcc_lo, 0x42b17218, v19
	v_fmac_f32_e32 v7, v29, v9
	v_cndmask_b32_e64 v9, 0, v38, s4
	v_fmac_f32_e32 v8, v10, v20
	v_cndmask_b32_e32 v3, 0x7f800000, v3, vcc_lo
	v_cmp_nlt_f32_e32 vcc_lo, 0x42b17218, v21
	s_waitcnt vmcnt(2)
	v_fmac_f32_e32 v7, v30, v10
	v_fmac_f32_e32 v8, v3, v22
	v_cndmask_b32_e32 v9, 0x7f800000, v9, vcc_lo
	s_waitcnt vmcnt(1)
	v_fmac_f32_e32 v7, v31, v3
	v_fmac_f32_e32 v8, v9, v24
	s_waitcnt vmcnt(0)
	v_fmac_f32_e32 v7, v2, v9
	s_cbranch_scc0 .LBB4_14
; %bb.15:
	s_and_b32 s1, s9, 7
	s_cmp_eq_u32 s1, 0
	s_cbranch_scc0 .LBB4_18
	s_branch .LBB4_20
.LBB4_16:
	v_mov_b32_e32 v0, 0x7fc00000
	s_branch .LBB4_21
.LBB4_17:
	v_mov_b32_e32 v7, 0
	v_mov_b32_e32 v8, 0
	s_mov_b32 s14, 0
	s_and_b32 s1, s9, 7
	s_cmp_eq_u32 s1, 0
	s_cbranch_scc1 .LBB4_20
.LBB4_18:
	v_mad_u64_u32 v[0:1], null, 0x70, s14, v[0:1]
	v_mov_b32_e32 v1, 0
	s_lshl_b64 s[2:3], s[6:7], 2
	s_add_u32 s0, s12, s2
	s_addc_u32 s2, s13, s3
	v_lshlrev_b64 v[0:1], 2, v[0:1]
	v_add_co_u32 v0, vcc_lo, s0, v0
	v_add_co_ci_u32_e64 v1, null, s2, v1, vcc_lo
	s_lshl_b32 s0, s14, 3
	s_add_i32 s2, s0, 0
	s_inst_prefetch 0x1
	.p2align	6
.LBB4_19:                               ; =>This Inner Loop Header: Depth=1
	global_load_dword v4, v[0:1], off
	v_mov_b32_e32 v2, s2
	s_add_i32 s1, s1, -1
	s_add_i32 s2, s2, 8
	s_cmp_lg_u32 s1, 0
	ds_read_b64 v[2:3], v2
	s_waitcnt lgkmcnt(0)
	v_sub_f32_e32 v2, v2, v6
	v_mul_f32_e32 v9, 0x3fb8aa3b, v2
	v_cmp_ngt_f32_e32 vcc_lo, 0xc2ce8ed0, v2
	v_cmp_nlt_f32_e64 s0, 0x42b17218, v2
	v_fma_f32 v10, 0x3fb8aa3b, v2, -v9
	v_rndne_f32_e32 v11, v9
	v_fmac_f32_e32 v10, 0x32a5705f, v2
	v_sub_f32_e32 v9, v9, v11
	v_add_f32_e32 v9, v9, v10
	v_cvt_i32_f32_e32 v10, v11
	v_exp_f32_e32 v9, v9
	v_ldexp_f32 v9, v9, v10
	v_cndmask_b32_e32 v9, 0, v9, vcc_lo
	v_add_co_u32 v0, vcc_lo, 0x1c0, v0
	v_add_co_ci_u32_e64 v1, null, 0, v1, vcc_lo
	v_cndmask_b32_e64 v2, 0x7f800000, v9, s0
	v_fmac_f32_e32 v8, v2, v3
	s_waitcnt vmcnt(0)
	v_fmac_f32_e32 v7, v4, v2
	s_cbranch_scc1 .LBB4_19
.LBB4_20:
	s_inst_prefetch 0x2
	v_div_scale_f32 v0, null, v8, v8, v7
	v_rcp_f32_e32 v1, v0
	v_fma_f32 v2, -v0, v1, 1.0
	v_fmac_f32_e32 v1, v2, v1
	v_div_scale_f32 v2, vcc_lo, v7, v8, v7
	v_mul_f32_e32 v3, v2, v1
	v_fma_f32 v4, -v0, v3, v2
	v_fmac_f32_e32 v3, v4, v1
	v_fma_f32 v0, -v0, v3, v2
	v_div_fmas_f32 v0, v0, v1, v3
	v_div_fixup_f32 v0, v0, v8, v7
.LBB4_21:
	s_mul_i32 s0, s8, 0x70
	s_ashr_i32 s1, s0, 31
	s_lshl_b64 s[0:1], s[0:1], 2
	s_add_u32 s0, s10, s0
	s_addc_u32 s1, s11, s1
	global_store_dword v5, v0, s[0:1]
	s_endpgm
	.section	.rodata,"a",@progbits
	.p2align	6, 0x0
	.amdhsa_kernel _ZL26flash_attn_combine_resultsILi112EEvPKfPK15HIP_vector_typeIfLj2EEPfi
		.amdhsa_group_segment_fixed_size 0
		.amdhsa_private_segment_fixed_size 0
		.amdhsa_kernarg_size 288
		.amdhsa_user_sgpr_count 6
		.amdhsa_user_sgpr_private_segment_buffer 1
		.amdhsa_user_sgpr_dispatch_ptr 0
		.amdhsa_user_sgpr_queue_ptr 0
		.amdhsa_user_sgpr_kernarg_segment_ptr 1
		.amdhsa_user_sgpr_dispatch_id 0
		.amdhsa_user_sgpr_flat_scratch_init 0
		.amdhsa_user_sgpr_private_segment_size 0
		.amdhsa_wavefront_size32 1
		.amdhsa_uses_dynamic_stack 0
		.amdhsa_system_sgpr_private_segment_wavefront_offset 0
		.amdhsa_system_sgpr_workgroup_id_x 1
		.amdhsa_system_sgpr_workgroup_id_y 1
		.amdhsa_system_sgpr_workgroup_id_z 1
		.amdhsa_system_sgpr_workgroup_info 0
		.amdhsa_system_vgpr_workitem_id 0
		.amdhsa_next_free_vgpr 52
		.amdhsa_next_free_sgpr 19
		.amdhsa_reserve_vcc 1
		.amdhsa_reserve_flat_scratch 0
		.amdhsa_float_round_mode_32 0
		.amdhsa_float_round_mode_16_64 0
		.amdhsa_float_denorm_mode_32 3
		.amdhsa_float_denorm_mode_16_64 3
		.amdhsa_dx10_clamp 1
		.amdhsa_ieee_mode 1
		.amdhsa_fp16_overflow 0
		.amdhsa_workgroup_processor_mode 1
		.amdhsa_memory_ordered 1
		.amdhsa_forward_progress 1
		.amdhsa_shared_vgpr_count 0
		.amdhsa_exception_fp_ieee_invalid_op 0
		.amdhsa_exception_fp_denorm_src 0
		.amdhsa_exception_fp_ieee_div_zero 0
		.amdhsa_exception_fp_ieee_overflow 0
		.amdhsa_exception_fp_ieee_underflow 0
		.amdhsa_exception_fp_ieee_inexact 0
		.amdhsa_exception_int_div_zero 0
	.end_amdhsa_kernel
	.section	.text._ZL26flash_attn_combine_resultsILi112EEvPKfPK15HIP_vector_typeIfLj2EEPfi,"axG",@progbits,_ZL26flash_attn_combine_resultsILi112EEvPKfPK15HIP_vector_typeIfLj2EEPfi,comdat
.Lfunc_end4:
	.size	_ZL26flash_attn_combine_resultsILi112EEvPKfPK15HIP_vector_typeIfLj2EEPfi, .Lfunc_end4-_ZL26flash_attn_combine_resultsILi112EEvPKfPK15HIP_vector_typeIfLj2EEPfi
                                        ; -- End function
	.set _ZL26flash_attn_combine_resultsILi112EEvPKfPK15HIP_vector_typeIfLj2EEPfi.num_vgpr, 52
	.set _ZL26flash_attn_combine_resultsILi112EEvPKfPK15HIP_vector_typeIfLj2EEPfi.num_agpr, 0
	.set _ZL26flash_attn_combine_resultsILi112EEvPKfPK15HIP_vector_typeIfLj2EEPfi.numbered_sgpr, 19
	.set _ZL26flash_attn_combine_resultsILi112EEvPKfPK15HIP_vector_typeIfLj2EEPfi.num_named_barrier, 0
	.set _ZL26flash_attn_combine_resultsILi112EEvPKfPK15HIP_vector_typeIfLj2EEPfi.private_seg_size, 0
	.set _ZL26flash_attn_combine_resultsILi112EEvPKfPK15HIP_vector_typeIfLj2EEPfi.uses_vcc, 1
	.set _ZL26flash_attn_combine_resultsILi112EEvPKfPK15HIP_vector_typeIfLj2EEPfi.uses_flat_scratch, 0
	.set _ZL26flash_attn_combine_resultsILi112EEvPKfPK15HIP_vector_typeIfLj2EEPfi.has_dyn_sized_stack, 0
	.set _ZL26flash_attn_combine_resultsILi112EEvPKfPK15HIP_vector_typeIfLj2EEPfi.has_recursion, 0
	.set _ZL26flash_attn_combine_resultsILi112EEvPKfPK15HIP_vector_typeIfLj2EEPfi.has_indirect_call, 0
	.section	.AMDGPU.csdata,"",@progbits
; Kernel info:
; codeLenInByte = 2264
; TotalNumSgprs: 21
; NumVgprs: 52
; ScratchSize: 0
; MemoryBound: 0
; FloatMode: 240
; IeeeMode: 1
; LDSByteSize: 0 bytes/workgroup (compile time only)
; SGPRBlocks: 0
; VGPRBlocks: 6
; NumSGPRsForWavesPerEU: 21
; NumVGPRsForWavesPerEU: 52
; Occupancy: 16
; WaveLimiterHint : 0
; COMPUTE_PGM_RSRC2:SCRATCH_EN: 0
; COMPUTE_PGM_RSRC2:USER_SGPR: 6
; COMPUTE_PGM_RSRC2:TRAP_HANDLER: 0
; COMPUTE_PGM_RSRC2:TGID_X_EN: 1
; COMPUTE_PGM_RSRC2:TGID_Y_EN: 1
; COMPUTE_PGM_RSRC2:TGID_Z_EN: 1
; COMPUTE_PGM_RSRC2:TIDIG_COMP_CNT: 0
	.section	.text._ZL15flash_attn_tileILi112ELi112ELi4ELi8ELb0EEvPKcS1_S1_S1_S1_PKiPfP15HIP_vector_typeIfLj2EEffffjfiS5_IjLj3EEiiiiiiiiiiiliiliiiiil,"axG",@progbits,_ZL15flash_attn_tileILi112ELi112ELi4ELi8ELb0EEvPKcS1_S1_S1_S1_PKiPfP15HIP_vector_typeIfLj2EEffffjfiS5_IjLj3EEiiiiiiiiiiiliiliiiiil,comdat
	.globl	_ZL15flash_attn_tileILi112ELi112ELi4ELi8ELb0EEvPKcS1_S1_S1_S1_PKiPfP15HIP_vector_typeIfLj2EEffffjfiS5_IjLj3EEiiiiiiiiiiiliiliiiiil ; -- Begin function _ZL15flash_attn_tileILi112ELi112ELi4ELi8ELb0EEvPKcS1_S1_S1_S1_PKiPfP15HIP_vector_typeIfLj2EEffffjfiS5_IjLj3EEiiiiiiiiiiiliiliiiiil
	.p2align	8
	.type	_ZL15flash_attn_tileILi112ELi112ELi4ELi8ELb0EEvPKcS1_S1_S1_S1_PKiPfP15HIP_vector_typeIfLj2EEffffjfiS5_IjLj3EEiiiiiiiiiiiliiliiiiil,@function
_ZL15flash_attn_tileILi112ELi112ELi4ELi8ELb0EEvPKcS1_S1_S1_S1_PKiPfP15HIP_vector_typeIfLj2EEffffjfiS5_IjLj3EEiiiiiiiiiiiliiliiiiil: ; @_ZL15flash_attn_tileILi112ELi112ELi4ELi8ELb0EEvPKcS1_S1_S1_S1_PKiPfP15HIP_vector_typeIfLj2EEffffjfiS5_IjLj3EEiiiiiiiiiiiliiliiiiil
; %bb.0:
	s_clause 0x1
	s_load_dwordx4 s[28:31], s[4:5], 0x5c
	s_load_dwordx2 s[34:35], s[4:5], 0x80
	s_mov_b64 s[36:37], 0
	s_waitcnt lgkmcnt(0)
	s_ashr_i32 s0, s31, 31
	s_lshr_b32 s0, s0, 29
	s_add_i32 s0, s31, s0
	s_ashr_i32 s0, s0, 3
	v_cvt_f32_u32_e32 v2, s0
	s_sub_i32 s2, 0, s0
	v_rcp_iflag_f32_e32 v2, v2
	v_mul_f32_e32 v2, 0x4f7ffffe, v2
	v_cvt_u32_f32_e32 v2, v2
	v_readfirstlane_b32 s1, v2
	s_mul_i32 s2, s2, s1
	s_mul_hi_u32 s2, s1, s2
	s_add_i32 s1, s1, s2
	s_mul_hi_u32 s1, s8, s1
	s_mul_i32 s2, s1, s0
	s_add_i32 s3, s1, 1
	s_sub_i32 s2, s8, s2
	s_sub_i32 s9, s2, s0
	s_cmp_ge_u32 s2, s0
	s_cselect_b32 s1, s3, s1
	s_cselect_b32 s2, s9, s2
	s_add_i32 s3, s1, 1
	s_cmp_ge_u32 s2, s0
	s_cselect_b32 s33, s3, s1
	s_abs_i32 s0, s35
	s_abs_i32 s3, s31
	v_cvt_f32_u32_e32 v2, s0
	s_sub_i32 s2, 0, s0
	s_lshl_b32 s8, s8, 3
	v_rcp_iflag_f32_e32 v2, v2
	v_mul_f32_e32 v2, 0x4f7ffffe, v2
	v_cvt_u32_f32_e32 v2, v2
	v_readfirstlane_b32 s1, v2
	s_mul_i32 s2, s2, s1
	s_mul_hi_u32 s2, s1, s2
	s_add_i32 s1, s1, s2
	s_xor_b32 s2, s31, s35
	s_mul_hi_u32 s1, s3, s1
	s_ashr_i32 s2, s2, 31
	s_mul_i32 s9, s1, s0
	s_sub_i32 s3, s3, s9
	s_add_i32 s9, s1, 1
	s_sub_i32 s10, s3, s0
	s_cmp_ge_u32 s3, s0
	s_cselect_b32 s1, s9, s1
	s_cselect_b32 s3, s10, s3
	s_add_i32 s9, s1, 1
	s_cmp_ge_u32 s3, s0
	s_cselect_b32 s0, s9, s1
	s_mul_i32 s9, s33, s31
	s_xor_b32 s0, s0, s2
	s_sub_i32 s3, s0, s2
	s_clause 0x1
	s_load_dwordx16 s[12:27], s[4:5], 0x0
	s_load_dwordx2 s[0:1], s[4:5], 0xb8
	s_abs_i32 s2, s3
	v_cvt_f32_u32_e32 v2, s2
	v_rcp_iflag_f32_e32 v2, v2
	v_mul_f32_e32 v2, 0x4f7ffffe, v2
	s_waitcnt lgkmcnt(0)
	s_cmp_eq_u64 s[18:19], 0
	v_cvt_u32_f32_e32 v2, v2
	v_readfirstlane_b32 s35, v2
	s_cbranch_scc1 .LBB5_2
; %bb.1:
	s_abs_i32 s0, s0
	s_abs_i32 s36, s33
	v_cvt_f32_u32_e32 v2, s0
	s_sub_i32 s11, 0, s0
	v_rcp_iflag_f32_e32 v2, v2
	v_mul_f32_e32 v2, 0x4f7ffffe, v2
	v_cvt_u32_f32_e32 v2, v2
	v_readfirstlane_b32 s10, v2
	s_mul_i32 s11, s11, s10
	s_mul_hi_u32 s11, s10, s11
	s_add_i32 s10, s10, s11
	s_mul_hi_u32 s37, s36, s10
	s_load_dwordx2 s[10:11], s[4:5], 0xc8
	s_mul_i32 s37, s37, s0
	s_sub_i32 s36, s36, s37
	s_ashr_i32 s37, s33, 31
	s_sub_i32 s38, s36, s0
	s_cmp_ge_u32 s36, s0
	s_cselect_b32 s36, s38, s36
	s_sub_i32 s38, s36, s0
	s_cmp_ge_u32 s36, s0
	s_cselect_b32 s0, s38, s36
	s_xor_b32 s0, s0, s37
	s_sub_i32 s0, s0, s37
	s_ashr_i32 s36, s0, 31
	s_waitcnt lgkmcnt(0)
	s_mul_hi_u32 s37, s10, s0
	s_mul_i32 s36, s10, s36
	s_mul_i32 s11, s11, s0
	s_add_i32 s36, s37, s36
	s_mul_i32 s0, s10, s0
	s_add_i32 s10, s36, s11
	s_add_u32 s36, s18, s0
	s_addc_u32 s37, s19, s10
.LBB5_2:
	v_lshrrev_b32_e32 v2, 1, v1
	v_cmp_gt_u32_e64 s0, 28, v0
	v_lshlrev_b32_e32 v69, 2, v0
	v_lshlrev_b32_e32 v85, 3, v0
	v_lshl_add_u32 v70, s6, 2, v2
	v_mul_hi_u32 v2, s28, v70
	s_sub_i32 s28, s8, s9
	v_add_nc_u32_e32 v2, v70, v2
	v_lshrrev_b32_e32 v2, s29, v2
	v_mul_lo_u32 v3, v2, s30
	v_lshlrev_b32_e32 v2, 2, v1
	v_and_b32_e32 v84, 4, v2
	v_sub_nc_u32_e32 v3, v70, v3
	s_and_saveexec_b32 s18, s0
	s_cbranch_execz .LBB5_4
; %bb.3:
	s_load_dwordx4 s[8:11], s[4:5], 0x70
	v_or_b32_e32 v20, 1, v2
	v_or_b32_e32 v5, 3, v2
	;; [unrolled: 1-line block ×3, first 2 shown]
	v_mad_u32_u24 v21, 0x380, v1, v85
	v_and_b32_e32 v16, 5, v20
	v_and_b32_e32 v18, 7, v5
	;; [unrolled: 1-line block ×3, first 2 shown]
	v_mad_u32_u24 v20, 0xe0, v20, v85
	s_waitcnt lgkmcnt(0)
	s_mul_i32 s11, s33, s10
	s_mul_i32 s19, s28, s9
	s_ashr_i32 s29, s11, 31
	s_add_u32 s11, s12, s11
	s_addc_u32 s12, s13, s29
	s_ashr_i32 s13, s19, 31
	s_add_u32 s19, s11, s19
	s_mov_b32 s10, s8
	s_addc_u32 s12, s12, s13
	s_ashr_i32 s11, s8, 31
	s_mov_b32 s38, s9
	s_ashr_i32 s39, s9, 31
	s_lshr_b64 s[8:9], s[10:11], 2
	s_lshr_b32 s9, s11, 2
	s_lshr_b64 s[10:11], s[38:39], 2
	v_mad_u64_u32 v[4:5], null, s8, v3, 0
	v_mad_u64_u32 v[6:7], null, s10, v16, 0
	;; [unrolled: 1-line block ×4, first 2 shown]
	s_lshr_b32 s11, s39, 2
	v_mad_u64_u32 v[12:13], null, s10, v84, 0
	v_mad_u64_u32 v[14:15], null, s9, v3, v[5:6]
	v_mov_b32_e32 v5, v11
	v_mad_u64_u32 v[15:16], null, s11, v16, v[7:8]
	v_mad_u64_u32 v[16:17], null, s11, v17, v[9:10]
	;; [unrolled: 1-line block ×3, first 2 shown]
	v_mov_b32_e32 v5, v14
	v_mul_lo_u32 v19, s11, v84
	v_lshlrev_b32_e32 v14, 2, v69
	v_mov_b32_e32 v7, v15
	v_mov_b32_e32 v9, v16
	v_lshlrev_b64 v[4:5], 2, v[4:5]
	v_mov_b32_e32 v11, v17
	s_load_dword s8, s[4:5], 0x40
	v_lshlrev_b64 v[6:7], 2, v[6:7]
	v_or_b32_e32 v13, v13, v19
	v_lshlrev_b64 v[8:9], 2, v[8:9]
	v_add_co_u32 v4, vcc_lo, s19, v4
	v_add_co_ci_u32_e64 v5, null, s12, v5, vcc_lo
	v_lshlrev_b64 v[12:13], 2, v[12:13]
	v_add_co_u32 v16, vcc_lo, v4, v14
	v_add_co_ci_u32_e64 v17, null, 0, v5, vcc_lo
	;; [unrolled: 3-line block ×3, first 2 shown]
	v_add_co_u32 v10, vcc_lo, v16, v6
	v_add_co_ci_u32_e64 v11, null, v17, v7, vcc_lo
	v_add_co_u32 v12, vcc_lo, v16, v8
	v_add_co_ci_u32_e64 v13, null, v17, v9, vcc_lo
	;; [unrolled: 2-line block ×3, first 2 shown]
	s_clause 0x3
	global_load_dwordx4 v[4:7], v[4:5], off
	global_load_dwordx4 v[8:11], v[10:11], off
	global_load_dwordx4 v[12:15], v[12:13], off
	global_load_dwordx4 v[16:19], v[16:17], off
	s_waitcnt vmcnt(3) lgkmcnt(0)
	v_fma_mixlo_f16 v4, s8, v4, 0
	v_fma_mixlo_f16 v5, s8, v5, 0
	;; [unrolled: 1-line block ×4, first 2 shown]
	s_waitcnt vmcnt(2)
	v_fma_mixlo_f16 v8, s8, v8, 0
	v_fma_mixlo_f16 v9, s8, v9, 0
	s_waitcnt vmcnt(1)
	v_fma_mixlo_f16 v12, s8, v12, 0
	v_fma_mixlo_f16 v13, s8, v13, 0
	;; [unrolled: 1-line block ×4, first 2 shown]
	s_waitcnt vmcnt(0)
	v_fma_mixlo_f16 v16, s8, v16, 0
	v_fma_mixlo_f16 v17, s8, v17, 0
	v_lshlrev_b32_e32 v5, 16, v5
	v_and_b32_e32 v4, 0xffff, v4
	v_fma_mixlo_f16 v14, s8, v14, 0
	v_fma_mixlo_f16 v15, s8, v15, 0
	v_lshlrev_b32_e32 v7, 16, v7
	v_and_b32_e32 v6, 0xffff, v6
	v_lshlrev_b32_e32 v9, 16, v9
	v_and_b32_e32 v8, 0xffff, v8
	;; [unrolled: 2-line block ×3, first 2 shown]
	v_fma_mixlo_f16 v18, s8, v18, 0
	v_fma_mixlo_f16 v19, s8, v19, 0
	v_lshlrev_b32_e32 v11, 16, v11
	v_and_b32_e32 v10, 0xffff, v10
	v_lshlrev_b32_e32 v17, 16, v17
	v_and_b32_e32 v16, 0xffff, v16
	v_or_b32_e32 v4, v5, v4
	v_lshlrev_b32_e32 v15, 16, v15
	v_and_b32_e32 v14, 0xffff, v14
	v_or3_b32 v5, v7, v6, 0
	v_or_b32_e32 v6, v9, v8
	v_or_b32_e32 v8, v13, v12
	v_lshlrev_b32_e32 v19, 16, v19
	v_and_b32_e32 v18, 0xffff, v18
	v_or3_b32 v7, v11, v10, 0
	v_or_b32_e32 v10, v17, v16
	v_or3_b32 v4, 0, 0, v4
	v_or3_b32 v9, v15, v14, 0
	;; [unrolled: 1-line block ×6, first 2 shown]
	ds_write_b64 v21, v[4:5]
	ds_write2_b64 v20, v[6:7], v[8:9] offset1:28
	ds_write_b64 v20, v[10:11] offset:448
.LBB5_4:
	s_or_b32 exec_lo, exec_lo, s18
	s_cmp_eq_u64 s[22:23], 0
	s_waitcnt lgkmcnt(0)
	s_barrier
	buffer_gl0_inv
	s_cbranch_scc1 .LBB5_6
; %bb.5:
	s_load_dword s8, s[4:5], 0xd0
	s_mov_b32 s9, 0
	s_waitcnt lgkmcnt(0)
	s_mul_i32 s8, s8, s33
	s_add_i32 s8, s8, s6
	s_lshl_b64 s[8:9], s[8:9], 2
	s_add_u32 s8, s22, s8
	s_addc_u32 s9, s23, s9
	s_load_dword s34, s[8:9], 0x0
.LBB5_6:
	v_mbcnt_lo_u32_b32 v88, -1, 0
	s_lshl_b32 s22, s7, 5
	s_waitcnt lgkmcnt(0)
	s_cmp_lt_i32 s22, s34
	s_cbranch_scc1 .LBB5_9
; %bb.7:
	v_mbcnt_lo_u32_b32 v5, -1, 0
	v_mov_b32_e32 v91, 32
	v_xor_b32_e32 v113, 16, v5
	v_xor_b32_e32 v114, 8, v5
	;; [unrolled: 1-line block ×5, first 2 shown]
	s_cbranch_execz .LBB5_10
; %bb.8:
	v_mov_b32_e32 v94, 0
	v_mov_b32_e32 v118, 0
	;; [unrolled: 1-line block ×16, first 2 shown]
	s_branch .LBB5_38
.LBB5_9:
                                        ; implicit-def: $vgpr5
                                        ; implicit-def: $vgpr91
                                        ; implicit-def: $vgpr113
                                        ; implicit-def: $vgpr114
                                        ; implicit-def: $vgpr115
                                        ; implicit-def: $vgpr116
                                        ; implicit-def: $vgpr117
.LBB5_10:
	s_clause 0x1
	s_load_dwordx4 s[8:11], s[4:5], 0x98
	s_load_dwordx2 s[12:13], s[4:5], 0x8c
	s_sub_i32 s6, 0, s2
	s_abs_i32 s38, s28
	s_mul_i32 s6, s6, s35
	s_ashr_i32 s39, s28, 31
	s_mul_hi_u32 s6, s35, s6
	s_ashr_i32 s3, s3, 31
	s_add_i32 s35, s35, s6
	s_ashr_i32 s6, s1, 1
	s_mul_hi_u32 s1, s38, s35
	s_ashr_i32 s35, s33, 31
	s_load_dwordx2 s[18:19], s[4:5], 0xa8
	s_mul_i32 s40, s1, s2
	v_lshrrev_b32_e32 v4, 1, v0
	v_lshrrev_b32_e32 v5, 2, v0
	v_and_b32_e32 v14, 4, v69
	v_lshrrev_b32_e32 v16, 3, v0
	v_and_b32_e32 v15, 12, v69
	v_lshl_add_u32 v4, v1, 4, v4
	s_waitcnt lgkmcnt(0)
	s_ashr_i32 s23, s10, 2
	s_ashr_i32 s29, s12, 2
	s_mul_hi_u32 s10, s8, s33
	s_mul_i32 s12, s8, s35
	s_mul_i32 s9, s9, s33
	s_add_i32 s10, s10, s12
	s_mul_i32 s8, s8, s33
	s_add_i32 s10, s10, s9
	s_add_u32 s8, s14, s8
	s_addc_u32 s9, s15, s10
	s_sub_i32 s10, s38, s40
	s_xor_b32 s3, s39, s3
	s_add_i32 s12, s1, 1
	s_sub_i32 s14, s10, s2
	s_cmp_ge_u32 s10, s2
	v_lshl_add_u32 v6, v1, 5, v0
	s_cselect_b32 s1, s12, s1
	s_cselect_b32 s10, s14, s10
	s_add_i32 s12, s1, 1
	s_cmp_ge_u32 s10, s2
	v_lshl_add_u32 v5, v1, 3, v5
	s_cselect_b32 s1, s12, s1
	v_lshlrev_b32_e32 v12, 2, v14
	s_xor_b32 s1, s1, s3
	v_mad_u64_u32 v[71:72], null, v3, s6, v[0:1]
	s_sub_i32 s1, s1, s3
	v_add_nc_u32_e32 v2, v16, v2
	s_mul_i32 s12, s1, s13
	v_mul_u32_u24_e32 v3, 0xe0, v4
	s_mul_hi_u32 s2, s18, s33
	s_mul_i32 s10, s18, s35
	s_ashr_i32 s14, s12, 31
	s_add_u32 s35, s8, s12
	s_mul_i32 s3, s19, s33
	s_addc_u32 s38, s9, s14
	s_add_i32 s2, s2, s10
	v_lshlrev_b32_e32 v13, 2, v15
	s_mul_i32 s13, s18, s33
	s_mul_i32 s1, s1, s11
	s_add_i32 s2, s2, s3
	v_cmp_gt_u32_e32 vcc_lo, 32, v6
	v_mul_lo_u32 v6, s29, v6
	v_mul_u32_u24_e32 v96, 0x380, v1
	v_mul_lo_u32 v8, s29, v4
	v_lshl_or_b32 v9, v4, 7, v12
	v_mul_lo_u32 v10, s29, v5
	v_lshl_add_u32 v101, v1, 8, 0x2c40
	v_or_b32_e32 v16, v3, v12
	v_mul_lo_u32 v1, s23, v4
	v_mul_lo_u32 v3, s23, v5
	;; [unrolled: 1-line block ×3, first 2 shown]
	s_add_u32 s3, s16, s13
	s_addc_u32 s9, s17, s2
	s_ashr_i32 s10, s1, 31
	s_add_u32 s39, s3, s1
	v_cmp_gt_u32_e64 s1, 32, v4
	v_lshlrev_b32_e32 v7, 7, v0
	v_lshl_or_b32 v11, v5, 7, v13
	v_cmp_gt_u32_e64 s3, 16, v4
	v_mul_u32_u24_e32 v4, 0xe0, v5
	v_and_b32_e32 v102, 28, v69
	v_cmp_gt_u32_e64 s2, 32, v5
	v_add_nc_u32_e32 v95, 0x1c00, v7
	v_add_nc_u32_e32 v97, 0x1c60, v7
	v_ashrrev_i32_e32 v7, 31, v6
	v_add_nc_u32_e32 v98, 0x1c40, v9
	v_ashrrev_i32_e32 v9, 31, v8
	v_add_nc_u32_e32 v99, 0x1c00, v11
	v_ashrrev_i32_e32 v11, 31, v10
	v_cmp_gt_u32_e64 s6, 16, v5
	v_cmp_gt_u32_e64 s8, 16, v2
	v_mul_u32_u24_e32 v5, 0xe0, v2
	v_ashrrev_i32_e32 v2, 31, v1
	v_add3_u32 v104, v4, v13, 0x1c80
	v_ashrrev_i32_e32 v4, 31, v3
	v_ashrrev_i32_e32 v13, 31, v12
	v_lshlrev_b32_e32 v17, 2, v102
	v_lshlrev_b64 v[72:73], 2, v[6:7]
	v_lshlrev_b64 v[74:75], 2, v[8:9]
	;; [unrolled: 1-line block ×6, first 2 shown]
	v_mov_b32_e32 v86, 0
	v_add_nc_u32_e32 v103, 0x1cc0, v16
	v_add3_u32 v105, v5, v17, 0x1c00
	v_mov_b32_e32 v5, 0xfeffffff
	v_mov_b32_e32 v91, 32
	v_lshlrev_b32_e32 v106, 2, v14
	v_lshlrev_b32_e32 v107, 2, v15
	v_mov_b32_e32 v108, 0x10001
	v_mov_b32_e32 v87, 0
	;; [unrolled: 1-line block ×15, first 2 shown]
	s_addc_u32 s40, s9, s10
	s_add_u32 s18, s4, 0xd0
	s_addc_u32 s19, s5, 0
.LBB5_11:                               ; =>This Inner Loop Header: Depth=1
	s_mul_hi_i32 s11, s22, s29
	s_mul_i32 s10, s22, s29
	s_lshl_b64 s[10:11], s[10:11], 2
	s_add_u32 s10, s35, s10
	s_addc_u32 s11, s38, s11
	s_and_saveexec_b32 s12, vcc_lo
	s_cbranch_execnz .LBB5_29
; %bb.12:                               ;   in Loop: Header=BB5_11 Depth=1
	s_or_b32 exec_lo, exec_lo, s12
	s_and_saveexec_b32 s12, s1
	s_cbranch_execnz .LBB5_30
.LBB5_13:                               ;   in Loop: Header=BB5_11 Depth=1
	s_or_b32 exec_lo, exec_lo, s12
	s_and_saveexec_b32 s12, s2
	s_cbranch_execz .LBB5_15
.LBB5_14:                               ;   in Loop: Header=BB5_11 Depth=1
	v_add_co_u32 v1, s9, s10, v76
	v_add_co_ci_u32_e64 v2, null, s11, v77, s9
	v_add_co_u32 v1, s9, v1, v107
	v_add_co_ci_u32_e64 v2, null, 0, v2, s9
	global_load_dwordx4 v[1:4], v[1:2], off
	s_waitcnt vmcnt(0)
	ds_write_b128 v99, v[1:4]
.LBB5_15:                               ;   in Loop: Header=BB5_11 Depth=1
	s_or_b32 exec_lo, exec_lo, s12
	s_waitcnt lgkmcnt(0)
	s_barrier
	buffer_gl0_inv
	ds_read_b128 v[9:12], v95
	ds_read_b128 v[13:16], v96
	ds_read_b128 v[17:20], v96 offset:224
	ds_read_b128 v[21:24], v96 offset:448
	;; [unrolled: 1-line block ×3, first 2 shown]
	v_mov_b32_e32 v1, 0
	v_mov_b32_e32 v2, 0
	;; [unrolled: 1-line block ×4, first 2 shown]
	s_waitcnt lgkmcnt(3)
	;;#ASMSTART
	v_dot2_f32_f16 v1, v9, v13, v1
	;;#ASMEND
	;;#ASMSTART
	v_dot2_f32_f16 v1, v10, v14, v1
	;;#ASMEND
	;;#ASMSTART
	v_dot2_f32_f16 v1, v11, v15, v1
	;;#ASMEND
	;;#ASMSTART
	v_dot2_f32_f16 v1, v12, v16, v1
	;;#ASMEND
	s_waitcnt lgkmcnt(2)
	;;#ASMSTART
	v_dot2_f32_f16 v2, v9, v17, v2
	;;#ASMEND
	;;#ASMSTART
	v_dot2_f32_f16 v2, v10, v18, v2
	;;#ASMEND
	;;#ASMSTART
	v_dot2_f32_f16 v2, v11, v19, v2
	;;#ASMEND
	;;#ASMSTART
	v_dot2_f32_f16 v2, v12, v20, v2
	;;#ASMEND
	s_waitcnt lgkmcnt(1)
	;;#ASMSTART
	v_dot2_f32_f16 v3, v9, v21, v3
	;;#ASMEND
	;;#ASMSTART
	v_dot2_f32_f16 v3, v10, v22, v3
	;;#ASMEND
	;;#ASMSTART
	v_dot2_f32_f16 v3, v11, v23, v3
	;;#ASMEND
	;;#ASMSTART
	v_dot2_f32_f16 v3, v12, v24, v3
	;;#ASMEND
	s_waitcnt lgkmcnt(0)
	;;#ASMSTART
	v_dot2_f32_f16 v4, v9, v25, v4
	;;#ASMEND
	;;#ASMSTART
	v_dot2_f32_f16 v4, v10, v26, v4
	;;#ASMEND
	;;#ASMSTART
	v_dot2_f32_f16 v4, v11, v27, v4
	;;#ASMEND
	;;#ASMSTART
	v_dot2_f32_f16 v4, v12, v28, v4
	;;#ASMEND
	ds_read_b128 v[9:12], v95 offset:16
	ds_read_b128 v[13:16], v96 offset:16
	ds_read_b128 v[17:20], v96 offset:240
	ds_read_b128 v[21:24], v96 offset:464
	ds_read_b128 v[25:28], v96 offset:688
	s_waitcnt lgkmcnt(3)
	;;#ASMSTART
	v_dot2_f32_f16 v1, v9, v13, v1
	;;#ASMEND
	;;#ASMSTART
	v_dot2_f32_f16 v1, v10, v14, v1
	;;#ASMEND
	;;#ASMSTART
	v_dot2_f32_f16 v1, v11, v15, v1
	;;#ASMEND
	;;#ASMSTART
	v_dot2_f32_f16 v1, v12, v16, v1
	;;#ASMEND
	s_waitcnt lgkmcnt(2)
	;;#ASMSTART
	v_dot2_f32_f16 v2, v9, v17, v2
	;;#ASMEND
	;;#ASMSTART
	v_dot2_f32_f16 v2, v10, v18, v2
	;;#ASMEND
	;;#ASMSTART
	v_dot2_f32_f16 v2, v11, v19, v2
	;;#ASMEND
	;;#ASMSTART
	v_dot2_f32_f16 v2, v12, v20, v2
	;;#ASMEND
	s_waitcnt lgkmcnt(1)
	;;#ASMSTART
	v_dot2_f32_f16 v3, v9, v21, v3
	;;#ASMEND
	;;#ASMSTART
	v_dot2_f32_f16 v3, v10, v22, v3
	;;#ASMEND
	;;#ASMSTART
	v_dot2_f32_f16 v3, v11, v23, v3
	;;#ASMEND
	;;#ASMSTART
	v_dot2_f32_f16 v3, v12, v24, v3
	;;#ASMEND
	s_waitcnt lgkmcnt(0)
	;;#ASMSTART
	v_dot2_f32_f16 v4, v9, v25, v4
	;;#ASMEND
	;;#ASMSTART
	v_dot2_f32_f16 v4, v10, v26, v4
	;;#ASMEND
	;;#ASMSTART
	v_dot2_f32_f16 v4, v11, v27, v4
	;;#ASMEND
	;;#ASMSTART
	v_dot2_f32_f16 v4, v12, v28, v4
	;;#ASMEND
	ds_read_b128 v[9:12], v95 offset:32
	ds_read_b128 v[13:16], v96 offset:32
	ds_read_b128 v[17:20], v96 offset:256
	ds_read_b128 v[21:24], v96 offset:480
	ds_read_b128 v[25:28], v96 offset:704
	s_waitcnt lgkmcnt(3)
	;;#ASMSTART
	v_dot2_f32_f16 v1, v9, v13, v1
	;;#ASMEND
	;;#ASMSTART
	v_dot2_f32_f16 v1, v10, v14, v1
	;;#ASMEND
	;;#ASMSTART
	v_dot2_f32_f16 v1, v11, v15, v1
	;;#ASMEND
	;;#ASMSTART
	v_dot2_f32_f16 v1, v12, v16, v1
	;;#ASMEND
	s_waitcnt lgkmcnt(2)
	;;#ASMSTART
	v_dot2_f32_f16 v2, v9, v17, v2
	;;#ASMEND
	;;#ASMSTART
	v_dot2_f32_f16 v2, v10, v18, v2
	;;#ASMEND
	;;#ASMSTART
	v_dot2_f32_f16 v2, v11, v19, v2
	;;#ASMEND
	;;#ASMSTART
	v_dot2_f32_f16 v2, v12, v20, v2
	;;#ASMEND
	s_waitcnt lgkmcnt(1)
	;;#ASMSTART
	v_dot2_f32_f16 v3, v9, v21, v3
	;;#ASMEND
	;;#ASMSTART
	v_dot2_f32_f16 v3, v10, v22, v3
	;;#ASMEND
	;;#ASMSTART
	v_dot2_f32_f16 v3, v11, v23, v3
	;;#ASMEND
	;;#ASMSTART
	v_dot2_f32_f16 v3, v12, v24, v3
	;;#ASMEND
	s_waitcnt lgkmcnt(0)
	;;#ASMSTART
	v_dot2_f32_f16 v4, v9, v25, v4
	;;#ASMEND
	;;#ASMSTART
	v_dot2_f32_f16 v4, v10, v26, v4
	;;#ASMEND
	;;#ASMSTART
	v_dot2_f32_f16 v4, v11, v27, v4
	;;#ASMEND
	;;#ASMSTART
	v_dot2_f32_f16 v4, v12, v28, v4
	;;#ASMEND
	ds_read_b128 v[9:12], v95 offset:48
	ds_read_b128 v[13:16], v96 offset:48
	ds_read_b128 v[17:20], v96 offset:272
	ds_read_b128 v[21:24], v96 offset:496
	ds_read_b128 v[25:28], v96 offset:720
	s_waitcnt lgkmcnt(3)
	;;#ASMSTART
	v_dot2_f32_f16 v1, v9, v13, v1
	;;#ASMEND
	;;#ASMSTART
	v_dot2_f32_f16 v1, v10, v14, v1
	;;#ASMEND
	;;#ASMSTART
	v_dot2_f32_f16 v1, v11, v15, v1
	;;#ASMEND
	;;#ASMSTART
	v_dot2_f32_f16 v1, v12, v16, v1
	;;#ASMEND
	s_waitcnt lgkmcnt(2)
	;;#ASMSTART
	v_dot2_f32_f16 v2, v9, v17, v2
	;;#ASMEND
	;;#ASMSTART
	v_dot2_f32_f16 v2, v10, v18, v2
	;;#ASMEND
	;;#ASMSTART
	v_dot2_f32_f16 v2, v11, v19, v2
	;;#ASMEND
	;;#ASMSTART
	v_dot2_f32_f16 v2, v12, v20, v2
	;;#ASMEND
	s_waitcnt lgkmcnt(1)
	;;#ASMSTART
	v_dot2_f32_f16 v3, v9, v21, v3
	;;#ASMEND
	;;#ASMSTART
	v_dot2_f32_f16 v3, v10, v22, v3
	;;#ASMEND
	;;#ASMSTART
	v_dot2_f32_f16 v3, v11, v23, v3
	;;#ASMEND
	;;#ASMSTART
	v_dot2_f32_f16 v3, v12, v24, v3
	;;#ASMEND
	s_waitcnt lgkmcnt(0)
	;;#ASMSTART
	v_dot2_f32_f16 v4, v9, v25, v4
	;;#ASMEND
	;;#ASMSTART
	v_dot2_f32_f16 v4, v10, v26, v4
	;;#ASMEND
	;;#ASMSTART
	v_dot2_f32_f16 v4, v11, v27, v4
	;;#ASMEND
	;;#ASMSTART
	v_dot2_f32_f16 v4, v12, v28, v4
	;;#ASMEND
	ds_read_b128 v[9:12], v95 offset:64
	ds_read_b128 v[13:16], v96 offset:64
	ds_read_b128 v[17:20], v96 offset:288
	ds_read_b128 v[21:24], v96 offset:512
	ds_read_b128 v[25:28], v96 offset:736
	s_waitcnt lgkmcnt(3)
	;;#ASMSTART
	v_dot2_f32_f16 v1, v9, v13, v1
	;;#ASMEND
	;;#ASMSTART
	v_dot2_f32_f16 v1, v10, v14, v1
	;;#ASMEND
	;;#ASMSTART
	v_dot2_f32_f16 v1, v11, v15, v1
	;;#ASMEND
	;;#ASMSTART
	v_dot2_f32_f16 v1, v12, v16, v1
	;;#ASMEND
	s_waitcnt lgkmcnt(2)
	;;#ASMSTART
	v_dot2_f32_f16 v2, v9, v17, v2
	;;#ASMEND
	;;#ASMSTART
	v_dot2_f32_f16 v2, v10, v18, v2
	;;#ASMEND
	;;#ASMSTART
	v_dot2_f32_f16 v2, v11, v19, v2
	;;#ASMEND
	;;#ASMSTART
	v_dot2_f32_f16 v2, v12, v20, v2
	;;#ASMEND
	s_waitcnt lgkmcnt(1)
	;;#ASMSTART
	v_dot2_f32_f16 v3, v9, v21, v3
	;;#ASMEND
	;;#ASMSTART
	v_dot2_f32_f16 v3, v10, v22, v3
	;;#ASMEND
	;;#ASMSTART
	v_dot2_f32_f16 v3, v11, v23, v3
	;;#ASMEND
	;;#ASMSTART
	v_dot2_f32_f16 v3, v12, v24, v3
	;;#ASMEND
	s_waitcnt lgkmcnt(0)
	;;#ASMSTART
	v_dot2_f32_f16 v4, v9, v25, v4
	;;#ASMEND
	;;#ASMSTART
	v_dot2_f32_f16 v4, v10, v26, v4
	;;#ASMEND
	;;#ASMSTART
	v_dot2_f32_f16 v4, v11, v27, v4
	;;#ASMEND
	;;#ASMSTART
	v_dot2_f32_f16 v4, v12, v28, v4
	;;#ASMEND
	ds_read_b128 v[9:12], v95 offset:80
	ds_read_b128 v[13:16], v96 offset:80
	ds_read_b128 v[17:20], v96 offset:304
	ds_read_b128 v[21:24], v96 offset:528
	ds_read_b128 v[25:28], v96 offset:752
	s_waitcnt lgkmcnt(3)
	;;#ASMSTART
	v_dot2_f32_f16 v1, v9, v13, v1
	;;#ASMEND
	;;#ASMSTART
	v_dot2_f32_f16 v1, v10, v14, v1
	;;#ASMEND
	;;#ASMSTART
	v_dot2_f32_f16 v1, v11, v15, v1
	;;#ASMEND
	;;#ASMSTART
	v_dot2_f32_f16 v1, v12, v16, v1
	;;#ASMEND
	s_waitcnt lgkmcnt(2)
	;;#ASMSTART
	v_dot2_f32_f16 v2, v9, v17, v2
	;;#ASMEND
	;;#ASMSTART
	v_dot2_f32_f16 v2, v10, v18, v2
	;;#ASMEND
	;;#ASMSTART
	v_dot2_f32_f16 v2, v11, v19, v2
	;;#ASMEND
	;;#ASMSTART
	v_dot2_f32_f16 v2, v12, v20, v2
	;;#ASMEND
	s_waitcnt lgkmcnt(1)
	;;#ASMSTART
	v_dot2_f32_f16 v3, v9, v21, v3
	;;#ASMEND
	;;#ASMSTART
	v_dot2_f32_f16 v3, v10, v22, v3
	;;#ASMEND
	;;#ASMSTART
	v_dot2_f32_f16 v3, v11, v23, v3
	;;#ASMEND
	;;#ASMSTART
	v_dot2_f32_f16 v3, v12, v24, v3
	;;#ASMEND
	s_waitcnt lgkmcnt(0)
	;;#ASMSTART
	v_dot2_f32_f16 v4, v9, v25, v4
	;;#ASMEND
	;;#ASMSTART
	v_dot2_f32_f16 v4, v10, v26, v4
	;;#ASMEND
	;;#ASMSTART
	v_dot2_f32_f16 v4, v11, v27, v4
	;;#ASMEND
	;;#ASMSTART
	v_dot2_f32_f16 v4, v12, v28, v4
	;;#ASMEND
	ds_read_b128 v[9:12], v95 offset:96
	ds_read_b128 v[13:16], v96 offset:96
	ds_read_b128 v[17:20], v96 offset:320
	ds_read_b128 v[21:24], v96 offset:544
	ds_read_b128 v[25:28], v96 offset:768
	s_waitcnt lgkmcnt(3)
	;;#ASMSTART
	v_dot2_f32_f16 v1, v9, v13, v1
	;;#ASMEND
	;;#ASMSTART
	v_dot2_f32_f16 v1, v10, v14, v1
	;;#ASMEND
	;;#ASMSTART
	v_dot2_f32_f16 v1, v11, v15, v1
	;;#ASMEND
	;;#ASMSTART
	v_dot2_f32_f16 v1, v12, v16, v1
	;;#ASMEND
	s_waitcnt lgkmcnt(2)
	;;#ASMSTART
	v_dot2_f32_f16 v2, v9, v17, v2
	;;#ASMEND
	;;#ASMSTART
	v_dot2_f32_f16 v2, v10, v18, v2
	;;#ASMEND
	;;#ASMSTART
	v_dot2_f32_f16 v2, v11, v19, v2
	;;#ASMEND
	;;#ASMSTART
	v_dot2_f32_f16 v2, v12, v20, v2
	;;#ASMEND
	;; [unrolled: 13-line block ×4, first 2 shown]
	s_barrier
	buffer_gl0_inv
	s_and_saveexec_b32 s12, vcc_lo
	s_cbranch_execnz .LBB5_31
; %bb.16:                               ;   in Loop: Header=BB5_11 Depth=1
	s_or_b32 exec_lo, exec_lo, s12
	s_and_saveexec_b32 s12, s1
	s_cbranch_execnz .LBB5_32
.LBB5_17:                               ;   in Loop: Header=BB5_11 Depth=1
	s_or_b32 exec_lo, exec_lo, s12
	s_and_saveexec_b32 s12, s2
	s_cbranch_execz .LBB5_19
.LBB5_18:                               ;   in Loop: Header=BB5_11 Depth=1
	v_add_co_u32 v9, s9, s10, v76
	v_add_co_ci_u32_e64 v10, null, s11, v77, s9
	v_add_co_u32 v9, s9, v9, v107
	v_add_co_ci_u32_e64 v10, null, 0, v10, s9
	global_load_dwordx4 v[9:12], v[9:10], off offset:112
	s_waitcnt vmcnt(0)
	ds_write_b128 v99, v[9:12]
.LBB5_19:                               ;   in Loop: Header=BB5_11 Depth=1
	s_or_b32 exec_lo, exec_lo, s12
	s_waitcnt lgkmcnt(0)
	s_barrier
	buffer_gl0_inv
	ds_read_b128 v[9:12], v95
	ds_read_b128 v[13:16], v96 offset:112
	ds_read_b128 v[17:20], v96 offset:336
	;; [unrolled: 1-line block ×4, first 2 shown]
	v_xor_b32_e32 v113, 16, v88
	v_xor_b32_e32 v114, 8, v88
	;; [unrolled: 1-line block ×5, first 2 shown]
	s_mul_hi_i32 s43, s22, s23
	s_mul_i32 s42, s22, s23
	s_waitcnt lgkmcnt(3)
	;;#ASMSTART
	v_dot2_f32_f16 v1, v9, v13, v1
	;;#ASMEND
	;;#ASMSTART
	v_dot2_f32_f16 v1, v10, v14, v1
	;;#ASMEND
	;;#ASMSTART
	v_dot2_f32_f16 v1, v11, v15, v1
	;;#ASMEND
	;;#ASMSTART
	v_dot2_f32_f16 v1, v12, v16, v1
	;;#ASMEND
	s_waitcnt lgkmcnt(2)
	;;#ASMSTART
	v_dot2_f32_f16 v2, v9, v17, v2
	;;#ASMEND
	;;#ASMSTART
	v_dot2_f32_f16 v2, v10, v18, v2
	;;#ASMEND
	;;#ASMSTART
	v_dot2_f32_f16 v2, v11, v19, v2
	;;#ASMEND
	;;#ASMSTART
	v_dot2_f32_f16 v2, v12, v20, v2
	;;#ASMEND
	s_waitcnt lgkmcnt(1)
	;;#ASMSTART
	v_dot2_f32_f16 v3, v9, v21, v3
	;;#ASMEND
	;;#ASMSTART
	v_dot2_f32_f16 v3, v10, v22, v3
	;;#ASMEND
	;;#ASMSTART
	v_dot2_f32_f16 v3, v11, v23, v3
	;;#ASMEND
	;;#ASMSTART
	v_dot2_f32_f16 v3, v12, v24, v3
	;;#ASMEND
	s_waitcnt lgkmcnt(0)
	;;#ASMSTART
	v_dot2_f32_f16 v4, v9, v25, v4
	;;#ASMEND
	;;#ASMSTART
	v_dot2_f32_f16 v4, v10, v26, v4
	;;#ASMEND
	;;#ASMSTART
	v_dot2_f32_f16 v4, v11, v27, v4
	;;#ASMEND
	;;#ASMSTART
	v_dot2_f32_f16 v4, v12, v28, v4
	;;#ASMEND
	ds_read_b128 v[9:12], v95 offset:16
	ds_read_b128 v[13:16], v96 offset:128
	;; [unrolled: 1-line block ×5, first 2 shown]
	s_lshl_b64 s[42:43], s[42:43], 2
	s_waitcnt lgkmcnt(3)
	;;#ASMSTART
	v_dot2_f32_f16 v1, v9, v13, v1
	;;#ASMEND
	;;#ASMSTART
	v_dot2_f32_f16 v1, v10, v14, v1
	;;#ASMEND
	;;#ASMSTART
	v_dot2_f32_f16 v1, v11, v15, v1
	;;#ASMEND
	;;#ASMSTART
	v_dot2_f32_f16 v1, v12, v16, v1
	;;#ASMEND
	s_waitcnt lgkmcnt(2)
	;;#ASMSTART
	v_dot2_f32_f16 v2, v9, v17, v2
	;;#ASMEND
	;;#ASMSTART
	v_dot2_f32_f16 v2, v10, v18, v2
	;;#ASMEND
	;;#ASMSTART
	v_dot2_f32_f16 v2, v11, v19, v2
	;;#ASMEND
	;;#ASMSTART
	v_dot2_f32_f16 v2, v12, v20, v2
	;;#ASMEND
	s_waitcnt lgkmcnt(1)
	;;#ASMSTART
	v_dot2_f32_f16 v3, v9, v21, v3
	;;#ASMEND
	;;#ASMSTART
	v_dot2_f32_f16 v3, v10, v22, v3
	;;#ASMEND
	;;#ASMSTART
	v_dot2_f32_f16 v3, v11, v23, v3
	;;#ASMEND
	;;#ASMSTART
	v_dot2_f32_f16 v3, v12, v24, v3
	;;#ASMEND
	s_waitcnt lgkmcnt(0)
	;;#ASMSTART
	v_dot2_f32_f16 v4, v9, v25, v4
	;;#ASMEND
	;;#ASMSTART
	v_dot2_f32_f16 v4, v10, v26, v4
	;;#ASMEND
	;;#ASMSTART
	v_dot2_f32_f16 v4, v11, v27, v4
	;;#ASMEND
	;;#ASMSTART
	v_dot2_f32_f16 v4, v12, v28, v4
	;;#ASMEND
	ds_read_b128 v[9:12], v95 offset:32
	ds_read_b128 v[13:16], v96 offset:144
	;; [unrolled: 1-line block ×5, first 2 shown]
	s_add_u32 s41, s39, s42
	s_addc_u32 s42, s40, s43
	s_waitcnt lgkmcnt(3)
	;;#ASMSTART
	v_dot2_f32_f16 v1, v9, v13, v1
	;;#ASMEND
	;;#ASMSTART
	v_dot2_f32_f16 v1, v10, v14, v1
	;;#ASMEND
	;;#ASMSTART
	v_dot2_f32_f16 v1, v11, v15, v1
	;;#ASMEND
	;;#ASMSTART
	v_dot2_f32_f16 v1, v12, v16, v1
	;;#ASMEND
	s_waitcnt lgkmcnt(2)
	;;#ASMSTART
	v_dot2_f32_f16 v2, v9, v17, v2
	;;#ASMEND
	;;#ASMSTART
	v_dot2_f32_f16 v2, v10, v18, v2
	;;#ASMEND
	;;#ASMSTART
	v_dot2_f32_f16 v2, v11, v19, v2
	;;#ASMEND
	;;#ASMSTART
	v_dot2_f32_f16 v2, v12, v20, v2
	;;#ASMEND
	s_waitcnt lgkmcnt(1)
	;;#ASMSTART
	v_dot2_f32_f16 v3, v9, v21, v3
	;;#ASMEND
	;;#ASMSTART
	v_dot2_f32_f16 v3, v10, v22, v3
	;;#ASMEND
	;;#ASMSTART
	v_dot2_f32_f16 v3, v11, v23, v3
	;;#ASMEND
	;;#ASMSTART
	v_dot2_f32_f16 v3, v12, v24, v3
	;;#ASMEND
	s_waitcnt lgkmcnt(0)
	;;#ASMSTART
	v_dot2_f32_f16 v4, v9, v25, v4
	;;#ASMEND
	;;#ASMSTART
	v_dot2_f32_f16 v4, v10, v26, v4
	;;#ASMEND
	;;#ASMSTART
	v_dot2_f32_f16 v4, v11, v27, v4
	;;#ASMEND
	;;#ASMSTART
	v_dot2_f32_f16 v4, v12, v28, v4
	;;#ASMEND
	ds_read_b128 v[9:12], v95 offset:48
	ds_read_b128 v[13:16], v96 offset:160
	ds_read_b128 v[17:20], v96 offset:384
	ds_read_b128 v[21:24], v96 offset:608
	ds_read_b128 v[25:28], v96 offset:832
	s_waitcnt lgkmcnt(3)
	;;#ASMSTART
	v_dot2_f32_f16 v1, v9, v13, v1
	;;#ASMEND
	;;#ASMSTART
	v_dot2_f32_f16 v1, v10, v14, v1
	;;#ASMEND
	;;#ASMSTART
	v_dot2_f32_f16 v1, v11, v15, v1
	;;#ASMEND
	;;#ASMSTART
	v_dot2_f32_f16 v1, v12, v16, v1
	;;#ASMEND
	s_waitcnt lgkmcnt(2)
	;;#ASMSTART
	v_dot2_f32_f16 v2, v9, v17, v2
	;;#ASMEND
	;;#ASMSTART
	v_dot2_f32_f16 v2, v10, v18, v2
	;;#ASMEND
	;;#ASMSTART
	v_dot2_f32_f16 v2, v11, v19, v2
	;;#ASMEND
	;;#ASMSTART
	v_dot2_f32_f16 v2, v12, v20, v2
	;;#ASMEND
	s_waitcnt lgkmcnt(1)
	;;#ASMSTART
	v_dot2_f32_f16 v3, v9, v21, v3
	;;#ASMEND
	;;#ASMSTART
	v_dot2_f32_f16 v3, v10, v22, v3
	;;#ASMEND
	;;#ASMSTART
	v_dot2_f32_f16 v3, v11, v23, v3
	;;#ASMEND
	;;#ASMSTART
	v_dot2_f32_f16 v3, v12, v24, v3
	;;#ASMEND
	s_waitcnt lgkmcnt(0)
	;;#ASMSTART
	v_dot2_f32_f16 v4, v9, v25, v4
	;;#ASMEND
	;;#ASMSTART
	v_dot2_f32_f16 v4, v10, v26, v4
	;;#ASMEND
	;;#ASMSTART
	v_dot2_f32_f16 v4, v11, v27, v4
	;;#ASMEND
	;;#ASMSTART
	v_dot2_f32_f16 v4, v12, v28, v4
	;;#ASMEND
	ds_read_b128 v[9:12], v95 offset:64
	ds_read_b128 v[13:16], v96 offset:176
	ds_read_b128 v[17:20], v96 offset:400
	ds_read_b128 v[21:24], v96 offset:624
	ds_read_b128 v[25:28], v96 offset:848
	;; [unrolled: 57-line block ×3, first 2 shown]
	s_waitcnt lgkmcnt(3)
	;;#ASMSTART
	v_dot2_f32_f16 v1, v9, v13, v1
	;;#ASMEND
	;;#ASMSTART
	v_dot2_f32_f16 v1, v10, v14, v1
	;;#ASMEND
	;;#ASMSTART
	v_dot2_f32_f16 v1, v11, v15, v1
	;;#ASMEND
	;;#ASMSTART
	v_dot2_f32_f16 v1, v12, v16, v1
	;;#ASMEND
	s_waitcnt lgkmcnt(2)
	;;#ASMSTART
	v_dot2_f32_f16 v2, v9, v17, v2
	;;#ASMEND
	;;#ASMSTART
	v_dot2_f32_f16 v2, v10, v18, v2
	;;#ASMEND
	;;#ASMSTART
	v_dot2_f32_f16 v2, v11, v19, v2
	;;#ASMEND
	;;#ASMSTART
	v_dot2_f32_f16 v2, v12, v20, v2
	;;#ASMEND
	;; [unrolled: 13-line block ×4, first 2 shown]
	ds_read_b128 v[9:12], v95 offset:96
	ds_read_b128 v[13:16], v96 offset:208
	v_add_nc_u32_e32 v25, s22, v71
	ds_read_b128 v[17:20], v96 offset:432
	ds_read_b128 v[21:24], v96 offset:656
	v_ashrrev_i32_e32 v26, 31, v25
	v_lshlrev_b64 v[29:30], 1, v[25:26]
	ds_read_b128 v[25:28], v96 offset:880
	s_waitcnt lgkmcnt(3)
	;;#ASMSTART
	v_dot2_f32_f16 v1, v9, v13, v1
	;;#ASMEND
	;;#ASMSTART
	v_dot2_f32_f16 v1, v10, v14, v1
	;;#ASMEND
	;;#ASMSTART
	v_dot2_f32_f16 v1, v11, v15, v1
	;;#ASMEND
	;;#ASMSTART
	v_dot2_f32_f16 v1, v12, v16, v1
	;;#ASMEND
	s_waitcnt lgkmcnt(2)
	;;#ASMSTART
	v_dot2_f32_f16 v2, v9, v17, v2
	;;#ASMEND
	;;#ASMSTART
	v_dot2_f32_f16 v2, v10, v18, v2
	;;#ASMEND
	v_add_co_u32 v29, s9, s36, v29
	;;#ASMSTART
	v_dot2_f32_f16 v2, v11, v19, v2
	;;#ASMEND
	;;#ASMSTART
	v_dot2_f32_f16 v2, v12, v20, v2
	;;#ASMEND
	s_waitcnt lgkmcnt(1)
	;;#ASMSTART
	v_dot2_f32_f16 v3, v9, v21, v3
	;;#ASMEND
	v_add_co_ci_u32_e64 v30, null, s37, v30, s9
	;;#ASMSTART
	v_dot2_f32_f16 v3, v10, v22, v3
	;;#ASMEND
	;;#ASMSTART
	v_dot2_f32_f16 v3, v11, v23, v3
	;;#ASMEND
	;; [unrolled: 3-line block ×3, first 2 shown]
	s_waitcnt lgkmcnt(0)
	;;#ASMSTART
	v_dot2_f32_f16 v4, v9, v25, v4
	;;#ASMEND
	;;#ASMSTART
	v_dot2_f32_f16 v4, v10, v26, v4
	;;#ASMEND
	;; [unrolled: 3-line block ×4, first 2 shown]
	global_load_ushort v9, v[29:30], off
	v_cmp_gt_i32_e64 s9, 32, v113
	v_max_f32_e32 v10, v5, v5
	v_max_f32_e32 v11, v7, v7
	;; [unrolled: 1-line block ×4, first 2 shown]
	s_waitcnt vmcnt(0)
	s_barrier
	buffer_gl0_inv
	v_cvt_f32_f16_e32 v9, v9
	v_add_f32_e32 v14, v1, v9
	v_cndmask_b32_e64 v1, v88, v113, s9
	v_add_f32_e32 v15, v2, v9
	v_add_f32_e32 v16, v3, v9
	v_add_f32_e32 v9, v4, v9
	v_add_f32_e32 v2, 0x40051340, v14
	v_lshlrev_b32_e32 v1, 2, v1
	v_add_f32_e32 v3, 0x40051340, v15
	v_add_f32_e32 v4, 0x40051340, v16
	;; [unrolled: 1-line block ×3, first 2 shown]
	v_max_f32_e32 v2, v10, v2
	v_cmp_gt_i32_e64 s9, 32, v114
	v_max_f32_e32 v3, v11, v3
	v_max_f32_e32 v4, v12, v4
	;; [unrolled: 1-line block ×3, first 2 shown]
	ds_bpermute_b32 v11, v1, v2
	v_cndmask_b32_e64 v17, v88, v114, s9
	ds_bpermute_b32 v12, v1, v3
	ds_bpermute_b32 v13, v1, v4
	;; [unrolled: 1-line block ×3, first 2 shown]
	v_cmp_gt_i32_e64 s9, 32, v115
	v_lshlrev_b32_e32 v17, 2, v17
	s_waitcnt lgkmcnt(3)
	v_max_f32_e32 v11, v11, v11
	s_waitcnt lgkmcnt(2)
	v_max_f32_e32 v12, v12, v12
	s_waitcnt lgkmcnt(1)
	v_max_f32_e32 v13, v13, v13
	s_waitcnt lgkmcnt(0)
	v_max_f32_e32 v1, v1, v1
	v_max_f32_e32 v2, v2, v11
	v_max_f32_e32 v3, v3, v12
	v_max_f32_e32 v4, v4, v13
	v_max_f32_e32 v1, v10, v1
	ds_bpermute_b32 v10, v17, v2
	ds_bpermute_b32 v11, v17, v3
	ds_bpermute_b32 v12, v17, v4
	ds_bpermute_b32 v13, v17, v1
	v_cndmask_b32_e64 v17, v88, v115, s9
	v_cmp_gt_i32_e64 s9, 32, v116
	v_lshlrev_b32_e32 v17, 2, v17
	s_waitcnt lgkmcnt(3)
	v_max_f32_e32 v10, v10, v10
	s_waitcnt lgkmcnt(2)
	v_max_f32_e32 v11, v11, v11
	s_waitcnt lgkmcnt(1)
	v_max_f32_e32 v12, v12, v12
	s_waitcnt lgkmcnt(0)
	v_max_f32_e32 v13, v13, v13
	v_max_f32_e32 v2, v2, v10
	v_max_f32_e32 v3, v3, v11
	v_max_f32_e32 v4, v4, v12
	v_max_f32_e32 v1, v1, v13
	ds_bpermute_b32 v10, v17, v2
	ds_bpermute_b32 v11, v17, v3
	ds_bpermute_b32 v12, v17, v4
	ds_bpermute_b32 v13, v17, v1
	v_cndmask_b32_e64 v17, v88, v116, s9
	;; [unrolled: 19-line block ×3, first 2 shown]
	v_lshlrev_b32_e32 v17, 2, v17
	s_waitcnt lgkmcnt(3)
	v_max_f32_e32 v10, v10, v10
	s_waitcnt lgkmcnt(2)
	v_max_f32_e32 v11, v11, v11
	;; [unrolled: 2-line block ×4, first 2 shown]
	v_max_f32_e32 v2, v2, v10
	v_max_f32_e32 v3, v3, v11
	v_max_f32_e32 v4, v4, v12
	v_max_f32_e32 v10, v1, v13
	ds_bpermute_b32 v1, v17, v2
	ds_bpermute_b32 v11, v17, v3
	;; [unrolled: 1-line block ×4, first 2 shown]
	v_add_nc_u32_e32 v17, v101, v85
	s_waitcnt lgkmcnt(3)
	v_max_f32_e32 v1, v1, v1
	s_waitcnt lgkmcnt(2)
	v_max_f32_e32 v11, v11, v11
	s_waitcnt lgkmcnt(1)
	v_max_f32_e32 v12, v12, v12
	s_waitcnt lgkmcnt(0)
	v_max_f32_e32 v13, v13, v13
	v_max_f32_e32 v1, v2, v1
	v_max_f32_e32 v2, v3, v11
	;; [unrolled: 1-line block ×4, first 2 shown]
	v_sub_f32_e32 v128, v5, v1
	v_sub_f32_e32 v5, v14, v1
	;; [unrolled: 1-line block ×6, first 2 shown]
	v_mul_f32_e32 v10, 0x3fb8aa3b, v5
	v_sub_f32_e32 v127, v6, v4
	v_mul_f32_e32 v6, 0x3fb8aa3b, v7
	v_sub_f32_e32 v9, v9, v4
	v_mul_f32_e32 v11, 0x3fb8aa3b, v8
	v_fma_f32 v13, 0x3fb8aa3b, v5, -v10
	v_rndne_f32_e32 v14, v10
	v_fma_f32 v15, 0x3fb8aa3b, v7, -v6
	v_rndne_f32_e32 v16, v6
	v_mul_f32_e32 v12, 0x3fb8aa3b, v9
	v_fmac_f32_e32 v13, 0x32a5705f, v5
	v_sub_f32_e32 v10, v10, v14
	v_fma_f32 v18, 0x3fb8aa3b, v8, -v11
	v_rndne_f32_e32 v19, v11
	v_fmac_f32_e32 v15, 0x32a5705f, v7
	v_sub_f32_e32 v6, v6, v16
	v_add_f32_e32 v10, v10, v13
	v_fma_f32 v20, 0x3fb8aa3b, v9, -v12
	v_rndne_f32_e32 v21, v12
	v_fmac_f32_e32 v18, 0x32a5705f, v8
	v_sub_f32_e32 v11, v11, v19
	v_add_f32_e32 v6, v6, v15
	v_exp_f32_e32 v10, v10
	v_fmac_f32_e32 v20, 0x32a5705f, v9
	v_sub_f32_e32 v12, v12, v21
	v_add_f32_e32 v11, v11, v18
	v_exp_f32_e32 v6, v6
	v_cvt_i32_f32_e32 v13, v14
	v_cvt_i32_f32_e32 v14, v16
	v_add_f32_e32 v12, v12, v20
	v_exp_f32_e32 v11, v11
	v_cmp_ngt_f32_e64 s13, 0xc2ce8ed0, v5
	v_ldexp_f32 v10, v10, v13
	v_cvt_i32_f32_e32 v15, v19
	v_exp_f32_e32 v12, v12
	v_cvt_i32_f32_e32 v16, v21
	v_ldexp_f32 v6, v6, v14
	v_cndmask_b32_e64 v10, 0, v10, s13
	v_cmp_ngt_f32_e64 s13, 0xc2ce8ed0, v7
	v_cmp_ngt_f32_e64 s9, 0xc2ce8ed0, v128
	v_ldexp_f32 v11, v11, v15
	v_cmp_nlt_f32_e64 s10, 0x42b17218, v128
	v_cmp_ngt_f32_e64 s11, 0xc2ce8ed0, v129
	v_cndmask_b32_e64 v6, 0, v6, s13
	v_cmp_ngt_f32_e64 s13, 0xc2ce8ed0, v8
	v_ldexp_f32 v12, v12, v16
	v_cmp_nlt_f32_e64 s12, 0x42b17218, v129
	v_cmp_nlt_f32_e64 s14, 0x42b17218, v126
	v_cmp_ngt_f32_e64 s16, 0xc2ce8ed0, v127
	v_cndmask_b32_e64 v11, 0, v11, s13
	v_cmp_ngt_f32_e64 s13, 0xc2ce8ed0, v9
	v_cmp_nlt_f32_e64 s15, 0x42b17218, v127
	v_cndmask_b32_e64 v12, 0, v12, s13
	v_cmp_nlt_f32_e64 s13, 0x42b17218, v5
	v_cndmask_b32_e64 v120, 0x7f800000, v10, s13
	v_cmp_nlt_f32_e64 s13, 0x42b17218, v8
	v_cvt_f16_f32_e32 v5, v120
	v_cndmask_b32_e64 v119, 0x7f800000, v11, s13
	v_cmp_nlt_f32_e64 s13, 0x42b17218, v9
	v_cndmask_b32_e64 v118, 0x7f800000, v12, s13
	v_cmp_nlt_f32_e64 s13, 0x42b17218, v7
	v_cvt_f16_f32_e32 v7, v118
	v_cndmask_b32_e64 v121, 0x7f800000, v6, s13
	v_cvt_f16_f32_e32 v6, v119
	v_cmp_ngt_f32_e64 s13, 0xc2ce8ed0, v126
	v_cvt_f16_f32_e32 v8, v121
	v_pack_b32_f16 v6, v6, v7
	v_pack_b32_f16 v5, v5, v8
	ds_write_b64 v17, v[5:6]
	s_and_saveexec_b32 s43, s3
	s_cbranch_execnz .LBB5_33
; %bb.20:                               ;   in Loop: Header=BB5_11 Depth=1
	s_or_b32 exec_lo, exec_lo, s43
	s_and_saveexec_b32 s43, s6
	s_cbranch_execnz .LBB5_34
.LBB5_21:                               ;   in Loop: Header=BB5_11 Depth=1
	s_or_b32 exec_lo, exec_lo, s43
	v_lshlrev_b32_e32 v130, 2, v102
	s_and_saveexec_b32 s43, s8
	s_cbranch_execz .LBB5_23
.LBB5_22:                               ;   in Loop: Header=BB5_11 Depth=1
	v_add_co_u32 v5, s17, s41, v82
	v_add_co_ci_u32_e64 v6, null, s42, v83, s17
	v_add_co_u32 v5, s17, v5, v130
	v_add_co_ci_u32_e64 v6, null, 0, v6, s17
	global_load_dwordx4 v[5:8], v[5:6], off
	s_waitcnt vmcnt(0)
	ds_write_b128 v105, v[5:8]
.LBB5_23:                               ;   in Loop: Header=BB5_11 Depth=1
	s_or_b32 exec_lo, exec_lo, s43
	v_add_nc_u32_e32 v125, 0x1800, v85
	v_add_nc_u32_e32 v123, 0x2000, v85
	;; [unrolled: 1-line block ×4, first 2 shown]
	s_waitcnt lgkmcnt(0)
	s_barrier
	buffer_gl0_inv
	ds_read2_b64 v[29:32], v125 offset0:128 offset1:156
	ds_read_b128 v[61:64], v101
	ds_read_b128 v[49:52], v101 offset:16
	ds_read_b128 v[57:60], v101 offset:32
	;; [unrolled: 1-line block ×3, first 2 shown]
	ds_read2_b64 v[33:36], v125 offset0:184 offset1:212
	ds_read2_b64 v[25:28], v124 offset0:112 offset1:140
	;; [unrolled: 1-line block ×5, first 2 shown]
	ds_read_b128 v[65:68], v101 offset:64
	ds_read_b128 v[53:56], v101 offset:80
	ds_read2_b64 v[9:12], v123 offset0:208 offset1:236
	ds_read2_b64 v[5:8], v122 offset0:8 offset1:36
	ds_read_b128 v[45:48], v101 offset:96
	ds_read_b128 v[37:40], v101 offset:112
	s_or_b32 s17, s22, 16
	s_waitcnt lgkmcnt(0)
	s_mul_hi_i32 s43, s17, s23
	s_mul_i32 s42, s17, s23
	s_barrier
	s_lshl_b64 s[42:43], s[42:43], 2
	buffer_gl0_inv
	s_add_u32 s41, s39, s42
	s_addc_u32 s42, s40, s43
	s_and_saveexec_b32 s43, s3
	s_cbranch_execnz .LBB5_35
; %bb.24:                               ;   in Loop: Header=BB5_11 Depth=1
	s_or_b32 exec_lo, exec_lo, s43
	s_and_saveexec_b32 s43, s6
	s_cbranch_execnz .LBB5_36
.LBB5_25:                               ;   in Loop: Header=BB5_11 Depth=1
	s_or_b32 exec_lo, exec_lo, s43
	s_and_saveexec_b32 s43, s8
	s_cbranch_execz .LBB5_27
.LBB5_26:                               ;   in Loop: Header=BB5_11 Depth=1
	v_add_co_u32 v131, s17, s41, v82
	v_add_co_ci_u32_e64 v132, null, s42, v83, s17
	v_add_co_u32 v130, s17, v131, v130
	v_add_co_ci_u32_e64 v131, null, 0, v132, s17
	global_load_dwordx4 v[130:133], v[130:131], off
	s_waitcnt vmcnt(0)
	ds_write_b128 v105, v[130:133]
.LBB5_27:                               ;   in Loop: Header=BB5_11 Depth=1
	s_or_b32 exec_lo, exec_lo, s43
	v_mul_f32_e32 v130, 0x3fb8aa3b, v128
	v_mul_f32_e32 v131, 0x3fb8aa3b, v129
	;; [unrolled: 1-line block ×4, first 2 shown]
	v_mul_u32_u24_sdwa v140, v43, v108 dst_sel:DWORD dst_unused:UNUSED_PAD src0_sel:WORD_0 src1_sel:DWORD
	v_fma_f32 v133, 0x3fb8aa3b, v128, -v130
	v_rndne_f32_e32 v134, v130
	v_fma_f32 v135, 0x3fb8aa3b, v129, -v131
	v_rndne_f32_e32 v137, v131
	v_fma_f32 v138, 0x3fb8aa3b, v127, -v136
	v_fmac_f32_e32 v133, 0x32a5705f, v128
	v_sub_f32_e32 v128, v130, v134
	v_fmac_f32_e32 v135, 0x32a5705f, v129
	v_fma_f32 v129, 0x3fb8aa3b, v126, -v132
	v_rndne_f32_e32 v130, v132
	v_rndne_f32_e32 v139, v136
	v_sub_f32_e32 v131, v131, v137
	v_fmac_f32_e32 v138, 0x32a5705f, v127
	v_fmac_f32_e32 v129, 0x32a5705f, v126
	v_sub_f32_e32 v126, v132, v130
	v_sub_f32_e32 v127, v136, v139
	v_add_f32_e32 v128, v128, v133
	v_add_f32_e32 v131, v131, v135
	v_cvt_i32_f32_e32 v132, v137
	v_add_f32_e32 v126, v126, v129
	v_add_f32_e32 v127, v127, v138
	v_exp_f32_e32 v128, v128
	v_exp_f32_e32 v129, v131
	v_cvt_i32_f32_e32 v131, v134
	v_exp_f32_e32 v126, v126
	v_exp_f32_e32 v127, v127
	v_cvt_i32_f32_e32 v130, v130
	v_cvt_i32_f32_e32 v133, v139
	v_mul_u32_u24_sdwa v134, v57, v108 dst_sel:DWORD dst_unused:UNUSED_PAD src0_sel:WORD_0 src1_sel:DWORD
	v_mul_u32_u24_sdwa v57, v57, v108 dst_sel:DWORD dst_unused:UNUSED_PAD src0_sel:WORD_1 src1_sel:DWORD
	v_mul_u32_u24_sdwa v135, v58, v108 dst_sel:DWORD dst_unused:UNUSED_PAD src0_sel:WORD_0 src1_sel:DWORD
	v_ldexp_f32 v128, v128, v131
	v_ldexp_f32 v129, v129, v132
	v_mul_u32_u24_sdwa v131, v50, v108 dst_sel:DWORD dst_unused:UNUSED_PAD src0_sel:WORD_0 src1_sel:DWORD
	v_ldexp_f32 v126, v126, v130
	v_ldexp_f32 v127, v127, v133
	v_cndmask_b32_e64 v128, 0, v128, s9
	v_cndmask_b32_e64 v129, 0, v129, s11
	v_mul_u32_u24_sdwa v130, v49, v108 dst_sel:DWORD dst_unused:UNUSED_PAD src0_sel:WORD_0 src1_sel:DWORD
	v_cndmask_b32_e64 v126, 0, v126, s13
	v_cndmask_b32_e64 v127, 0, v127, s16
	;; [unrolled: 1-line block ×4, first 2 shown]
	v_mul_u32_u24_sdwa v49, v49, v108 dst_sel:DWORD dst_unused:UNUSED_PAD src0_sel:WORD_1 src1_sel:DWORD
	v_cndmask_b32_e64 v126, 0x7f800000, v126, s14
	v_cndmask_b32_e64 v127, 0x7f800000, v127, s15
	v_fmac_f32_e32 v120, v110, v128
	v_fmac_f32_e32 v121, v111, v129
	v_cvt_f16_f32_e32 v110, v128
	v_fmac_f32_e32 v119, v112, v126
	v_cvt_f16_f32_e32 v111, v129
	v_cvt_f16_f32_e32 v112, v126
	;; [unrolled: 1-line block ×3, first 2 shown]
	v_fmac_f32_e32 v118, v109, v127
	v_mul_u32_u24_sdwa v109, v110, v108 dst_sel:DWORD dst_unused:UNUSED_PAD src0_sel:WORD_0 src1_sel:DWORD
	v_mul_u32_u24_sdwa v110, v111, v108 dst_sel:DWORD dst_unused:UNUSED_PAD src0_sel:WORD_0 src1_sel:DWORD
	;; [unrolled: 1-line block ×5, first 2 shown]
	v_mul_u32_u24_sdwa v61, v61, v108 dst_sel:DWORD dst_unused:UNUSED_PAD src0_sel:WORD_1 src1_sel:DWORD
	v_mul_u32_u24_sdwa v127, v62, v108 dst_sel:DWORD dst_unused:UNUSED_PAD src0_sel:WORD_0 src1_sel:DWORD
	v_mul_u32_u24_sdwa v62, v62, v108 dst_sel:DWORD dst_unused:UNUSED_PAD src0_sel:WORD_1 src1_sel:DWORD
	v_pk_mul_f16 v100, v100, v109
	v_pk_mul_f16 v93, v93, v110
	v_pk_mul_f16 v158, v29, v126
	v_pk_mul_f16 v159, v29, v61
	v_pk_mul_f16 v160, v29, v127
	v_pk_mul_f16 v87, v87, v112
	v_mul_u32_u24_sdwa v128, v63, v108 dst_sel:DWORD dst_unused:UNUSED_PAD src0_sel:WORD_0 src1_sel:DWORD
	v_mul_u32_u24_sdwa v63, v63, v108 dst_sel:DWORD dst_unused:UNUSED_PAD src0_sel:WORD_1 src1_sel:DWORD
	v_mul_u32_u24_sdwa v129, v64, v108 dst_sel:DWORD dst_unused:UNUSED_PAD src0_sel:WORD_0 src1_sel:DWORD
	v_mul_u32_u24_sdwa v64, v64, v108 dst_sel:DWORD dst_unused:UNUSED_PAD src0_sel:WORD_1 src1_sel:DWORD
	v_pk_mul_f16 v90, v90, v111
	v_pk_mul_f16 v86, v86, v112
	v_pk_fma_f16 v94, v94, v109, v158
	v_pk_fma_f16 v92, v92, v110, v159
	;; [unrolled: 1-line block ×6, first 2 shown]
	v_mul_u32_u24_sdwa v50, v50, v108 dst_sel:DWORD dst_unused:UNUSED_PAD src0_sel:WORD_1 src1_sel:DWORD
	v_pk_fma_f16 v90, v30, v127, v90
	v_pk_fma_f16 v30, v30, v62, v86
	;; [unrolled: 1-line block ×8, first 2 shown]
	v_mul_u32_u24_sdwa v132, v51, v108 dst_sel:DWORD dst_unused:UNUSED_PAD src0_sel:WORD_0 src1_sel:DWORD
	v_mul_u32_u24_sdwa v51, v51, v108 dst_sel:DWORD dst_unused:UNUSED_PAD src0_sel:WORD_1 src1_sel:DWORD
	v_mul_u32_u24_sdwa v133, v52, v108 dst_sel:DWORD dst_unused:UNUSED_PAD src0_sel:WORD_0 src1_sel:DWORD
	v_mul_u32_u24_sdwa v52, v52, v108 dst_sel:DWORD dst_unused:UNUSED_PAD src0_sel:WORD_1 src1_sel:DWORD
	v_pk_fma_f16 v63, v32, v129, v90
	v_pk_fma_f16 v30, v32, v64, v30
	;; [unrolled: 1-line block ×8, first 2 shown]
	v_mul_u32_u24_sdwa v58, v58, v108 dst_sel:DWORD dst_unused:UNUSED_PAD src0_sel:WORD_1 src1_sel:DWORD
	v_pk_fma_f16 v49, v34, v131, v63
	v_pk_fma_f16 v30, v34, v50, v30
	;; [unrolled: 1-line block ×8, first 2 shown]
	v_mul_u32_u24_sdwa v136, v59, v108 dst_sel:DWORD dst_unused:UNUSED_PAD src0_sel:WORD_0 src1_sel:DWORD
	v_mul_u32_u24_sdwa v59, v59, v108 dst_sel:DWORD dst_unused:UNUSED_PAD src0_sel:WORD_1 src1_sel:DWORD
	v_mul_u32_u24_sdwa v137, v60, v108 dst_sel:DWORD dst_unused:UNUSED_PAD src0_sel:WORD_0 src1_sel:DWORD
	v_mul_u32_u24_sdwa v60, v60, v108 dst_sel:DWORD dst_unused:UNUSED_PAD src0_sel:WORD_1 src1_sel:DWORD
	v_pk_fma_f16 v35, v36, v133, v49
	v_pk_fma_f16 v30, v36, v52, v30
	;; [unrolled: 1-line block ×8, first 2 shown]
	v_mul_u32_u24_sdwa v138, v41, v108 dst_sel:DWORD dst_unused:UNUSED_PAD src0_sel:WORD_0 src1_sel:DWORD
	v_mul_u32_u24_sdwa v41, v41, v108 dst_sel:DWORD dst_unused:UNUSED_PAD src0_sel:WORD_1 src1_sel:DWORD
	v_mul_u32_u24_sdwa v139, v42, v108 dst_sel:DWORD dst_unused:UNUSED_PAD src0_sel:WORD_0 src1_sel:DWORD
	v_mul_u32_u24_sdwa v42, v42, v108 dst_sel:DWORD dst_unused:UNUSED_PAD src0_sel:WORD_1 src1_sel:DWORD
	v_pk_fma_f16 v33, v26, v135, v35
	v_pk_fma_f16 v26, v26, v58, v30
	;; [unrolled: 1-line block ×8, first 2 shown]
	v_mul_u32_u24_sdwa v43, v43, v108 dst_sel:DWORD dst_unused:UNUSED_PAD src0_sel:WORD_1 src1_sel:DWORD
	v_mul_u32_u24_sdwa v141, v44, v108 dst_sel:DWORD dst_unused:UNUSED_PAD src0_sel:WORD_0 src1_sel:DWORD
	v_mul_u32_u24_sdwa v44, v44, v108 dst_sel:DWORD dst_unused:UNUSED_PAD src0_sel:WORD_1 src1_sel:DWORD
	v_pk_fma_f16 v31, v28, v137, v33
	v_pk_fma_f16 v26, v28, v60, v26
	v_pk_fma_f16 v28, v21, v138, v30
	v_pk_fma_f16 v30, v21, v41, v32
	v_pk_fma_f16 v32, v21, v139, v34
	v_pk_fma_f16 v21, v21, v42, v25
	v_pk_fma_f16 v25, v22, v138, v27
	v_pk_fma_f16 v27, v22, v41, v29
	v_mul_u32_u24_sdwa v142, v65, v108 dst_sel:DWORD dst_unused:UNUSED_PAD src0_sel:WORD_0 src1_sel:DWORD
	v_mul_u32_u24_sdwa v65, v65, v108 dst_sel:DWORD dst_unused:UNUSED_PAD src0_sel:WORD_1 src1_sel:DWORD
	v_mul_u32_u24_sdwa v143, v66, v108 dst_sel:DWORD dst_unused:UNUSED_PAD src0_sel:WORD_0 src1_sel:DWORD
	v_mul_u32_u24_sdwa v66, v66, v108 dst_sel:DWORD dst_unused:UNUSED_PAD src0_sel:WORD_1 src1_sel:DWORD
	v_pk_fma_f16 v29, v22, v139, v31
	v_pk_fma_f16 v22, v22, v42, v26
	v_pk_fma_f16 v26, v23, v140, v28
	v_pk_fma_f16 v28, v23, v43, v30
	v_pk_fma_f16 v30, v23, v141, v32
	v_pk_fma_f16 v21, v23, v44, v21
	v_pk_fma_f16 v23, v24, v140, v25
	v_pk_fma_f16 v25, v24, v43, v27
	v_mul_u32_u24_sdwa v144, v67, v108 dst_sel:DWORD dst_unused:UNUSED_PAD src0_sel:WORD_0 src1_sel:DWORD
	;; [unrolled: 12-line block ×7, first 2 shown]
	v_mul_u32_u24_sdwa v37, v37, v108 dst_sel:DWORD dst_unused:UNUSED_PAD src0_sel:WORD_1 src1_sel:DWORD
	v_mul_u32_u24_sdwa v155, v38, v108 dst_sel:DWORD dst_unused:UNUSED_PAD src0_sel:WORD_0 src1_sel:DWORD
	v_mul_u32_u24_sdwa v38, v38, v108 dst_sel:DWORD dst_unused:UNUSED_PAD src0_sel:WORD_1 src1_sel:DWORD
	v_pk_fma_f16 v17, v10, v151, v19
	v_pk_fma_f16 v10, v10, v46, v14
	;; [unrolled: 1-line block ×8, first 2 shown]
	s_waitcnt lgkmcnt(0)
	s_barrier
	buffer_gl0_inv
	ds_read_b128 v[13:16], v101 offset:128
	v_pk_fma_f16 v17, v12, v153, v17
	v_pk_fma_f16 v23, v12, v48, v10
	;; [unrolled: 1-line block ×6, first 2 shown]
	ds_read2_b64 v[9:12], v125 offset0:128 offset1:156
	v_mul_u32_u24_sdwa v156, v39, v108 dst_sel:DWORD dst_unused:UNUSED_PAD src0_sel:WORD_0 src1_sel:DWORD
	v_mul_u32_u24_sdwa v39, v39, v108 dst_sel:DWORD dst_unused:UNUSED_PAD src0_sel:WORD_1 src1_sel:DWORD
	v_mul_u32_u24_sdwa v157, v40, v108 dst_sel:DWORD dst_unused:UNUSED_PAD src0_sel:WORD_0 src1_sel:DWORD
	v_mul_u32_u24_sdwa v40, v40, v108 dst_sel:DWORD dst_unused:UNUSED_PAD src0_sel:WORD_1 src1_sel:DWORD
	v_pk_fma_f16 v21, v6, v154, v21
	v_pk_fma_f16 v22, v6, v37, v22
	;; [unrolled: 1-line block ×12, first 2 shown]
	ds_read_b128 v[5:8], v101 offset:144
	s_waitcnt lgkmcnt(2)
	v_mul_u32_u24_sdwa v33, v13, v108 dst_sel:DWORD dst_unused:UNUSED_PAD src0_sel:WORD_0 src1_sel:DWORD
	v_mul_u32_u24_sdwa v13, v13, v108 dst_sel:DWORD dst_unused:UNUSED_PAD src0_sel:WORD_1 src1_sel:DWORD
	v_mul_u32_u24_sdwa v34, v14, v108 dst_sel:DWORD dst_unused:UNUSED_PAD src0_sel:WORD_0 src1_sel:DWORD
	v_mul_u32_u24_sdwa v14, v14, v108 dst_sel:DWORD dst_unused:UNUSED_PAD src0_sel:WORD_1 src1_sel:DWORD
	ds_read_b128 v[17:20], v101 offset:160
	ds_read_b128 v[21:24], v101 offset:176
	s_waitcnt lgkmcnt(3)
	v_pk_fma_f16 v35, v9, v33, v25
	v_pk_fma_f16 v36, v9, v13, v26
	;; [unrolled: 1-line block ×4, first 2 shown]
	ds_read2_b64 v[25:28], v125 offset0:184 offset1:212
	v_pk_fma_f16 v29, v10, v33, v29
	v_pk_fma_f16 v13, v10, v13, v30
	;; [unrolled: 1-line block ×3, first 2 shown]
	v_mul_u32_u24_sdwa v31, v15, v108 dst_sel:DWORD dst_unused:UNUSED_PAD src0_sel:WORD_0 src1_sel:DWORD
	v_mul_u32_u24_sdwa v15, v15, v108 dst_sel:DWORD dst_unused:UNUSED_PAD src0_sel:WORD_1 src1_sel:DWORD
	v_mul_u32_u24_sdwa v33, v16, v108 dst_sel:DWORD dst_unused:UNUSED_PAD src0_sel:WORD_0 src1_sel:DWORD
	v_mul_u32_u24_sdwa v16, v16, v108 dst_sel:DWORD dst_unused:UNUSED_PAD src0_sel:WORD_1 src1_sel:DWORD
	v_pk_fma_f16 v10, v10, v14, v32
	v_pk_fma_f16 v14, v11, v31, v35
	v_pk_fma_f16 v32, v11, v15, v36
	v_pk_fma_f16 v34, v11, v33, v37
	v_pk_fma_f16 v9, v11, v16, v9
	v_pk_fma_f16 v11, v12, v31, v29
	v_pk_fma_f16 v13, v12, v15, v13
	v_pk_fma_f16 v15, v12, v33, v30
	s_waitcnt lgkmcnt(3)
	v_mul_u32_u24_sdwa v29, v5, v108 dst_sel:DWORD dst_unused:UNUSED_PAD src0_sel:WORD_0 src1_sel:DWORD
	v_mul_u32_u24_sdwa v5, v5, v108 dst_sel:DWORD dst_unused:UNUSED_PAD src0_sel:WORD_1 src1_sel:DWORD
	v_mul_u32_u24_sdwa v30, v6, v108 dst_sel:DWORD dst_unused:UNUSED_PAD src0_sel:WORD_0 src1_sel:DWORD
	v_mul_u32_u24_sdwa v6, v6, v108 dst_sel:DWORD dst_unused:UNUSED_PAD src0_sel:WORD_1 src1_sel:DWORD
	v_pk_fma_f16 v16, v12, v16, v10
	s_waitcnt lgkmcnt(0)
	v_pk_fma_f16 v14, v25, v29, v14
	v_pk_fma_f16 v31, v25, v5, v32
	v_pk_fma_f16 v32, v25, v30, v34
	v_pk_fma_f16 v25, v25, v6, v9
	v_pk_fma_f16 v29, v26, v29, v11
	ds_read2_b64 v[9:12], v124 offset0:112 offset1:140
	v_pk_fma_f16 v5, v26, v5, v13
	v_pk_fma_f16 v13, v26, v30, v15
	v_mul_u32_u24_sdwa v15, v7, v108 dst_sel:DWORD dst_unused:UNUSED_PAD src0_sel:WORD_0 src1_sel:DWORD
	v_mul_u32_u24_sdwa v7, v7, v108 dst_sel:DWORD dst_unused:UNUSED_PAD src0_sel:WORD_1 src1_sel:DWORD
	v_mul_u32_u24_sdwa v30, v8, v108 dst_sel:DWORD dst_unused:UNUSED_PAD src0_sel:WORD_0 src1_sel:DWORD
	v_mul_u32_u24_sdwa v8, v8, v108 dst_sel:DWORD dst_unused:UNUSED_PAD src0_sel:WORD_1 src1_sel:DWORD
	v_pk_fma_f16 v6, v26, v6, v16
	v_pk_fma_f16 v14, v27, v15, v14
	;; [unrolled: 1-line block ×7, first 2 shown]
	v_mul_u32_u24_sdwa v5, v17, v108 dst_sel:DWORD dst_unused:UNUSED_PAD src0_sel:WORD_0 src1_sel:DWORD
	v_pk_fma_f16 v13, v28, v30, v13
	v_pk_fma_f16 v28, v28, v8, v6
	v_mul_u32_u24_sdwa v17, v17, v108 dst_sel:DWORD dst_unused:UNUSED_PAD src0_sel:WORD_1 src1_sel:DWORD
	v_mul_u32_u24_sdwa v29, v18, v108 dst_sel:DWORD dst_unused:UNUSED_PAD src0_sel:WORD_0 src1_sel:DWORD
	v_mul_u32_u24_sdwa v18, v18, v108 dst_sel:DWORD dst_unused:UNUSED_PAD src0_sel:WORD_1 src1_sel:DWORD
	s_waitcnt lgkmcnt(0)
	v_pk_fma_f16 v14, v9, v5, v14
	v_pk_fma_f16 v15, v10, v5, v15
	ds_read2_b64 v[5:8], v123 offset0:40 offset1:68
	v_pk_fma_f16 v16, v9, v17, v16
	v_pk_fma_f16 v26, v9, v29, v26
	;; [unrolled: 1-line block ×5, first 2 shown]
	v_mul_u32_u24_sdwa v25, v19, v108 dst_sel:DWORD dst_unused:UNUSED_PAD src0_sel:WORD_0 src1_sel:DWORD
	v_mul_u32_u24_sdwa v19, v19, v108 dst_sel:DWORD dst_unused:UNUSED_PAD src0_sel:WORD_1 src1_sel:DWORD
	v_mul_u32_u24_sdwa v27, v20, v108 dst_sel:DWORD dst_unused:UNUSED_PAD src0_sel:WORD_0 src1_sel:DWORD
	v_mul_u32_u24_sdwa v20, v20, v108 dst_sel:DWORD dst_unused:UNUSED_PAD src0_sel:WORD_1 src1_sel:DWORD
	v_pk_fma_f16 v10, v10, v18, v28
	v_pk_fma_f16 v14, v11, v25, v14
	;; [unrolled: 1-line block ×8, first 2 shown]
	v_mul_u32_u24_sdwa v13, v21, v108 dst_sel:DWORD dst_unused:UNUSED_PAD src0_sel:WORD_0 src1_sel:DWORD
	v_mul_u32_u24_sdwa v21, v21, v108 dst_sel:DWORD dst_unused:UNUSED_PAD src0_sel:WORD_1 src1_sel:DWORD
	v_pk_fma_f16 v20, v12, v20, v10
	v_mul_u32_u24_sdwa v25, v22, v108 dst_sel:DWORD dst_unused:UNUSED_PAD src0_sel:WORD_0 src1_sel:DWORD
	v_mul_u32_u24_sdwa v22, v22, v108 dst_sel:DWORD dst_unused:UNUSED_PAD src0_sel:WORD_1 src1_sel:DWORD
	ds_read_b128 v[9:12], v101 offset:192
	s_waitcnt lgkmcnt(1)
	v_pk_fma_f16 v27, v5, v13, v14
	v_pk_fma_f16 v28, v5, v21, v16
	;; [unrolled: 1-line block ×5, first 2 shown]
	ds_read2_b64 v[13:16], v123 offset0:96 offset1:124
	v_pk_fma_f16 v17, v6, v21, v17
	v_pk_fma_f16 v19, v6, v25, v19
	v_mul_u32_u24_sdwa v21, v23, v108 dst_sel:DWORD dst_unused:UNUSED_PAD src0_sel:WORD_0 src1_sel:DWORD
	v_mul_u32_u24_sdwa v23, v23, v108 dst_sel:DWORD dst_unused:UNUSED_PAD src0_sel:WORD_1 src1_sel:DWORD
	v_mul_u32_u24_sdwa v25, v24, v108 dst_sel:DWORD dst_unused:UNUSED_PAD src0_sel:WORD_0 src1_sel:DWORD
	v_mul_u32_u24_sdwa v24, v24, v108 dst_sel:DWORD dst_unused:UNUSED_PAD src0_sel:WORD_1 src1_sel:DWORD
	v_pk_fma_f16 v6, v6, v22, v20
	v_pk_fma_f16 v22, v7, v21, v27
	;; [unrolled: 1-line block ×8, first 2 shown]
	ds_read_b128 v[17:20], v101 offset:208
	s_waitcnt lgkmcnt(2)
	v_mul_u32_u24_sdwa v25, v9, v108 dst_sel:DWORD dst_unused:UNUSED_PAD src0_sel:WORD_0 src1_sel:DWORD
	v_mul_u32_u24_sdwa v9, v9, v108 dst_sel:DWORD dst_unused:UNUSED_PAD src0_sel:WORD_1 src1_sel:DWORD
	v_mul_u32_u24_sdwa v26, v10, v108 dst_sel:DWORD dst_unused:UNUSED_PAD src0_sel:WORD_0 src1_sel:DWORD
	v_mul_u32_u24_sdwa v10, v10, v108 dst_sel:DWORD dst_unused:UNUSED_PAD src0_sel:WORD_1 src1_sel:DWORD
	v_pk_fma_f16 v24, v8, v24, v6
	s_waitcnt lgkmcnt(1)
	v_pk_fma_f16 v22, v13, v25, v22
	v_pk_fma_f16 v27, v13, v9, v27
	;; [unrolled: 1-line block ×5, first 2 shown]
	ds_read2_b64 v[5:8], v123 offset0:152 offset1:180
	v_pk_fma_f16 v9, v14, v9, v21
	v_pk_fma_f16 v21, v14, v26, v23
	v_mul_u32_u24_sdwa v23, v11, v108 dst_sel:DWORD dst_unused:UNUSED_PAD src0_sel:WORD_0 src1_sel:DWORD
	v_mul_u32_u24_sdwa v11, v11, v108 dst_sel:DWORD dst_unused:UNUSED_PAD src0_sel:WORD_1 src1_sel:DWORD
	v_mul_u32_u24_sdwa v26, v12, v108 dst_sel:DWORD dst_unused:UNUSED_PAD src0_sel:WORD_0 src1_sel:DWORD
	v_mul_u32_u24_sdwa v12, v12, v108 dst_sel:DWORD dst_unused:UNUSED_PAD src0_sel:WORD_1 src1_sel:DWORD
	v_pk_fma_f16 v10, v14, v10, v24
	v_pk_fma_f16 v14, v15, v23, v22
	;; [unrolled: 1-line block ×8, first 2 shown]
	s_waitcnt lgkmcnt(1)
	v_mul_u32_u24_sdwa v25, v17, v108 dst_sel:DWORD dst_unused:UNUSED_PAD src0_sel:WORD_0 src1_sel:DWORD
	v_mul_u32_u24_sdwa v17, v17, v108 dst_sel:DWORD dst_unused:UNUSED_PAD src0_sel:WORD_1 src1_sel:DWORD
	v_pk_fma_f16 v26, v16, v12, v10
	v_mul_u32_u24_sdwa v27, v18, v108 dst_sel:DWORD dst_unused:UNUSED_PAD src0_sel:WORD_0 src1_sel:DWORD
	v_mul_u32_u24_sdwa v18, v18, v108 dst_sel:DWORD dst_unused:UNUSED_PAD src0_sel:WORD_1 src1_sel:DWORD
	ds_read_b128 v[9:12], v101 offset:224
	s_waitcnt lgkmcnt(1)
	v_pk_fma_f16 v28, v5, v25, v14
	v_pk_fma_f16 v22, v5, v17, v22
	;; [unrolled: 1-line block ×5, first 2 shown]
	ds_read2_b64 v[13:16], v123 offset0:208 offset1:236
	v_pk_fma_f16 v17, v6, v17, v23
	v_pk_fma_f16 v21, v6, v27, v21
	v_mul_u32_u24_sdwa v23, v19, v108 dst_sel:DWORD dst_unused:UNUSED_PAD src0_sel:WORD_0 src1_sel:DWORD
	v_mul_u32_u24_sdwa v19, v19, v108 dst_sel:DWORD dst_unused:UNUSED_PAD src0_sel:WORD_1 src1_sel:DWORD
	v_mul_u32_u24_sdwa v27, v20, v108 dst_sel:DWORD dst_unused:UNUSED_PAD src0_sel:WORD_0 src1_sel:DWORD
	v_mul_u32_u24_sdwa v29, v20, v108 dst_sel:DWORD dst_unused:UNUSED_PAD src0_sel:WORD_1 src1_sel:DWORD
	v_pk_fma_f16 v6, v6, v18, v26
	v_pk_fma_f16 v26, v7, v23, v28
	;; [unrolled: 1-line block ×8, first 2 shown]
	ds_read_b128 v[17:20], v101 offset:240
	s_waitcnt lgkmcnt(2)
	v_mul_u32_u24_sdwa v25, v9, v108 dst_sel:DWORD dst_unused:UNUSED_PAD src0_sel:WORD_0 src1_sel:DWORD
	v_mul_u32_u24_sdwa v9, v9, v108 dst_sel:DWORD dst_unused:UNUSED_PAD src0_sel:WORD_1 src1_sel:DWORD
	v_mul_u32_u24_sdwa v27, v10, v108 dst_sel:DWORD dst_unused:UNUSED_PAD src0_sel:WORD_0 src1_sel:DWORD
	v_mul_u32_u24_sdwa v10, v10, v108 dst_sel:DWORD dst_unused:UNUSED_PAD src0_sel:WORD_1 src1_sel:DWORD
	v_pk_fma_f16 v28, v8, v29, v6
	s_waitcnt lgkmcnt(1)
	v_pk_fma_f16 v26, v13, v25, v26
	v_pk_fma_f16 v22, v13, v9, v22
	;; [unrolled: 1-line block ×5, first 2 shown]
	ds_read2_b64 v[5:8], v122 offset0:8 offset1:36
	s_waitcnt lgkmcnt(0)
	s_barrier
	buffer_gl0_inv
	s_load_dword s9, s[18:19], 0x4
	v_pk_fma_f16 v9, v14, v9, v23
	v_pk_fma_f16 v21, v14, v27, v21
	v_mul_u32_u24_sdwa v23, v11, v108 dst_sel:DWORD dst_unused:UNUSED_PAD src0_sel:WORD_0 src1_sel:DWORD
	v_mul_u32_u24_sdwa v11, v11, v108 dst_sel:DWORD dst_unused:UNUSED_PAD src0_sel:WORD_1 src1_sel:DWORD
	v_mul_u32_u24_sdwa v27, v12, v108 dst_sel:DWORD dst_unused:UNUSED_PAD src0_sel:WORD_0 src1_sel:DWORD
	v_mul_u32_u24_sdwa v12, v12, v108 dst_sel:DWORD dst_unused:UNUSED_PAD src0_sel:WORD_1 src1_sel:DWORD
	v_pk_fma_f16 v10, v14, v10, v28
	v_pk_fma_f16 v14, v15, v23, v26
	;; [unrolled: 1-line block ×9, first 2 shown]
	v_mul_u32_u24_sdwa v12, v17, v108 dst_sel:DWORD dst_unused:UNUSED_PAD src0_sel:WORD_0 src1_sel:DWORD
	v_mul_u32_u24_sdwa v16, v17, v108 dst_sel:DWORD dst_unused:UNUSED_PAD src0_sel:WORD_1 src1_sel:DWORD
	v_mul_u32_u24_sdwa v17, v18, v108 dst_sel:DWORD dst_unused:UNUSED_PAD src0_sel:WORD_0 src1_sel:DWORD
	v_mul_u32_u24_sdwa v18, v18, v108 dst_sel:DWORD dst_unused:UNUSED_PAD src0_sel:WORD_1 src1_sel:DWORD
	s_waitcnt lgkmcnt(0)
	s_lshl_b32 s9, s9, 5
	v_pk_fma_f16 v14, v5, v12, v14
	v_pk_fma_f16 v21, v5, v16, v22
	;; [unrolled: 1-line block ×7, first 2 shown]
	v_mul_u32_u24_sdwa v13, v19, v108 dst_sel:DWORD dst_unused:UNUSED_PAD src0_sel:WORD_0 src1_sel:DWORD
	v_mul_u32_u24_sdwa v15, v19, v108 dst_sel:DWORD dst_unused:UNUSED_PAD src0_sel:WORD_1 src1_sel:DWORD
	v_mul_u32_u24_sdwa v16, v20, v108 dst_sel:DWORD dst_unused:UNUSED_PAD src0_sel:WORD_0 src1_sel:DWORD
	v_mul_u32_u24_sdwa v17, v20, v108 dst_sel:DWORD dst_unused:UNUSED_PAD src0_sel:WORD_1 src1_sel:DWORD
	v_pk_fma_f16 v6, v6, v18, v10
	v_pk_fma_f16 v94, v7, v13, v14
	;; [unrolled: 1-line block ×9, first 2 shown]
	s_add_i32 s22, s9, s22
	s_cmp_ge_i32 s22, s34
	s_cbranch_scc1 .LBB5_37
; %bb.28:                               ;   in Loop: Header=BB5_11 Depth=1
	v_mov_b32_e32 v5, v1
	v_mov_b32_e32 v7, v2
	;; [unrolled: 1-line block ×8, first 2 shown]
	s_branch .LBB5_11
.LBB5_29:                               ;   in Loop: Header=BB5_11 Depth=1
	v_add_co_u32 v1, s9, s10, v72
	v_add_co_ci_u32_e64 v2, null, s11, v73, s9
	global_load_dwordx4 v[1:4], v[1:2], off offset:96
	s_waitcnt vmcnt(0)
	ds_write_b128 v97, v[1:4]
	s_or_b32 exec_lo, exec_lo, s12
	s_and_saveexec_b32 s12, s1
	s_cbranch_execz .LBB5_13
.LBB5_30:                               ;   in Loop: Header=BB5_11 Depth=1
	v_add_co_u32 v1, s9, s10, v74
	v_add_co_ci_u32_e64 v2, null, s11, v75, s9
	v_add_co_u32 v1, s9, v1, v106
	v_add_co_ci_u32_e64 v2, null, 0, v2, s9
	global_load_dwordx4 v[1:4], v[1:2], off offset:64
	s_waitcnt vmcnt(0)
	ds_write_b128 v98, v[1:4]
	s_or_b32 exec_lo, exec_lo, s12
	s_and_saveexec_b32 s12, s2
	s_cbranch_execnz .LBB5_14
	s_branch .LBB5_15
.LBB5_31:                               ;   in Loop: Header=BB5_11 Depth=1
	v_add_co_u32 v9, s9, s10, v72
	v_add_co_ci_u32_e64 v10, null, s11, v73, s9
	global_load_dwordx4 v[9:12], v[9:10], off offset:208
	s_waitcnt vmcnt(0)
	ds_write_b128 v97, v[9:12]
	s_or_b32 exec_lo, exec_lo, s12
	s_and_saveexec_b32 s12, s1
	s_cbranch_execz .LBB5_17
.LBB5_32:                               ;   in Loop: Header=BB5_11 Depth=1
	v_add_co_u32 v9, s9, s10, v74
	v_add_co_ci_u32_e64 v10, null, s11, v75, s9
	v_add_co_u32 v9, s9, v9, v106
	v_add_co_ci_u32_e64 v10, null, 0, v10, s9
	global_load_dwordx4 v[9:12], v[9:10], off offset:176
	s_waitcnt vmcnt(0)
	ds_write_b128 v98, v[9:12]
	s_or_b32 exec_lo, exec_lo, s12
	s_and_saveexec_b32 s12, s2
	s_cbranch_execnz .LBB5_18
	s_branch .LBB5_19
.LBB5_33:                               ;   in Loop: Header=BB5_11 Depth=1
	v_add_co_u32 v5, s17, s41, v78
	v_add_co_ci_u32_e64 v6, null, s42, v79, s17
	v_add_co_u32 v5, s17, v5, v106
	v_add_co_ci_u32_e64 v6, null, 0, v6, s17
	global_load_dwordx4 v[5:8], v[5:6], off offset:192
	s_waitcnt vmcnt(0)
	ds_write_b128 v103, v[5:8]
	s_or_b32 exec_lo, exec_lo, s43
	s_and_saveexec_b32 s43, s6
	s_cbranch_execz .LBB5_21
.LBB5_34:                               ;   in Loop: Header=BB5_11 Depth=1
	v_add_co_u32 v5, s17, s41, v80
	v_add_co_ci_u32_e64 v6, null, s42, v81, s17
	v_add_co_u32 v5, s17, v5, v107
	v_add_co_ci_u32_e64 v6, null, 0, v6, s17
	global_load_dwordx4 v[5:8], v[5:6], off offset:128
	s_waitcnt vmcnt(0)
	ds_write_b128 v104, v[5:8]
	s_or_b32 exec_lo, exec_lo, s43
	v_lshlrev_b32_e32 v130, 2, v102
	s_and_saveexec_b32 s43, s8
	s_cbranch_execnz .LBB5_22
	s_branch .LBB5_23
.LBB5_35:                               ;   in Loop: Header=BB5_11 Depth=1
	v_add_co_u32 v131, s17, s41, v78
	v_add_co_ci_u32_e64 v132, null, s42, v79, s17
	v_add_co_u32 v131, s17, v131, v106
	v_add_co_ci_u32_e64 v132, null, 0, v132, s17
	global_load_dwordx4 v[131:134], v[131:132], off offset:192
	s_waitcnt vmcnt(0)
	ds_write_b128 v103, v[131:134]
	s_or_b32 exec_lo, exec_lo, s43
	s_and_saveexec_b32 s43, s6
	s_cbranch_execz .LBB5_25
.LBB5_36:                               ;   in Loop: Header=BB5_11 Depth=1
	v_add_co_u32 v131, s17, s41, v80
	v_add_co_ci_u32_e64 v132, null, s42, v81, s17
	v_add_co_u32 v131, s17, v131, v107
	v_add_co_ci_u32_e64 v132, null, 0, v132, s17
	global_load_dwordx4 v[131:134], v[131:132], off offset:128
	s_waitcnt vmcnt(0)
	ds_write_b128 v104, v[131:134]
	s_or_b32 exec_lo, exec_lo, s43
	s_and_saveexec_b32 s43, s8
	s_cbranch_execnz .LBB5_26
	s_branch .LBB5_27
.LBB5_37:
	v_mov_b32_e32 v5, v88
.LBB5_38:
	v_cmp_lt_i32_e32 vcc_lo, v113, v91
	s_cmp_lg_u64 s[20:21], 0
	s_cselect_b32 s1, -1, 0
	s_cmp_eq_u32 s7, 0
	v_cndmask_b32_e32 v6, v5, v113, vcc_lo
	v_cmp_lt_i32_e32 vcc_lo, v114, v91
	s_cselect_b32 s2, -1, 0
	s_and_b32 s1, s2, s1
	v_lshlrev_b32_e32 v6, 2, v6
	v_cndmask_b32_e32 v10, v5, v114, vcc_lo
	v_cmp_lt_i32_e32 vcc_lo, v115, v91
	ds_bpermute_b32 v7, v6, v120
	ds_bpermute_b32 v8, v6, v121
	ds_bpermute_b32 v9, v6, v119
	ds_bpermute_b32 v6, v6, v118
	v_lshlrev_b32_e32 v10, 2, v10
	v_cndmask_b32_e32 v14, v5, v115, vcc_lo
	v_cmp_lt_i32_e32 vcc_lo, v116, v91
	v_lshlrev_b32_e32 v14, 2, v14
	s_waitcnt lgkmcnt(3)
	v_add_f32_e32 v7, v120, v7
	s_waitcnt lgkmcnt(2)
	v_add_f32_e32 v8, v121, v8
	s_waitcnt lgkmcnt(1)
	v_add_f32_e32 v9, v119, v9
	s_waitcnt lgkmcnt(0)
	v_add_f32_e32 v6, v118, v6
	ds_bpermute_b32 v11, v10, v7
	ds_bpermute_b32 v12, v10, v8
	;; [unrolled: 1-line block ×4, first 2 shown]
	s_waitcnt lgkmcnt(3)
	v_add_f32_e32 v7, v7, v11
	s_waitcnt lgkmcnt(2)
	v_add_f32_e32 v8, v8, v12
	;; [unrolled: 2-line block ×4, first 2 shown]
	ds_bpermute_b32 v10, v14, v7
	ds_bpermute_b32 v11, v14, v8
	;; [unrolled: 1-line block ×4, first 2 shown]
	v_cndmask_b32_e32 v14, v5, v116, vcc_lo
	v_cmp_lt_i32_e32 vcc_lo, v117, v91
	v_lshlrev_b32_e32 v14, 2, v14
	v_cndmask_b32_e32 v5, v5, v117, vcc_lo
	s_and_b32 vcc_lo, exec_lo, s1
	v_lshlrev_b32_e32 v5, 2, v5
	s_waitcnt lgkmcnt(3)
	v_add_f32_e32 v7, v7, v10
	s_waitcnt lgkmcnt(2)
	v_add_f32_e32 v8, v8, v11
	;; [unrolled: 2-line block ×4, first 2 shown]
	ds_bpermute_b32 v10, v14, v7
	ds_bpermute_b32 v11, v14, v8
	;; [unrolled: 1-line block ×4, first 2 shown]
	s_waitcnt lgkmcnt(3)
	v_add_f32_e32 v7, v7, v10
	s_waitcnt lgkmcnt(2)
	v_add_f32_e32 v8, v8, v11
	;; [unrolled: 2-line block ×4, first 2 shown]
	ds_bpermute_b32 v6, v5, v7
	ds_bpermute_b32 v11, v5, v8
	;; [unrolled: 1-line block ×4, first 2 shown]
	s_waitcnt lgkmcnt(3)
	v_add_f32_e32 v5, v7, v6
	s_waitcnt lgkmcnt(2)
	v_add_f32_e32 v6, v8, v11
	;; [unrolled: 2-line block ×4, first 2 shown]
	s_cbranch_vccz .LBB5_41
; %bb.39:
	v_add_nc_u32_e32 v9, s28, v84
	v_max_f32_e32 v13, v1, v1
	v_max_f32_e32 v14, v2, v2
	v_max_f32_e32 v15, v3, v3
	v_max_f32_e32 v17, v4, v4
	v_ashrrev_i32_e32 v10, 31, v9
	v_mov_b32_e32 v21, 0x10001
	v_lshlrev_b64 v[9:10], 2, v[9:10]
	v_add_co_u32 v9, vcc_lo, s20, v9
	v_add_co_ci_u32_e64 v10, null, s21, v10, vcc_lo
	global_load_dwordx4 v[9:12], v[9:10], off
	s_waitcnt vmcnt(0)
	v_max_f32_e32 v16, v9, v9
	v_max_f32_e32 v18, v10, v10
	;; [unrolled: 1-line block ×8, first 2 shown]
	v_sub_f32_e32 v17, v1, v13
	v_sub_f32_e32 v18, v2, v14
	;; [unrolled: 1-line block ×4, first 2 shown]
	v_mov_b32_e32 v1, v13
	v_sub_f32_e32 v9, v9, v13
	v_mov_b32_e32 v2, v14
	v_mov_b32_e32 v3, v15
	;; [unrolled: 1-line block ×3, first 2 shown]
	v_mul_f32_e32 v13, 0x3fb8aa3b, v17
	v_sub_f32_e32 v10, v10, v14
	v_mul_f32_e32 v14, 0x3fb8aa3b, v9
	v_sub_f32_e32 v11, v11, v15
	v_mul_f32_e32 v15, 0x3fb8aa3b, v18
	v_fma_f32 v26, 0x3fb8aa3b, v17, -v13
	v_rndne_f32_e32 v27, v13
	v_fma_f32 v28, 0x3fb8aa3b, v9, -v14
	v_rndne_f32_e32 v29, v14
	v_sub_f32_e32 v12, v12, v16
	v_fmac_f32_e32 v26, 0x32a5705f, v17
	v_sub_f32_e32 v13, v13, v27
	v_mul_f32_e32 v16, 0x3fb8aa3b, v10
	v_fma_f32 v30, 0x3fb8aa3b, v18, -v15
	v_rndne_f32_e32 v31, v15
	v_fmac_f32_e32 v28, 0x32a5705f, v9
	v_sub_f32_e32 v14, v14, v29
	v_add_f32_e32 v13, v13, v26
	v_mul_f32_e32 v22, 0x3fb8aa3b, v19
	v_fma_f32 v32, 0x3fb8aa3b, v10, -v16
	v_rndne_f32_e32 v33, v16
	v_fmac_f32_e32 v30, 0x32a5705f, v18
	v_sub_f32_e32 v15, v15, v31
	v_add_f32_e32 v14, v14, v28
	v_exp_f32_e32 v13, v13
	v_mul_f32_e32 v23, 0x3fb8aa3b, v11
	v_fma_f32 v34, 0x3fb8aa3b, v19, -v22
	v_rndne_f32_e32 v35, v22
	v_cvt_i32_f32_e32 v27, v27
	v_fmac_f32_e32 v32, 0x32a5705f, v10
	v_sub_f32_e32 v16, v16, v33
	v_add_f32_e32 v15, v15, v30
	v_exp_f32_e32 v14, v14
	v_mul_f32_e32 v24, 0x3fb8aa3b, v20
	v_fma_f32 v36, 0x3fb8aa3b, v11, -v23
	v_rndne_f32_e32 v37, v23
	v_cvt_i32_f32_e32 v29, v29
	v_fmac_f32_e32 v34, 0x32a5705f, v19
	v_sub_f32_e32 v22, v22, v35
	v_add_f32_e32 v16, v16, v32
	v_exp_f32_e32 v15, v15
	v_ldexp_f32 v13, v13, v27
	v_cmp_ngt_f32_e32 vcc_lo, 0xc2ce8ed0, v17
	v_mul_f32_e32 v25, 0x3fb8aa3b, v12
	v_fma_f32 v38, 0x3fb8aa3b, v20, -v24
	v_rndne_f32_e32 v39, v24
	v_cvt_i32_f32_e32 v31, v31
	v_fmac_f32_e32 v36, 0x32a5705f, v11
	v_sub_f32_e32 v23, v23, v37
	v_add_f32_e32 v22, v22, v34
	v_exp_f32_e32 v16, v16
	v_ldexp_f32 v14, v14, v29
	v_cndmask_b32_e32 v13, 0, v13, vcc_lo
	v_cmp_ngt_f32_e32 vcc_lo, 0xc2ce8ed0, v9
	v_fma_f32 v40, 0x3fb8aa3b, v12, -v25
	v_rndne_f32_e32 v41, v25
	v_cvt_i32_f32_e32 v33, v33
	v_fmac_f32_e32 v38, 0x32a5705f, v20
	v_sub_f32_e32 v24, v24, v39
	v_add_f32_e32 v23, v23, v36
	v_exp_f32_e32 v22, v22
	v_ldexp_f32 v15, v15, v31
	v_cndmask_b32_e32 v14, 0, v14, vcc_lo
	v_cmp_ngt_f32_e32 vcc_lo, 0xc2ce8ed0, v18
	v_cvt_i32_f32_e32 v35, v35
	v_fmac_f32_e32 v40, 0x32a5705f, v12
	v_sub_f32_e32 v25, v25, v41
	v_add_f32_e32 v24, v24, v38
	v_exp_f32_e32 v23, v23
	v_ldexp_f32 v16, v16, v33
	v_cndmask_b32_e32 v15, 0, v15, vcc_lo
	v_cmp_ngt_f32_e32 vcc_lo, 0xc2ce8ed0, v10
	v_cvt_i32_f32_e32 v37, v37
	v_add_f32_e32 v25, v25, v40
	v_exp_f32_e32 v24, v24
	v_ldexp_f32 v22, v22, v35
	v_cndmask_b32_e32 v16, 0, v16, vcc_lo
	v_cmp_ngt_f32_e32 vcc_lo, 0xc2ce8ed0, v19
	v_exp_f32_e32 v25, v25
	v_cvt_i32_f32_e32 v26, v39
	v_ldexp_f32 v23, v23, v37
	v_cvt_i32_f32_e32 v28, v41
	v_cndmask_b32_e32 v22, 0, v22, vcc_lo
	v_cmp_ngt_f32_e32 vcc_lo, 0xc2ce8ed0, v11
	v_ldexp_f32 v24, v24, v26
	v_cndmask_b32_e32 v23, 0, v23, vcc_lo
	v_cmp_ngt_f32_e32 vcc_lo, 0xc2ce8ed0, v20
	v_ldexp_f32 v25, v25, v28
	v_cndmask_b32_e32 v24, 0, v24, vcc_lo
	v_cmp_ngt_f32_e32 vcc_lo, 0xc2ce8ed0, v12
	v_cndmask_b32_e32 v25, 0, v25, vcc_lo
	v_cmp_nlt_f32_e32 vcc_lo, 0x42b17218, v17
	v_cndmask_b32_e32 v13, 0x7f800000, v13, vcc_lo
	v_cmp_nlt_f32_e32 vcc_lo, 0x42b17218, v9
	;; [unrolled: 2-line block ×3, first 2 shown]
	v_fmac_f32_e32 v9, v5, v13
	v_cndmask_b32_e32 v14, 0x7f800000, v15, vcc_lo
	v_cmp_nlt_f32_e32 vcc_lo, 0x42b17218, v10
	v_cvt_f16_f32_e32 v5, v13
	v_cndmask_b32_e32 v10, 0x7f800000, v16, vcc_lo
	v_cmp_nlt_f32_e32 vcc_lo, 0x42b17218, v19
	v_fmac_f32_e32 v10, v6, v14
	v_cndmask_b32_e32 v15, 0x7f800000, v22, vcc_lo
	v_cmp_nlt_f32_e32 vcc_lo, 0x42b17218, v11
	v_cvt_f16_f32_e32 v6, v14
	v_cndmask_b32_e32 v11, 0x7f800000, v23, vcc_lo
	v_cmp_nlt_f32_e32 vcc_lo, 0x42b17218, v20
	v_mul_u32_u24_sdwa v14, v6, v21 dst_sel:DWORD dst_unused:UNUSED_PAD src0_sel:WORD_0 src1_sel:DWORD
	v_mov_b32_e32 v6, v10
	v_fmac_f32_e32 v11, v7, v15
	v_cndmask_b32_e32 v16, 0x7f800000, v24, vcc_lo
	v_cmp_nlt_f32_e32 vcc_lo, 0x42b17218, v12
	v_cvt_f16_f32_e32 v7, v15
	v_pk_mul_f16 v92, v92, v14
	v_pk_mul_f16 v93, v93, v14
	v_cvt_f16_f32_e32 v13, v16
	v_cndmask_b32_e32 v12, 0x7f800000, v25, vcc_lo
	v_mul_u32_u24_sdwa v15, v7, v21 dst_sel:DWORD dst_unused:UNUSED_PAD src0_sel:WORD_0 src1_sel:DWORD
	v_mov_b32_e32 v7, v11
	v_mul_u32_u24_sdwa v13, v13, v21 dst_sel:DWORD dst_unused:UNUSED_PAD src0_sel:WORD_0 src1_sel:DWORD
	v_fmac_f32_e32 v12, v8, v16
	v_mul_u32_u24_sdwa v8, v5, v21 dst_sel:DWORD dst_unused:UNUSED_PAD src0_sel:WORD_0 src1_sel:DWORD
	v_mov_b32_e32 v5, v9
	v_pk_mul_f16 v89, v89, v15
	v_pk_mul_f16 v90, v90, v15
	;; [unrolled: 1-line block ×6, first 2 shown]
	v_mov_b32_e32 v8, v12
	s_mov_b32 s1, exec_lo
	v_cmpx_gt_i32_e64 s30, v70
	s_cbranch_execnz .LBB5_42
.LBB5_40:
	s_endpgm
.LBB5_41:
	v_mov_b32_e32 v12, v8
	v_mov_b32_e32 v11, v7
	;; [unrolled: 1-line block ×4, first 2 shown]
	s_mov_b32 s1, exec_lo
	v_cmpx_gt_i32_e64 s30, v70
	s_cbranch_execz .LBB5_40
.LBB5_42:
	s_load_dword s1, s[4:5], 0xd4
	v_mov_b32_e32 v14, 1.0
	s_waitcnt lgkmcnt(0)
	s_cmp_lg_u32 s1, 1
	s_cselect_b32 s2, -1, 0
	s_cmp_eq_u32 s1, 1
	s_cselect_b32 s3, -1, 0
	s_and_b32 vcc_lo, exec_lo, s2
	s_cbranch_vccnz .LBB5_44
; %bb.43:
	v_div_scale_f32 v13, null, v5, v5, 1.0
	v_rcp_f32_e32 v14, v13
	v_fma_f32 v15, -v13, v14, 1.0
	v_fmac_f32_e32 v14, v15, v14
	v_div_scale_f32 v15, vcc_lo, 1.0, v5, 1.0
	v_mul_f32_e32 v16, v15, v14
	v_fma_f32 v17, -v13, v16, v15
	v_fmac_f32_e32 v16, v17, v14
	v_fma_f32 v13, -v13, v16, v15
	v_div_fmas_f32 v13, v13, v14, v16
	v_div_fixup_f32 v14, v13, v5, 1.0
.LBB5_44:
	v_mad_u64_u32 v[15:16], null, s33, s30, v[70:71]
	v_mul_lo_u32 v5, v15, s31
	v_add3_u32 v5, s28, v84, v5
	v_mul_lo_u32 v15, s1, v5
	v_add_nc_u32_e32 v13, s7, v15
	s_and_saveexec_b32 s4, s0
	s_cbranch_execz .LBB5_46
; %bb.45:
	v_mad_u64_u32 v[16:17], null, 0x70, v13, v[69:70]
	v_mov_b32_e32 v17, 0
	v_cvt_f32_f16_sdwa v5, v100 dst_sel:DWORD dst_unused:UNUSED_PAD src0_sel:WORD_1
	v_cvt_f32_f16_e32 v18, v100
	v_cvt_f32_f16_sdwa v22, v94 dst_sel:DWORD dst_unused:UNUSED_PAD src0_sel:WORD_1
	v_mul_f32_e32 v19, v14, v5
	v_lshlrev_b64 v[20:21], 2, v[16:17]
	v_cvt_f32_f16_e32 v16, v94
	v_mul_f32_e32 v18, v14, v18
	v_mul_f32_e32 v17, v14, v22
	;; [unrolled: 1-line block ×3, first 2 shown]
	v_add_co_u32 v20, vcc_lo, s24, v20
	v_add_co_ci_u32_e64 v21, null, s25, v21, vcc_lo
	global_store_dwordx4 v[20:21], v[16:19], off
.LBB5_46:
	s_or_b32 exec_lo, exec_lo, s4
	v_cmp_eq_u32_e32 vcc_lo, 0, v0
	s_and_b32 s2, vcc_lo, s2
	s_and_saveexec_b32 s4, s2
	s_cbranch_execz .LBB5_48
; %bb.47:
	v_ashrrev_i32_e32 v14, 31, v13
	v_mov_b32_e32 v0, v1
	v_mov_b32_e32 v1, v9
	v_lshlrev_b64 v[13:14], 3, v[13:14]
	v_add_co_u32 v13, vcc_lo, s26, v13
	v_add_co_ci_u32_e64 v14, null, s27, v14, vcc_lo
	global_store_dwordx2 v[13:14], v[0:1], off
.LBB5_48:
	s_or_b32 exec_lo, exec_lo, s4
	v_cndmask_b32_e64 v5, 0, 1, s3
	v_mov_b32_e32 v1, 1.0
	s_andn2_b32 vcc_lo, exec_lo, s3
	s_cbranch_vccz .LBB5_59
; %bb.49:
	v_add_nc_u32_e32 v6, s1, v15
	v_add_nc_u32_e32 v0, s7, v6
	s_and_saveexec_b32 s3, s0
	s_cbranch_execnz .LBB5_60
.LBB5_50:
	s_or_b32 exec_lo, exec_lo, s3
	s_and_saveexec_b32 s3, s2
	s_cbranch_execz .LBB5_52
.LBB5_51:
	v_ashrrev_i32_e32 v1, 31, v0
	v_mov_b32_e32 v9, v2
	v_lshlrev_b64 v[0:1], 3, v[0:1]
	v_add_co_u32 v0, vcc_lo, s26, v0
	v_add_co_ci_u32_e64 v1, null, s27, v1, vcc_lo
	global_store_dwordx2 v[0:1], v[9:10], off
.LBB5_52:
	s_or_b32 exec_lo, exec_lo, s3
	v_cmp_ne_u32_e32 vcc_lo, 1, v5
	v_mov_b32_e32 v1, 1.0
	s_cbranch_vccz .LBB5_61
; %bb.53:
	v_add_nc_u32_e32 v2, s1, v6
	v_add_nc_u32_e32 v0, s7, v2
	s_and_saveexec_b32 s3, s0
	s_cbranch_execnz .LBB5_62
.LBB5_54:
	s_or_b32 exec_lo, exec_lo, s3
	s_and_saveexec_b32 s3, s2
	s_cbranch_execz .LBB5_56
.LBB5_55:
	v_ashrrev_i32_e32 v1, 31, v0
	v_mov_b32_e32 v10, v3
	v_lshlrev_b64 v[0:1], 3, v[0:1]
	v_add_co_u32 v0, vcc_lo, s26, v0
	v_add_co_ci_u32_e64 v1, null, s27, v1, vcc_lo
	global_store_dwordx2 v[0:1], v[10:11], off
.LBB5_56:
	s_or_b32 exec_lo, exec_lo, s3
	v_cmp_ne_u32_e32 vcc_lo, 1, v5
	v_mov_b32_e32 v1, 1.0
	s_cbranch_vccz .LBB5_63
; %bb.57:
	v_add3_u32 v0, s7, s1, v2
	s_and_saveexec_b32 s1, s0
	s_cbranch_execnz .LBB5_64
.LBB5_58:
	s_or_b32 exec_lo, exec_lo, s1
	s_and_b32 exec_lo, exec_lo, s2
	s_cbranch_execz .LBB5_40
	s_branch .LBB5_65
.LBB5_59:
	v_div_scale_f32 v0, null, v6, v6, 1.0
	v_rcp_f32_e32 v1, v0
	v_fma_f32 v9, -v0, v1, 1.0
	v_fmac_f32_e32 v1, v9, v1
	v_div_scale_f32 v9, vcc_lo, 1.0, v6, 1.0
	v_mul_f32_e32 v13, v9, v1
	v_fma_f32 v14, -v0, v13, v9
	v_fmac_f32_e32 v13, v14, v1
	v_fma_f32 v0, -v0, v13, v9
	v_div_fmas_f32 v0, v0, v1, v13
	v_div_fixup_f32 v1, v0, v6, 1.0
	v_add_nc_u32_e32 v6, s1, v15
	v_add_nc_u32_e32 v0, s7, v6
	s_and_saveexec_b32 s3, s0
	s_cbranch_execz .LBB5_50
.LBB5_60:
	v_mad_u64_u32 v[13:14], null, 0x70, v0, v[69:70]
	v_mov_b32_e32 v14, 0
	v_cvt_f32_f16_sdwa v9, v93 dst_sel:DWORD dst_unused:UNUSED_PAD src0_sel:WORD_1
	v_cvt_f32_f16_e32 v15, v93
	v_cvt_f32_f16_sdwa v19, v92 dst_sel:DWORD dst_unused:UNUSED_PAD src0_sel:WORD_1
	v_mul_f32_e32 v16, v1, v9
	v_lshlrev_b64 v[17:18], 2, v[13:14]
	v_cvt_f32_f16_e32 v13, v92
	v_mul_f32_e32 v15, v1, v15
	v_mul_f32_e32 v14, v1, v19
	;; [unrolled: 1-line block ×3, first 2 shown]
	v_add_co_u32 v17, vcc_lo, s24, v17
	v_add_co_ci_u32_e64 v18, null, s25, v18, vcc_lo
	global_store_dwordx4 v[17:18], v[13:16], off
	s_or_b32 exec_lo, exec_lo, s3
	s_and_saveexec_b32 s3, s2
	s_cbranch_execnz .LBB5_51
	s_branch .LBB5_52
.LBB5_61:
	v_div_scale_f32 v0, null, v7, v7, 1.0
	v_rcp_f32_e32 v1, v0
	v_fma_f32 v2, -v0, v1, 1.0
	v_fmac_f32_e32 v1, v2, v1
	v_div_scale_f32 v2, vcc_lo, 1.0, v7, 1.0
	v_mul_f32_e32 v9, v2, v1
	v_fma_f32 v10, -v0, v9, v2
	v_fmac_f32_e32 v9, v10, v1
	v_fma_f32 v0, -v0, v9, v2
	v_div_fmas_f32 v0, v0, v1, v9
	v_div_fixup_f32 v1, v0, v7, 1.0
	v_add_nc_u32_e32 v2, s1, v6
	v_add_nc_u32_e32 v0, s7, v2
	s_and_saveexec_b32 s3, s0
	s_cbranch_execz .LBB5_54
.LBB5_62:
	v_mad_u64_u32 v[6:7], null, 0x70, v0, v[69:70]
	v_mov_b32_e32 v7, 0
	v_cvt_f32_f16_sdwa v9, v90 dst_sel:DWORD dst_unused:UNUSED_PAD src0_sel:WORD_1
	v_cvt_f32_f16_e32 v10, v90
	v_cvt_f32_f16_sdwa v13, v89 dst_sel:DWORD dst_unused:UNUSED_PAD src0_sel:WORD_1
	v_cvt_f32_f16_e32 v17, v89
	v_mul_f32_e32 v16, v1, v9
	v_lshlrev_b64 v[6:7], 2, v[6:7]
	v_mul_f32_e32 v15, v1, v10
	v_mul_f32_e32 v14, v1, v13
	;; [unrolled: 1-line block ×3, first 2 shown]
	v_add_co_u32 v6, vcc_lo, s24, v6
	v_add_co_ci_u32_e64 v7, null, s25, v7, vcc_lo
	global_store_dwordx4 v[6:7], v[13:16], off
	s_or_b32 exec_lo, exec_lo, s3
	s_and_saveexec_b32 s3, s2
	s_cbranch_execnz .LBB5_55
	s_branch .LBB5_56
.LBB5_63:
	v_div_scale_f32 v0, null, v8, v8, 1.0
	v_rcp_f32_e32 v1, v0
	v_fma_f32 v3, -v0, v1, 1.0
	v_fmac_f32_e32 v1, v3, v1
	v_div_scale_f32 v3, vcc_lo, 1.0, v8, 1.0
	v_mul_f32_e32 v5, v3, v1
	v_fma_f32 v6, -v0, v5, v3
	v_fmac_f32_e32 v5, v6, v1
	v_fma_f32 v0, -v0, v5, v3
	v_div_fmas_f32 v0, v0, v1, v5
	v_div_fixup_f32 v1, v0, v8, 1.0
	v_add3_u32 v0, s7, s1, v2
	s_and_saveexec_b32 s1, s0
	s_cbranch_execz .LBB5_58
.LBB5_64:
	v_mad_u64_u32 v[2:3], null, 0x70, v0, v[69:70]
	v_mov_b32_e32 v3, 0
	v_cvt_f32_f16_sdwa v5, v86 dst_sel:DWORD dst_unused:UNUSED_PAD src0_sel:WORD_1
	v_cvt_f32_f16_e32 v6, v86
	v_cvt_f32_f16_sdwa v9, v87 dst_sel:DWORD dst_unused:UNUSED_PAD src0_sel:WORD_1
	v_cvt_f32_f16_e32 v10, v87
	v_mul_f32_e32 v8, v1, v5
	v_lshlrev_b64 v[2:3], 2, v[2:3]
	v_mul_f32_e32 v7, v1, v6
	v_mul_f32_e32 v6, v1, v9
	;; [unrolled: 1-line block ×3, first 2 shown]
	v_add_co_u32 v2, vcc_lo, s24, v2
	v_add_co_ci_u32_e64 v3, null, s25, v3, vcc_lo
	global_store_dwordx4 v[2:3], v[5:8], off
	s_or_b32 exec_lo, exec_lo, s1
	s_and_b32 exec_lo, exec_lo, s2
	s_cbranch_execz .LBB5_40
.LBB5_65:
	v_ashrrev_i32_e32 v1, 31, v0
	v_mov_b32_e32 v11, v4
	v_lshlrev_b64 v[0:1], 3, v[0:1]
	v_add_co_u32 v0, vcc_lo, s26, v0
	v_add_co_ci_u32_e64 v1, null, s27, v1, vcc_lo
	global_store_dwordx2 v[0:1], v[11:12], off
	s_endpgm
	.section	.rodata,"a",@progbits
	.p2align	6, 0x0
	.amdhsa_kernel _ZL15flash_attn_tileILi112ELi112ELi4ELi8ELb0EEvPKcS1_S1_S1_S1_PKiPfP15HIP_vector_typeIfLj2EEffffjfiS5_IjLj3EEiiiiiiiiiiiliiliiiiil
		.amdhsa_group_segment_fixed_size 13376
		.amdhsa_private_segment_fixed_size 0
		.amdhsa_kernarg_size 464
		.amdhsa_user_sgpr_count 6
		.amdhsa_user_sgpr_private_segment_buffer 1
		.amdhsa_user_sgpr_dispatch_ptr 0
		.amdhsa_user_sgpr_queue_ptr 0
		.amdhsa_user_sgpr_kernarg_segment_ptr 1
		.amdhsa_user_sgpr_dispatch_id 0
		.amdhsa_user_sgpr_flat_scratch_init 0
		.amdhsa_user_sgpr_private_segment_size 0
		.amdhsa_wavefront_size32 1
		.amdhsa_uses_dynamic_stack 0
		.amdhsa_system_sgpr_private_segment_wavefront_offset 0
		.amdhsa_system_sgpr_workgroup_id_x 1
		.amdhsa_system_sgpr_workgroup_id_y 1
		.amdhsa_system_sgpr_workgroup_id_z 1
		.amdhsa_system_sgpr_workgroup_info 0
		.amdhsa_system_vgpr_workitem_id 1
		.amdhsa_next_free_vgpr 161
		.amdhsa_next_free_sgpr 44
		.amdhsa_reserve_vcc 1
		.amdhsa_reserve_flat_scratch 0
		.amdhsa_float_round_mode_32 0
		.amdhsa_float_round_mode_16_64 0
		.amdhsa_float_denorm_mode_32 3
		.amdhsa_float_denorm_mode_16_64 3
		.amdhsa_dx10_clamp 1
		.amdhsa_ieee_mode 1
		.amdhsa_fp16_overflow 0
		.amdhsa_workgroup_processor_mode 1
		.amdhsa_memory_ordered 1
		.amdhsa_forward_progress 1
		.amdhsa_shared_vgpr_count 0
		.amdhsa_exception_fp_ieee_invalid_op 0
		.amdhsa_exception_fp_denorm_src 0
		.amdhsa_exception_fp_ieee_div_zero 0
		.amdhsa_exception_fp_ieee_overflow 0
		.amdhsa_exception_fp_ieee_underflow 0
		.amdhsa_exception_fp_ieee_inexact 0
		.amdhsa_exception_int_div_zero 0
	.end_amdhsa_kernel
	.section	.text._ZL15flash_attn_tileILi112ELi112ELi4ELi8ELb0EEvPKcS1_S1_S1_S1_PKiPfP15HIP_vector_typeIfLj2EEffffjfiS5_IjLj3EEiiiiiiiiiiiliiliiiiil,"axG",@progbits,_ZL15flash_attn_tileILi112ELi112ELi4ELi8ELb0EEvPKcS1_S1_S1_S1_PKiPfP15HIP_vector_typeIfLj2EEffffjfiS5_IjLj3EEiiiiiiiiiiiliiliiiiil,comdat
.Lfunc_end5:
	.size	_ZL15flash_attn_tileILi112ELi112ELi4ELi8ELb0EEvPKcS1_S1_S1_S1_PKiPfP15HIP_vector_typeIfLj2EEffffjfiS5_IjLj3EEiiiiiiiiiiiliiliiiiil, .Lfunc_end5-_ZL15flash_attn_tileILi112ELi112ELi4ELi8ELb0EEvPKcS1_S1_S1_S1_PKiPfP15HIP_vector_typeIfLj2EEffffjfiS5_IjLj3EEiiiiiiiiiiiliiliiiiil
                                        ; -- End function
	.set _ZL15flash_attn_tileILi112ELi112ELi4ELi8ELb0EEvPKcS1_S1_S1_S1_PKiPfP15HIP_vector_typeIfLj2EEffffjfiS5_IjLj3EEiiiiiiiiiiiliiliiiiil.num_vgpr, 161
	.set _ZL15flash_attn_tileILi112ELi112ELi4ELi8ELb0EEvPKcS1_S1_S1_S1_PKiPfP15HIP_vector_typeIfLj2EEffffjfiS5_IjLj3EEiiiiiiiiiiiliiliiiiil.num_agpr, 0
	.set _ZL15flash_attn_tileILi112ELi112ELi4ELi8ELb0EEvPKcS1_S1_S1_S1_PKiPfP15HIP_vector_typeIfLj2EEffffjfiS5_IjLj3EEiiiiiiiiiiiliiliiiiil.numbered_sgpr, 44
	.set _ZL15flash_attn_tileILi112ELi112ELi4ELi8ELb0EEvPKcS1_S1_S1_S1_PKiPfP15HIP_vector_typeIfLj2EEffffjfiS5_IjLj3EEiiiiiiiiiiiliiliiiiil.num_named_barrier, 0
	.set _ZL15flash_attn_tileILi112ELi112ELi4ELi8ELb0EEvPKcS1_S1_S1_S1_PKiPfP15HIP_vector_typeIfLj2EEffffjfiS5_IjLj3EEiiiiiiiiiiiliiliiiiil.private_seg_size, 0
	.set _ZL15flash_attn_tileILi112ELi112ELi4ELi8ELb0EEvPKcS1_S1_S1_S1_PKiPfP15HIP_vector_typeIfLj2EEffffjfiS5_IjLj3EEiiiiiiiiiiiliiliiiiil.uses_vcc, 1
	.set _ZL15flash_attn_tileILi112ELi112ELi4ELi8ELb0EEvPKcS1_S1_S1_S1_PKiPfP15HIP_vector_typeIfLj2EEffffjfiS5_IjLj3EEiiiiiiiiiiiliiliiiiil.uses_flat_scratch, 0
	.set _ZL15flash_attn_tileILi112ELi112ELi4ELi8ELb0EEvPKcS1_S1_S1_S1_PKiPfP15HIP_vector_typeIfLj2EEffffjfiS5_IjLj3EEiiiiiiiiiiiliiliiiiil.has_dyn_sized_stack, 0
	.set _ZL15flash_attn_tileILi112ELi112ELi4ELi8ELb0EEvPKcS1_S1_S1_S1_PKiPfP15HIP_vector_typeIfLj2EEffffjfiS5_IjLj3EEiiiiiiiiiiiliiliiiiil.has_recursion, 0
	.set _ZL15flash_attn_tileILi112ELi112ELi4ELi8ELb0EEvPKcS1_S1_S1_S1_PKiPfP15HIP_vector_typeIfLj2EEffffjfiS5_IjLj3EEiiiiiiiiiiiliiliiiiil.has_indirect_call, 0
	.section	.AMDGPU.csdata,"",@progbits
; Kernel info:
; codeLenInByte = 16224
; TotalNumSgprs: 46
; NumVgprs: 161
; ScratchSize: 0
; MemoryBound: 0
; FloatMode: 240
; IeeeMode: 1
; LDSByteSize: 13376 bytes/workgroup (compile time only)
; SGPRBlocks: 0
; VGPRBlocks: 20
; NumSGPRsForWavesPerEU: 46
; NumVGPRsForWavesPerEU: 161
; Occupancy: 5
; WaveLimiterHint : 1
; COMPUTE_PGM_RSRC2:SCRATCH_EN: 0
; COMPUTE_PGM_RSRC2:USER_SGPR: 6
; COMPUTE_PGM_RSRC2:TRAP_HANDLER: 0
; COMPUTE_PGM_RSRC2:TGID_X_EN: 1
; COMPUTE_PGM_RSRC2:TGID_Y_EN: 1
; COMPUTE_PGM_RSRC2:TGID_Z_EN: 1
; COMPUTE_PGM_RSRC2:TIDIG_COMP_CNT: 1
	.section	.text._ZL25flash_attn_mask_to_KV_maxILi4EEvPK7__half2Piiii,"axG",@progbits,_ZL25flash_attn_mask_to_KV_maxILi4EEvPK7__half2Piiii,comdat
	.globl	_ZL25flash_attn_mask_to_KV_maxILi4EEvPK7__half2Piiii ; -- Begin function _ZL25flash_attn_mask_to_KV_maxILi4EEvPK7__half2Piiii
	.p2align	8
	.type	_ZL25flash_attn_mask_to_KV_maxILi4EEvPK7__half2Piiii,@function
_ZL25flash_attn_mask_to_KV_maxILi4EEvPK7__half2Piiii: ; @_ZL25flash_attn_mask_to_KV_maxILi4EEvPK7__half2Piiii
; %bb.0:
	s_load_dwordx4 s[8:11], s[4:5], 0x0
	s_mov_b32 s0, exec_lo
	v_cmpx_gt_u32_e32 32, v0
; %bb.1:
	v_lshlrev_b32_e32 v1, 2, v0
	v_mov_b32_e32 v2, 1
	ds_write_b32 v1, v2
; %bb.2:
	s_or_b32 exec_lo, exec_lo, s0
	s_clause 0x1
	s_load_dwordx4 s[12:15], s[4:5], 0x10
	s_load_dword s1, s[4:5], 0x20
	v_and_b32_e32 v1, 31, v0
	v_lshrrev_b32_e32 v5, 3, v0
	v_mov_b32_e32 v2, 0
	v_mov_b32_e32 v6, 0x204
	s_waitcnt lgkmcnt(0)
	v_lshlrev_b32_e32 v7, 2, v1
	s_barrier
	buffer_gl0_inv
	s_mul_i32 s0, s6, s13
	s_mul_i32 s2, s14, s7
	s_lshl_b32 s0, s0, 2
	s_add_i32 s2, s2, s0
	v_cmp_eq_u32_e64 s0, 0, v1
	s_ashr_i32 s3, s2, 31
	s_lshl_b64 s[4:5], s[2:3], 2
	s_add_u32 s3, s8, s4
	s_addc_u32 s4, s9, s5
	s_lshl_b32 s5, s12, 8
	s_branch .LBB6_4
.LBB6_3:                                ;   in Loop: Header=BB6_4 Depth=1
	s_or_b32 exec_lo, exec_lo, s8
	s_waitcnt lgkmcnt(0)
	s_barrier
	buffer_gl0_inv
	ds_read_b32 v1, v7
	s_waitcnt lgkmcnt(0)
	s_barrier
	buffer_gl0_inv
	v_cmp_ne_u32_e32 vcc_lo, 0, v1
	s_cmp_lg_u32 vcc_lo, exec_lo
	s_cselect_b32 s8, -1, 0
	s_and_b32 vcc_lo, exec_lo, s8
	s_cbranch_vccnz .LBB6_20
.LBB6_4:                                ; =>This Inner Loop Header: Depth=1
	s_mov_b32 s2, s5
	s_addk_i32 s5, 0xff00
	s_cmp_lt_i32 s5, 0
	s_cbranch_scc1 .LBB6_19
; %bb.5:                                ;   in Loop: Header=BB6_4 Depth=1
	s_lshr_b32 s8, s5, 1
	v_add_nc_u32_e32 v1, s8, v0
	v_lshlrev_b64 v[3:4], 2, v[1:2]
	v_add_co_u32 v3, vcc_lo, s3, v3
	v_add_co_ci_u32_e64 v4, null, s4, v4, vcc_lo
	global_load_dword v3, v[3:4], off
	s_waitcnt vmcnt(0)
	v_cmp_class_f16_e64 s8, v3, 0x204
	v_cmp_class_f16_sdwa s9, v3, v6 src0_sel:WORD_1 src1_sel:DWORD
	s_and_b32 s12, s8, s9
	s_mov_b32 s9, 0
	s_and_saveexec_b32 s8, s12
	s_cbranch_execz .LBB6_17
; %bb.6:                                ;   in Loop: Header=BB6_4 Depth=1
	v_add_nc_u32_e32 v3, s13, v1
	s_mov_b32 s12, 0
	v_ashrrev_i32_e32 v4, 31, v3
	v_lshlrev_b64 v[8:9], 2, v[3:4]
	v_add_co_u32 v8, vcc_lo, s3, v8
	v_add_co_ci_u32_e64 v9, null, s4, v9, vcc_lo
	global_load_dword v1, v[8:9], off
	s_waitcnt vmcnt(0)
	v_cmp_class_f16_e64 s14, v1, 0x204
	s_and_saveexec_b32 s9, s14
	s_cbranch_execz .LBB6_16
; %bb.7:                                ;   in Loop: Header=BB6_4 Depth=1
	v_cmp_class_f16_sdwa s15, v1, v6 src0_sel:WORD_1 src1_sel:DWORD
	s_mov_b32 s14, 0
	s_and_saveexec_b32 s12, s15
	s_cbranch_execz .LBB6_15
; %bb.8:                                ;   in Loop: Header=BB6_4 Depth=1
	v_add_nc_u32_e32 v3, s13, v3
	s_mov_b32 s15, 0
	v_ashrrev_i32_e32 v4, 31, v3
	v_lshlrev_b64 v[8:9], 2, v[3:4]
	v_add_co_u32 v8, vcc_lo, s3, v8
	v_add_co_ci_u32_e64 v9, null, s4, v9, vcc_lo
	global_load_dword v1, v[8:9], off
	s_waitcnt vmcnt(0)
	v_cmp_class_f16_e64 s16, v1, 0x204
	s_and_saveexec_b32 s14, s16
	s_cbranch_execz .LBB6_14
; %bb.9:                                ;   in Loop: Header=BB6_4 Depth=1
	v_cmp_class_f16_sdwa s17, v1, v6 src0_sel:WORD_1 src1_sel:DWORD
	s_mov_b32 s16, 0
	s_and_saveexec_b32 s15, s17
	s_cbranch_execz .LBB6_13
; %bb.10:                               ;   in Loop: Header=BB6_4 Depth=1
	v_add_nc_u32_e32 v3, s13, v3
	v_ashrrev_i32_e32 v4, 31, v3
	v_lshlrev_b64 v[3:4], 2, v[3:4]
	v_add_co_u32 v3, vcc_lo, s3, v3
	v_add_co_ci_u32_e64 v4, null, s4, v4, vcc_lo
	global_load_dword v1, v[3:4], off
	s_waitcnt vmcnt(0)
	v_cmp_class_f16_e64 s18, v1, 0x204
	s_and_saveexec_b32 s17, s18
; %bb.11:                               ;   in Loop: Header=BB6_4 Depth=1
	v_cmp_class_f16_sdwa s16, v1, v6 src0_sel:WORD_1 src1_sel:DWORD
	s_and_b32 s16, s16, exec_lo
; %bb.12:                               ;   in Loop: Header=BB6_4 Depth=1
	s_or_b32 exec_lo, exec_lo, s17
	s_and_b32 s16, s16, exec_lo
.LBB6_13:                               ;   in Loop: Header=BB6_4 Depth=1
	s_or_b32 exec_lo, exec_lo, s15
	s_and_b32 s15, s16, exec_lo
.LBB6_14:                               ;   in Loop: Header=BB6_4 Depth=1
	s_or_b32 exec_lo, exec_lo, s14
	s_and_b32 s14, s15, exec_lo
.LBB6_15:                               ;   in Loop: Header=BB6_4 Depth=1
	s_or_b32 exec_lo, exec_lo, s12
	s_and_b32 s12, s14, exec_lo
.LBB6_16:                               ;   in Loop: Header=BB6_4 Depth=1
	s_or_b32 exec_lo, exec_lo, s9
	s_and_b32 s9, s12, exec_lo
.LBB6_17:                               ;   in Loop: Header=BB6_4 Depth=1
	s_or_b32 exec_lo, exec_lo, s8
	v_cndmask_b32_e64 v1, 0, 1, s9
	s_mov_b32 s12, exec_lo
	v_cmp_ne_u32_e32 vcc_lo, 0, v1
	s_and_saveexec_b32 s8, s0
	s_cbranch_execz .LBB6_3
; %bb.18:                               ;   in Loop: Header=BB6_4 Depth=1
	s_cmp_eq_u32 vcc_lo, s12
	s_cselect_b32 s9, -1, 0
	v_cndmask_b32_e64 v1, 0, 1, s9
	ds_write_b32 v5, v1
	s_branch .LBB6_3
.LBB6_19:                               ;   in Loop: Header=BB6_4 Depth=1
	s_cbranch_execz .LBB6_4
.LBB6_20:
	s_mov_b32 s0, exec_lo
	v_cmpx_eq_u32_e32 0, v0
	s_cbranch_execz .LBB6_22
; %bb.21:
	s_mul_i32 s0, s1, s7
	v_mov_b32_e32 v0, 0
	s_add_i32 s0, s0, s6
	v_mov_b32_e32 v1, s2
	s_ashr_i32 s1, s0, 31
	s_lshl_b64 s[0:1], s[0:1], 2
	s_add_u32 s0, s10, s0
	s_addc_u32 s1, s11, s1
	global_store_dword v0, v1, s[0:1]
.LBB6_22:
	s_endpgm
	.section	.rodata,"a",@progbits
	.p2align	6, 0x0
	.amdhsa_kernel _ZL25flash_attn_mask_to_KV_maxILi4EEvPK7__half2Piiii
		.amdhsa_group_segment_fixed_size 128
		.amdhsa_private_segment_fixed_size 0
		.amdhsa_kernarg_size 288
		.amdhsa_user_sgpr_count 6
		.amdhsa_user_sgpr_private_segment_buffer 1
		.amdhsa_user_sgpr_dispatch_ptr 0
		.amdhsa_user_sgpr_queue_ptr 0
		.amdhsa_user_sgpr_kernarg_segment_ptr 1
		.amdhsa_user_sgpr_dispatch_id 0
		.amdhsa_user_sgpr_flat_scratch_init 0
		.amdhsa_user_sgpr_private_segment_size 0
		.amdhsa_wavefront_size32 1
		.amdhsa_uses_dynamic_stack 0
		.amdhsa_system_sgpr_private_segment_wavefront_offset 0
		.amdhsa_system_sgpr_workgroup_id_x 1
		.amdhsa_system_sgpr_workgroup_id_y 1
		.amdhsa_system_sgpr_workgroup_id_z 0
		.amdhsa_system_sgpr_workgroup_info 0
		.amdhsa_system_vgpr_workitem_id 0
		.amdhsa_next_free_vgpr 10
		.amdhsa_next_free_sgpr 19
		.amdhsa_reserve_vcc 1
		.amdhsa_reserve_flat_scratch 0
		.amdhsa_float_round_mode_32 0
		.amdhsa_float_round_mode_16_64 0
		.amdhsa_float_denorm_mode_32 3
		.amdhsa_float_denorm_mode_16_64 3
		.amdhsa_dx10_clamp 1
		.amdhsa_ieee_mode 1
		.amdhsa_fp16_overflow 0
		.amdhsa_workgroup_processor_mode 1
		.amdhsa_memory_ordered 1
		.amdhsa_forward_progress 1
		.amdhsa_shared_vgpr_count 0
		.amdhsa_exception_fp_ieee_invalid_op 0
		.amdhsa_exception_fp_denorm_src 0
		.amdhsa_exception_fp_ieee_div_zero 0
		.amdhsa_exception_fp_ieee_overflow 0
		.amdhsa_exception_fp_ieee_underflow 0
		.amdhsa_exception_fp_ieee_inexact 0
		.amdhsa_exception_int_div_zero 0
	.end_amdhsa_kernel
	.section	.text._ZL25flash_attn_mask_to_KV_maxILi4EEvPK7__half2Piiii,"axG",@progbits,_ZL25flash_attn_mask_to_KV_maxILi4EEvPK7__half2Piiii,comdat
.Lfunc_end6:
	.size	_ZL25flash_attn_mask_to_KV_maxILi4EEvPK7__half2Piiii, .Lfunc_end6-_ZL25flash_attn_mask_to_KV_maxILi4EEvPK7__half2Piiii
                                        ; -- End function
	.set _ZL25flash_attn_mask_to_KV_maxILi4EEvPK7__half2Piiii.num_vgpr, 10
	.set _ZL25flash_attn_mask_to_KV_maxILi4EEvPK7__half2Piiii.num_agpr, 0
	.set _ZL25flash_attn_mask_to_KV_maxILi4EEvPK7__half2Piiii.numbered_sgpr, 19
	.set _ZL25flash_attn_mask_to_KV_maxILi4EEvPK7__half2Piiii.num_named_barrier, 0
	.set _ZL25flash_attn_mask_to_KV_maxILi4EEvPK7__half2Piiii.private_seg_size, 0
	.set _ZL25flash_attn_mask_to_KV_maxILi4EEvPK7__half2Piiii.uses_vcc, 1
	.set _ZL25flash_attn_mask_to_KV_maxILi4EEvPK7__half2Piiii.uses_flat_scratch, 0
	.set _ZL25flash_attn_mask_to_KV_maxILi4EEvPK7__half2Piiii.has_dyn_sized_stack, 0
	.set _ZL25flash_attn_mask_to_KV_maxILi4EEvPK7__half2Piiii.has_recursion, 0
	.set _ZL25flash_attn_mask_to_KV_maxILi4EEvPK7__half2Piiii.has_indirect_call, 0
	.section	.AMDGPU.csdata,"",@progbits
; Kernel info:
; codeLenInByte = 708
; TotalNumSgprs: 21
; NumVgprs: 10
; ScratchSize: 0
; MemoryBound: 0
; FloatMode: 240
; IeeeMode: 1
; LDSByteSize: 128 bytes/workgroup (compile time only)
; SGPRBlocks: 0
; VGPRBlocks: 1
; NumSGPRsForWavesPerEU: 21
; NumVGPRsForWavesPerEU: 10
; Occupancy: 16
; WaveLimiterHint : 0
; COMPUTE_PGM_RSRC2:SCRATCH_EN: 0
; COMPUTE_PGM_RSRC2:USER_SGPR: 6
; COMPUTE_PGM_RSRC2:TRAP_HANDLER: 0
; COMPUTE_PGM_RSRC2:TGID_X_EN: 1
; COMPUTE_PGM_RSRC2:TGID_Y_EN: 1
; COMPUTE_PGM_RSRC2:TGID_Z_EN: 0
; COMPUTE_PGM_RSRC2:TIDIG_COMP_CNT: 0
	.section	.text._ZL33flash_attn_stream_k_fixup_uniformILi112ELi4ELi8EEvPfPK15HIP_vector_typeIfLj2EEiiiiiiS1_IjLj3EES5_S5_,"axG",@progbits,_ZL33flash_attn_stream_k_fixup_uniformILi112ELi4ELi8EEvPfPK15HIP_vector_typeIfLj2EEiiiiiiS1_IjLj3EES5_S5_,comdat
	.globl	_ZL33flash_attn_stream_k_fixup_uniformILi112ELi4ELi8EEvPfPK15HIP_vector_typeIfLj2EEiiiiiiS1_IjLj3EES5_S5_ ; -- Begin function _ZL33flash_attn_stream_k_fixup_uniformILi112ELi4ELi8EEvPfPK15HIP_vector_typeIfLj2EEiiiiiiS1_IjLj3EES5_S5_
	.p2align	8
	.type	_ZL33flash_attn_stream_k_fixup_uniformILi112ELi4ELi8EEvPfPK15HIP_vector_typeIfLj2EEiiiiiiS1_IjLj3EES5_S5_,@function
_ZL33flash_attn_stream_k_fixup_uniformILi112ELi4ELi8EEvPfPK15HIP_vector_typeIfLj2EEiiiiiiS1_IjLj3EES5_S5_: ; @_ZL33flash_attn_stream_k_fixup_uniformILi112ELi4ELi8EEvPfPK15HIP_vector_typeIfLj2EEiiiiiiS1_IjLj3EES5_S5_
; %bb.0:
	s_clause 0x2
	s_load_dwordx8 s[12:19], s[4:5], 0x1c
	s_load_dwordx4 s[20:23], s[4:5], 0x3c
	s_load_dwordx2 s[10:11], s[4:5], 0x10
	s_waitcnt lgkmcnt(0)
	s_mul_hi_u32 s0, s15, s6
	s_add_i32 s0, s6, s0
	s_lshr_b32 s0, s0, s16
	s_mul_i32 s1, s0, s17
	s_sub_i32 s1, s6, s1
	s_mul_hi_u32 s2, s1, s18
	s_add_i32 s2, s1, s2
	s_lshr_b32 s9, s2, s19
	s_mul_i32 s2, s9, s20
	s_sub_i32 s1, s1, s2
	s_mul_hi_u32 s2, s1, s21
	s_add_i32 s2, s1, s2
	s_lshr_b32 s2, s2, s22
	s_mul_i32 s3, s2, s23
	s_lshl_b32 s16, s2, 3
	s_sub_i32 s15, s1, s3
	s_lshl_b32 s1, s15, 2
	s_add_i32 s1, s1, s7
	s_cmp_lt_i32 s1, s10
	s_cselect_b32 s1, -1, 0
	s_add_i32 s16, s16, s8
	s_cmp_lt_i32 s16, s13
	s_cselect_b32 s2, -1, 0
	s_and_b32 s1, s1, s2
	s_andn2_b32 vcc_lo, exec_lo, s1
	s_cbranch_vccnz .LBB7_6
; %bb.1:
	s_mul_i32 s10, s0, s10
	s_load_dwordx4 s[0:3], s[4:5], 0x0
	s_add_i32 s4, s10, s7
	s_mul_i32 s9, s9, s13
	s_mul_i32 s4, s4, s11
	s_add_i32 s5, s16, s9
	s_mul_i32 s9, s11, s15
	s_add_i32 s4, s5, s4
	s_mulk_i32 s9, 0x1c0
	s_mulk_i32 s4, 0x70
	s_lshl_b32 s10, s7, 3
	v_add3_u32 v1, s4, s9, v0
	s_mul_i32 s4, s14, s6
	s_add_i32 s11, s4, s14
	v_ashrrev_i32_e32 v2, 31, v1
	v_lshlrev_b64 v[1:2], 2, v[1:2]
	s_waitcnt lgkmcnt(0)
	v_add_co_u32 v1, vcc_lo, s0, v1
	v_add_co_ci_u32_e64 v2, null, s1, v2, vcc_lo
	s_add_i32 s0, s10, s8
	s_lshl_b32 s1, s11, 5
	global_load_dword v5, v[1:2], off
	s_add_i32 s0, s0, s1
	s_sub_i32 s0, s0, 32
	s_ashr_i32 s1, s0, 31
	s_lshl_b64 s[0:1], s[0:1], 3
	s_add_u32 s0, s2, s0
	s_addc_u32 s1, s3, s1
	s_add_i32 s5, s11, -2
	s_load_dword s13, s[0:1], 0x4
	s_cmp_lt_i32 s5, s4
	s_cbranch_scc1 .LBB7_4
; %bb.2:
	s_load_dword s15, s[0:1], 0x0
	s_lshl_b32 s16, s12, 7
	s_mulk_i32 s7, 0x380
	s_ashr_i32 s17, s16, 31
	s_waitcnt lgkmcnt(0)
	v_mov_b32_e32 v6, s13
	s_lshl_b64 s[0:1], s[16:17], 2
	s_add_u32 s5, s2, s0
	s_addc_u32 s9, s3, s1
	s_add_i32 s6, s6, 1
	s_mul_i32 s0, s14, s6
	s_mul_i32 s6, s8, 0x70
	s_lshl_b32 s1, s0, 5
	s_mulk_i32 s0, 0xe00
	s_add_i32 s6, s6, s7
	s_add_i32 s1, s8, s1
	s_lshl_b32 s7, s12, 5
	s_add_i32 s6, s6, s0
	s_add_i32 s0, s1, s7
	v_add3_u32 v3, s6, v0, 0xffffe400
	v_mov_b32_e32 v0, s15
	s_add_i32 s0, s0, s10
	s_add_i32 s6, s11, -1
	s_sub_i32 s0, s0, 64
.LBB7_3:                                ; =>This Inner Loop Header: Depth=1
	v_ashrrev_i32_e32 v4, 31, v3
	s_ashr_i32 s1, s0, 31
	s_lshl_b64 s[10:11], s[0:1], 3
	s_add_u32 s10, s2, s10
	v_lshlrev_b64 v[7:8], 2, v[3:4]
	s_addc_u32 s11, s3, s11
	v_add_nc_u32_e32 v3, 0xfffff200, v3
	s_add_i32 s6, s6, -1
	s_sub_i32 s0, s0, 32
	s_cmp_le_i32 s6, s4
	v_add_co_u32 v7, vcc_lo, s5, v7
	v_add_co_ci_u32_e64 v8, null, s9, v8, vcc_lo
	s_load_dwordx2 s[10:11], s[10:11], 0x0
	global_load_dword v4, v[7:8], off
	v_max_f32_e32 v7, v0, v0
	s_waitcnt lgkmcnt(0)
	v_max_f32_e64 v8, s10, s10
	v_max_f32_e32 v7, v7, v8
	v_sub_f32_e32 v8, s10, v7
	v_sub_f32_e32 v0, v0, v7
	v_mul_f32_e32 v9, 0x3fb8aa3b, v8
	v_mul_f32_e32 v12, 0x3fb8aa3b, v0
	v_cmp_ngt_f32_e32 vcc_lo, 0xc2ce8ed0, v8
	v_fma_f32 v10, 0x3fb8aa3b, v8, -v9
	v_rndne_f32_e32 v11, v9
	v_fma_f32 v13, 0x3fb8aa3b, v0, -v12
	v_rndne_f32_e32 v14, v12
	v_fmac_f32_e32 v10, 0x32a5705f, v8
	v_sub_f32_e32 v9, v9, v11
	v_fmac_f32_e32 v13, 0x32a5705f, v0
	v_cvt_i32_f32_e32 v11, v11
	v_add_f32_e32 v9, v9, v10
	v_sub_f32_e32 v10, v12, v14
	v_exp_f32_e32 v9, v9
	v_add_f32_e32 v10, v10, v13
	v_exp_f32_e32 v10, v10
	v_ldexp_f32 v9, v9, v11
	v_cvt_i32_f32_e32 v11, v14
	v_cndmask_b32_e32 v9, 0, v9, vcc_lo
	v_cmp_nlt_f32_e32 vcc_lo, 0x42b17218, v8
	v_ldexp_f32 v10, v10, v11
	v_mov_b32_e32 v11, v6
	v_cndmask_b32_e32 v9, 0x7f800000, v9, vcc_lo
	v_cmp_ngt_f32_e32 vcc_lo, 0xc2ce8ed0, v0
	v_cndmask_b32_e32 v10, 0, v10, vcc_lo
	v_cmp_le_f32_e32 vcc_lo, 0xc1a00000, v8
	v_cndmask_b32_e32 v8, 0, v9, vcc_lo
	v_cmp_nlt_f32_e32 vcc_lo, 0x42b17218, v0
	s_waitcnt vmcnt(1)
	v_mov_b32_e32 v9, v5
	v_cndmask_b32_e32 v5, 0x7f800000, v10, vcc_lo
	v_mul_f32_e32 v10, s11, v8
	v_cmp_le_f32_e32 vcc_lo, 0xc1a00000, v0
	v_mov_b32_e32 v0, v7
	v_mov_b32_e32 v6, v10
	v_cndmask_b32_e32 v12, 0, v5, vcc_lo
	v_fmac_f32_e32 v6, v11, v12
	s_waitcnt vmcnt(0)
	v_mul_f32_e32 v5, v4, v8
	v_fmac_f32_e32 v5, v9, v12
	s_cbranch_scc0 .LBB7_3
	s_branch .LBB7_5
.LBB7_4:
	s_waitcnt lgkmcnt(0)
	v_mov_b32_e32 v6, s13
.LBB7_5:
	s_waitcnt vmcnt(0)
	v_div_scale_f32 v0, null, v6, v6, v5
	v_rcp_f32_e32 v3, v0
	v_fma_f32 v4, -v0, v3, 1.0
	v_fmac_f32_e32 v3, v4, v3
	v_div_scale_f32 v4, vcc_lo, v5, v6, v5
	v_mul_f32_e32 v7, v4, v3
	v_fma_f32 v8, -v0, v7, v4
	v_fmac_f32_e32 v7, v8, v3
	v_fma_f32 v0, -v0, v7, v4
	v_div_fmas_f32 v0, v0, v3, v7
	v_div_fixup_f32 v0, v0, v6, v5
	global_store_dword v[1:2], v0, off
.LBB7_6:
	s_endpgm
	.section	.rodata,"a",@progbits
	.p2align	6, 0x0
	.amdhsa_kernel _ZL33flash_attn_stream_k_fixup_uniformILi112ELi4ELi8EEvPfPK15HIP_vector_typeIfLj2EEiiiiiiS1_IjLj3EES5_S5_
		.amdhsa_group_segment_fixed_size 0
		.amdhsa_private_segment_fixed_size 0
		.amdhsa_kernarg_size 76
		.amdhsa_user_sgpr_count 6
		.amdhsa_user_sgpr_private_segment_buffer 1
		.amdhsa_user_sgpr_dispatch_ptr 0
		.amdhsa_user_sgpr_queue_ptr 0
		.amdhsa_user_sgpr_kernarg_segment_ptr 1
		.amdhsa_user_sgpr_dispatch_id 0
		.amdhsa_user_sgpr_flat_scratch_init 0
		.amdhsa_user_sgpr_private_segment_size 0
		.amdhsa_wavefront_size32 1
		.amdhsa_uses_dynamic_stack 0
		.amdhsa_system_sgpr_private_segment_wavefront_offset 0
		.amdhsa_system_sgpr_workgroup_id_x 1
		.amdhsa_system_sgpr_workgroup_id_y 1
		.amdhsa_system_sgpr_workgroup_id_z 1
		.amdhsa_system_sgpr_workgroup_info 0
		.amdhsa_system_vgpr_workitem_id 0
		.amdhsa_next_free_vgpr 15
		.amdhsa_next_free_sgpr 24
		.amdhsa_reserve_vcc 1
		.amdhsa_reserve_flat_scratch 0
		.amdhsa_float_round_mode_32 0
		.amdhsa_float_round_mode_16_64 0
		.amdhsa_float_denorm_mode_32 3
		.amdhsa_float_denorm_mode_16_64 3
		.amdhsa_dx10_clamp 1
		.amdhsa_ieee_mode 1
		.amdhsa_fp16_overflow 0
		.amdhsa_workgroup_processor_mode 1
		.amdhsa_memory_ordered 1
		.amdhsa_forward_progress 1
		.amdhsa_shared_vgpr_count 0
		.amdhsa_exception_fp_ieee_invalid_op 0
		.amdhsa_exception_fp_denorm_src 0
		.amdhsa_exception_fp_ieee_div_zero 0
		.amdhsa_exception_fp_ieee_overflow 0
		.amdhsa_exception_fp_ieee_underflow 0
		.amdhsa_exception_fp_ieee_inexact 0
		.amdhsa_exception_int_div_zero 0
	.end_amdhsa_kernel
	.section	.text._ZL33flash_attn_stream_k_fixup_uniformILi112ELi4ELi8EEvPfPK15HIP_vector_typeIfLj2EEiiiiiiS1_IjLj3EES5_S5_,"axG",@progbits,_ZL33flash_attn_stream_k_fixup_uniformILi112ELi4ELi8EEvPfPK15HIP_vector_typeIfLj2EEiiiiiiS1_IjLj3EES5_S5_,comdat
.Lfunc_end7:
	.size	_ZL33flash_attn_stream_k_fixup_uniformILi112ELi4ELi8EEvPfPK15HIP_vector_typeIfLj2EEiiiiiiS1_IjLj3EES5_S5_, .Lfunc_end7-_ZL33flash_attn_stream_k_fixup_uniformILi112ELi4ELi8EEvPfPK15HIP_vector_typeIfLj2EEiiiiiiS1_IjLj3EES5_S5_
                                        ; -- End function
	.set _ZL33flash_attn_stream_k_fixup_uniformILi112ELi4ELi8EEvPfPK15HIP_vector_typeIfLj2EEiiiiiiS1_IjLj3EES5_S5_.num_vgpr, 15
	.set _ZL33flash_attn_stream_k_fixup_uniformILi112ELi4ELi8EEvPfPK15HIP_vector_typeIfLj2EEiiiiiiS1_IjLj3EES5_S5_.num_agpr, 0
	.set _ZL33flash_attn_stream_k_fixup_uniformILi112ELi4ELi8EEvPfPK15HIP_vector_typeIfLj2EEiiiiiiS1_IjLj3EES5_S5_.numbered_sgpr, 24
	.set _ZL33flash_attn_stream_k_fixup_uniformILi112ELi4ELi8EEvPfPK15HIP_vector_typeIfLj2EEiiiiiiS1_IjLj3EES5_S5_.num_named_barrier, 0
	.set _ZL33flash_attn_stream_k_fixup_uniformILi112ELi4ELi8EEvPfPK15HIP_vector_typeIfLj2EEiiiiiiS1_IjLj3EES5_S5_.private_seg_size, 0
	.set _ZL33flash_attn_stream_k_fixup_uniformILi112ELi4ELi8EEvPfPK15HIP_vector_typeIfLj2EEiiiiiiS1_IjLj3EES5_S5_.uses_vcc, 1
	.set _ZL33flash_attn_stream_k_fixup_uniformILi112ELi4ELi8EEvPfPK15HIP_vector_typeIfLj2EEiiiiiiS1_IjLj3EES5_S5_.uses_flat_scratch, 0
	.set _ZL33flash_attn_stream_k_fixup_uniformILi112ELi4ELi8EEvPfPK15HIP_vector_typeIfLj2EEiiiiiiS1_IjLj3EES5_S5_.has_dyn_sized_stack, 0
	.set _ZL33flash_attn_stream_k_fixup_uniformILi112ELi4ELi8EEvPfPK15HIP_vector_typeIfLj2EEiiiiiiS1_IjLj3EES5_S5_.has_recursion, 0
	.set _ZL33flash_attn_stream_k_fixup_uniformILi112ELi4ELi8EEvPfPK15HIP_vector_typeIfLj2EEiiiiiiS1_IjLj3EES5_S5_.has_indirect_call, 0
	.section	.AMDGPU.csdata,"",@progbits
; Kernel info:
; codeLenInByte = 848
; TotalNumSgprs: 26
; NumVgprs: 15
; ScratchSize: 0
; MemoryBound: 0
; FloatMode: 240
; IeeeMode: 1
; LDSByteSize: 0 bytes/workgroup (compile time only)
; SGPRBlocks: 0
; VGPRBlocks: 1
; NumSGPRsForWavesPerEU: 26
; NumVGPRsForWavesPerEU: 15
; Occupancy: 16
; WaveLimiterHint : 0
; COMPUTE_PGM_RSRC2:SCRATCH_EN: 0
; COMPUTE_PGM_RSRC2:USER_SGPR: 6
; COMPUTE_PGM_RSRC2:TRAP_HANDLER: 0
; COMPUTE_PGM_RSRC2:TGID_X_EN: 1
; COMPUTE_PGM_RSRC2:TGID_Y_EN: 1
; COMPUTE_PGM_RSRC2:TGID_Z_EN: 1
; COMPUTE_PGM_RSRC2:TIDIG_COMP_CNT: 0
	.section	.text._ZL33flash_attn_stream_k_fixup_generalILi112ELi4ELi8EEvPfPK15HIP_vector_typeIfLj2EEiiiiS1_IjLj3EES5_S5_S5_,"axG",@progbits,_ZL33flash_attn_stream_k_fixup_generalILi112ELi4ELi8EEvPfPK15HIP_vector_typeIfLj2EEiiiiS1_IjLj3EES5_S5_S5_,comdat
	.globl	_ZL33flash_attn_stream_k_fixup_generalILi112ELi4ELi8EEvPfPK15HIP_vector_typeIfLj2EEiiiiS1_IjLj3EES5_S5_S5_ ; -- Begin function _ZL33flash_attn_stream_k_fixup_generalILi112ELi4ELi8EEvPfPK15HIP_vector_typeIfLj2EEiiiiS1_IjLj3EES5_S5_S5_
	.p2align	8
	.type	_ZL33flash_attn_stream_k_fixup_generalILi112ELi4ELi8EEvPfPK15HIP_vector_typeIfLj2EEiiiiS1_IjLj3EES5_S5_S5_,@function
_ZL33flash_attn_stream_k_fixup_generalILi112ELi4ELi8EEvPfPK15HIP_vector_typeIfLj2EEiiiiS1_IjLj3EES5_S5_S5_: ; @_ZL33flash_attn_stream_k_fixup_generalILi112ELi4ELi8EEvPfPK15HIP_vector_typeIfLj2EEiiiiS1_IjLj3EES5_S5_S5_
; %bb.0:
	s_clause 0x1
	s_load_dwordx4 s[0:3], s[4:5], 0x10
	s_load_dword s9, s[4:5], 0x50
	s_mov_b32 s16, 0
	s_waitcnt lgkmcnt(0)
	s_mul_hi_i32 s17, s3, s6
	s_mul_i32 s18, s3, s6
	s_cmp_lg_u64 s[16:17], 0
	s_cbranch_scc0 .LBB8_21
; %bb.1:
	s_add_u32 s10, s9, 0
	s_addc_u32 s11, 0, 0
	s_xor_b64 s[10:11], s[10:11], 0
	v_cvt_f32_u32_e32 v1, s10
	v_cvt_f32_u32_e32 v2, s11
	s_sub_u32 s14, 0, s10
	s_subb_u32 s15, 0, s11
	v_fmamk_f32 v1, v2, 0x4f800000, v1
	v_rcp_f32_e32 v1, v1
	v_mul_f32_e32 v1, 0x5f7ffffc, v1
	v_mul_f32_e32 v2, 0x2f800000, v1
	v_trunc_f32_e32 v2, v2
	v_fmamk_f32 v1, v2, 0xcf800000, v1
	v_cvt_u32_f32_e32 v2, v2
	v_cvt_u32_f32_e32 v1, v1
	v_readfirstlane_b32 s12, v2
	v_readfirstlane_b32 s13, v1
	s_mul_i32 s19, s14, s12
	s_mul_hi_u32 s21, s14, s13
	s_mul_i32 s20, s15, s13
	s_add_i32 s19, s21, s19
	s_mul_i32 s22, s14, s13
	s_add_i32 s19, s19, s20
	s_mul_hi_u32 s21, s13, s22
	s_mul_i32 s24, s13, s19
	s_mul_hi_u32 s23, s12, s22
	s_mul_i32 s20, s12, s22
	s_mul_hi_u32 s22, s13, s19
	s_add_u32 s21, s21, s24
	s_addc_u32 s22, 0, s22
	s_mul_hi_u32 s25, s12, s19
	s_add_u32 s20, s21, s20
	s_mul_i32 s19, s12, s19
	s_addc_u32 s20, s22, s23
	s_addc_u32 s21, s25, 0
	s_add_u32 s19, s20, s19
	s_addc_u32 s20, 0, s21
	s_add_u32 s13, s13, s19
	s_cselect_b32 s19, -1, 0
	s_mul_hi_u32 s21, s14, s13
	s_cmp_lg_u32 s19, 0
	s_mul_i32 s19, s14, s13
	s_addc_u32 s12, s12, s20
	s_mul_i32 s15, s15, s13
	s_mul_i32 s14, s14, s12
	s_mul_hi_u32 s20, s13, s19
	s_add_i32 s14, s21, s14
	s_mul_hi_u32 s21, s12, s19
	s_add_i32 s14, s14, s15
	s_mul_i32 s15, s12, s19
	s_mul_i32 s23, s13, s14
	s_mul_hi_u32 s22, s13, s14
	s_add_u32 s20, s20, s23
	s_addc_u32 s22, 0, s22
	s_mul_hi_u32 s19, s12, s14
	s_add_u32 s15, s20, s15
	s_mul_i32 s14, s12, s14
	s_addc_u32 s15, s22, s21
	s_addc_u32 s19, s19, 0
	s_add_u32 s14, s15, s14
	s_addc_u32 s15, 0, s19
	s_add_u32 s19, s13, s14
	s_cselect_b32 s13, -1, 0
	s_cmp_lg_u32 s13, 0
	s_addc_u32 s20, s12, s15
	s_ashr_i32 s12, s17, 31
	s_add_u32 s14, s18, s12
	s_mov_b32 s13, s12
	s_addc_u32 s15, s17, s12
	s_xor_b64 s[14:15], s[14:15], s[12:13]
	s_mul_i32 s21, s14, s20
	s_mul_hi_u32 s22, s14, s19
	s_mul_hi_u32 s17, s14, s20
	;; [unrolled: 1-line block ×3, first 2 shown]
	s_mul_i32 s19, s15, s19
	s_add_u32 s21, s22, s21
	s_addc_u32 s17, 0, s17
	s_mul_hi_u32 s23, s15, s20
	s_add_u32 s19, s21, s19
	s_mul_i32 s20, s15, s20
	s_addc_u32 s17, s17, s24
	s_addc_u32 s19, s23, 0
	s_add_u32 s17, s17, s20
	s_addc_u32 s19, 0, s19
	s_mul_hi_u32 s20, s10, s17
	s_mul_i32 s21, s10, s19
	s_mul_i32 s22, s11, s17
	s_add_i32 s20, s20, s21
	s_mul_i32 s21, s10, s17
	s_add_i32 s20, s20, s22
	s_sub_i32 s22, s15, s20
	s_sub_u32 s14, s14, s21
	s_cselect_b32 s21, -1, 0
	s_cmp_lg_u32 s21, 0
	s_subb_u32 s22, s22, s11
	s_sub_u32 s23, s14, s10
	s_cselect_b32 s24, -1, 0
	s_cmp_lg_u32 s24, 0
	s_subb_u32 s22, s22, 0
	s_cmp_ge_u32 s22, s11
	s_cselect_b32 s24, -1, 0
	s_cmp_ge_u32 s23, s10
	s_cselect_b32 s23, -1, 0
	s_cmp_eq_u32 s22, s11
	s_cselect_b32 s22, s23, s24
	s_add_u32 s23, s17, 1
	s_addc_u32 s24, s19, 0
	s_add_u32 s25, s17, 2
	s_addc_u32 s26, s19, 0
	s_cmp_lg_u32 s22, 0
	s_cselect_b32 s22, s25, s23
	s_cselect_b32 s23, s26, s24
	s_cmp_lg_u32 s21, 0
	s_subb_u32 s15, s15, s20
	s_cmp_ge_u32 s15, s11
	s_cselect_b32 s20, -1, 0
	s_cmp_ge_u32 s14, s10
	s_cselect_b32 s10, -1, 0
	s_cmp_eq_u32 s15, s11
	s_cselect_b32 s10, s10, s20
	s_cmp_lg_u32 s10, 0
	s_cselect_b32 s11, s23, s19
	s_cselect_b32 s10, s22, s17
	s_xor_b64 s[12:13], s[12:13], 0
	s_xor_b64 s[10:11], s[10:11], s[12:13]
	s_sub_u32 s10, s10, s12
	s_load_dwordx4 s[12:15], s[4:5], 0x44
	s_andn2_b32 vcc_lo, exec_lo, s16
	s_cbranch_vccnz .LBB8_3
.LBB8_2:
	v_cvt_f32_u32_e32 v1, s9
	s_sub_i32 s11, 0, s9
	v_rcp_iflag_f32_e32 v1, v1
	v_mul_f32_e32 v1, 0x4f7ffffe, v1
	v_cvt_u32_f32_e32 v1, v1
	v_readfirstlane_b32 s10, v1
	s_mul_i32 s11, s11, s10
	s_mul_hi_u32 s11, s10, s11
	s_add_i32 s10, s10, s11
	s_mul_hi_u32 s10, s18, s10
	s_mul_i32 s11, s10, s9
	s_waitcnt lgkmcnt(0)
	s_add_i32 s15, s10, 1
	s_sub_i32 s11, s18, s11
	s_sub_i32 s16, s11, s9
	s_cmp_ge_u32 s11, s9
	s_cselect_b32 s10, s15, s10
	s_cselect_b32 s11, s16, s11
	s_add_i32 s15, s10, 1
	s_cmp_ge_u32 s11, s9
	s_cselect_b32 s10, s15, s10
.LBB8_3:
	s_add_i32 s11, s6, 1
	s_mov_b32 s16, 0
	s_mul_hi_i32 s17, s3, s11
	s_mul_i32 s11, s3, s11
	s_cmp_lg_u64 s[16:17], 0
	s_cbranch_scc0 .LBB8_22
; %bb.4:
	s_add_u32 s18, s9, 0
	s_addc_u32 s19, 0, 0
	s_xor_b64 s[18:19], s[18:19], 0
	v_cvt_f32_u32_e32 v1, s18
	v_cvt_f32_u32_e32 v2, s19
	s_sub_u32 s21, 0, s18
	s_subb_u32 s22, 0, s19
	v_fmamk_f32 v1, v2, 0x4f800000, v1
	v_rcp_f32_e32 v1, v1
	v_mul_f32_e32 v1, 0x5f7ffffc, v1
	v_mul_f32_e32 v2, 0x2f800000, v1
	v_trunc_f32_e32 v2, v2
	v_fmamk_f32 v1, v2, 0xcf800000, v1
	v_cvt_u32_f32_e32 v2, v2
	v_cvt_u32_f32_e32 v1, v1
	s_waitcnt lgkmcnt(0)
	v_readfirstlane_b32 s15, v2
	v_readfirstlane_b32 s20, v1
	s_mul_i32 s23, s21, s15
	s_mul_hi_u32 s25, s21, s20
	s_mul_i32 s24, s22, s20
	s_add_i32 s23, s25, s23
	s_mul_i32 s26, s21, s20
	s_add_i32 s23, s23, s24
	s_mul_hi_u32 s25, s20, s26
	s_mul_i32 s28, s20, s23
	s_mul_hi_u32 s27, s15, s26
	s_mul_i32 s24, s15, s26
	s_mul_hi_u32 s26, s20, s23
	s_add_u32 s25, s25, s28
	s_addc_u32 s26, 0, s26
	s_mul_hi_u32 s29, s15, s23
	s_add_u32 s24, s25, s24
	s_mul_i32 s23, s15, s23
	s_addc_u32 s24, s26, s27
	s_addc_u32 s25, s29, 0
	s_add_u32 s23, s24, s23
	s_addc_u32 s24, 0, s25
	s_add_u32 s20, s20, s23
	s_cselect_b32 s23, -1, 0
	s_mul_hi_u32 s25, s21, s20
	s_cmp_lg_u32 s23, 0
	s_mul_i32 s23, s21, s20
	s_addc_u32 s15, s15, s24
	s_mul_i32 s22, s22, s20
	s_mul_i32 s21, s21, s15
	s_mul_hi_u32 s24, s20, s23
	s_add_i32 s21, s25, s21
	s_mul_hi_u32 s25, s15, s23
	s_add_i32 s21, s21, s22
	s_mul_i32 s22, s15, s23
	s_mul_i32 s27, s20, s21
	s_mul_hi_u32 s26, s20, s21
	s_add_u32 s24, s24, s27
	s_addc_u32 s26, 0, s26
	s_mul_hi_u32 s23, s15, s21
	s_add_u32 s22, s24, s22
	s_mul_i32 s21, s15, s21
	s_addc_u32 s22, s26, s25
	s_addc_u32 s23, s23, 0
	s_add_u32 s21, s22, s21
	s_addc_u32 s22, 0, s23
	s_add_u32 s24, s20, s21
	s_cselect_b32 s20, -1, 0
	s_cmp_lg_u32 s20, 0
	s_addc_u32 s15, s15, s22
	s_ashr_i32 s20, s17, 31
	s_add_u32 s22, s11, s20
	s_mov_b32 s21, s20
	s_addc_u32 s23, s17, s20
	s_xor_b64 s[22:23], s[22:23], s[20:21]
	s_mul_i32 s25, s22, s15
	s_mul_hi_u32 s26, s22, s24
	s_mul_hi_u32 s17, s22, s15
	;; [unrolled: 1-line block ×3, first 2 shown]
	s_mul_i32 s24, s23, s24
	s_add_u32 s25, s26, s25
	s_addc_u32 s17, 0, s17
	s_mul_hi_u32 s27, s23, s15
	s_add_u32 s24, s25, s24
	s_mul_i32 s15, s23, s15
	s_addc_u32 s17, s17, s28
	s_addc_u32 s24, s27, 0
	s_add_u32 s15, s17, s15
	s_addc_u32 s17, 0, s24
	s_mul_hi_u32 s24, s18, s15
	s_mul_i32 s25, s18, s17
	s_mul_i32 s26, s19, s15
	s_add_i32 s24, s24, s25
	s_mul_i32 s25, s18, s15
	s_add_i32 s24, s24, s26
	s_sub_i32 s26, s23, s24
	s_sub_u32 s22, s22, s25
	s_cselect_b32 s25, -1, 0
	s_cmp_lg_u32 s25, 0
	s_subb_u32 s26, s26, s19
	s_sub_u32 s27, s22, s18
	s_cselect_b32 s28, -1, 0
	s_cmp_lg_u32 s28, 0
	s_subb_u32 s26, s26, 0
	s_cmp_ge_u32 s26, s19
	s_cselect_b32 s28, -1, 0
	s_cmp_ge_u32 s27, s18
	s_cselect_b32 s27, -1, 0
	s_cmp_eq_u32 s26, s19
	s_cselect_b32 s26, s27, s28
	s_add_u32 s27, s15, 1
	s_addc_u32 s28, s17, 0
	s_add_u32 s29, s15, 2
	s_addc_u32 s30, s17, 0
	s_cmp_lg_u32 s26, 0
	s_cselect_b32 s26, s29, s27
	s_cselect_b32 s27, s30, s28
	s_cmp_lg_u32 s25, 0
	s_subb_u32 s23, s23, s24
	s_cmp_ge_u32 s23, s19
	s_cselect_b32 s24, -1, 0
	s_cmp_ge_u32 s22, s18
	s_cselect_b32 s18, -1, 0
	s_cmp_eq_u32 s23, s19
	s_cselect_b32 s18, s18, s24
	s_cmp_lg_u32 s18, 0
	s_cselect_b32 s19, s27, s17
	s_cselect_b32 s18, s26, s15
	s_xor_b64 s[20:21], s[20:21], 0
	s_xor_b64 s[18:19], s[18:19], s[20:21]
	s_sub_u32 s18, s18, s20
	s_andn2_b32 vcc_lo, exec_lo, s16
	s_cbranch_vccnz .LBB8_6
.LBB8_5:
	v_cvt_f32_u32_e32 v1, s9
	s_sub_i32 s16, 0, s9
	v_rcp_iflag_f32_e32 v1, v1
	v_mul_f32_e32 v1, 0x4f7ffffe, v1
	v_cvt_u32_f32_e32 v1, v1
	s_waitcnt lgkmcnt(0)
	v_readfirstlane_b32 s15, v1
	s_mul_i32 s16, s16, s15
	s_mul_hi_u32 s16, s15, s16
	s_add_i32 s15, s15, s16
	s_mul_hi_u32 s15, s11, s15
	s_mul_i32 s16, s15, s9
	s_sub_i32 s11, s11, s16
	s_add_i32 s16, s15, 1
	s_sub_i32 s17, s11, s9
	s_cmp_ge_u32 s11, s9
	s_cselect_b32 s15, s16, s15
	s_cselect_b32 s11, s17, s11
	s_add_i32 s16, s15, 1
	s_cmp_ge_u32 s11, s9
	s_cselect_b32 s18, s16, s15
.LBB8_6:
	s_cmp_eq_u32 s10, s18
	s_waitcnt lgkmcnt(0)
	s_mul_hi_u32 s11, s10, s12
	s_cselect_b32 s15, -1, 0
	s_add_i32 s11, s11, s10
	s_lshr_b32 s11, s11, s13
	s_mul_i32 s16, s11, s14
	s_cmp_eq_u32 s16, s10
	s_mul_hi_u32 s16, s18, s12
	s_cselect_b32 s17, -1, 0
	s_add_i32 s16, s16, s18
	s_lshr_b32 s16, s16, s13
	s_cmp_eq_u32 s11, s16
	s_mul_i32 s16, s16, s14
	s_cselect_b32 s19, -1, 0
	s_cmp_lg_u32 s16, s18
	s_cselect_b32 s16, -1, 0
	s_or_b32 s15, s15, s17
	s_and_b32 s16, s19, s16
	s_or_b32 s15, s15, s16
	s_and_b32 vcc_lo, exec_lo, s15
	s_cbranch_vccnz .LBB8_24
; %bb.7:
	s_clause 0x1
	s_load_dwordx8 s[20:27], s[4:5], 0x20
	s_load_dword s16, s[4:5], 0x40
	s_waitcnt lgkmcnt(0)
	s_mul_hi_u32 s15, s10, s20
	s_add_i32 s15, s15, s10
	s_lshr_b32 s15, s15, s21
	s_mul_i32 s17, s15, s22
	s_sub_i32 s17, s10, s17
	s_mul_hi_u32 s18, s17, s23
	s_add_i32 s18, s17, s18
	s_lshr_b32 s21, s18, s24
	s_mul_i32 s18, s21, s25
	s_sub_i32 s17, s17, s18
	s_mul_hi_u32 s18, s17, s26
	s_add_i32 s18, s17, s18
	s_lshr_b32 s18, s18, s27
	s_mul_i32 s16, s18, s16
	s_lshl_b32 s22, s18, 3
	s_sub_i32 s16, s17, s16
	s_mul_hi_u32 s17, s16, s12
	s_add_i32 s16, s16, s17
	s_lshr_b32 s20, s16, s13
	s_lshl_b32 s16, s20, 2
	s_add_i32 s16, s16, s7
	s_cmp_lt_i32 s16, s0
	s_cselect_b32 s16, -1, 0
	s_add_i32 s22, s22, s8
	s_cmp_lt_i32 s22, s2
	s_cselect_b32 s17, -1, 0
	s_and_b32 s16, s16, s17
	s_andn2_b32 vcc_lo, exec_lo, s16
	s_cbranch_vccnz .LBB8_24
; %bb.8:
	s_load_dwordx4 s[16:19], s[4:5], 0x0
	s_mov_b32 s4, 0
	s_lshl_b32 s24, s9, 7
	s_mov_b32 s25, s4
	s_lshl_b32 s5, s7, 3
	s_lshl_b64 s[24:25], s[24:25], 2
	s_mul_i32 s21, s21, s2
	s_mul_i32 s0, s15, s0
	s_add_i32 s2, s5, s8
	v_cvt_f32_u32_e32 v3, s9
	v_rcp_iflag_f32_e32 v3, v3
	s_waitcnt lgkmcnt(0)
	s_add_u32 s8, s18, s24
	s_addc_u32 s15, s19, s25
	s_add_i32 s0, s0, s7
	s_add_i32 s5, s22, s21
	s_mul_i32 s0, s0, s1
	s_mul_i32 s1, s1, s20
	s_add_i32 s0, s5, s0
	s_mulk_i32 s1, 0x1c0
	s_mulk_i32 s0, 0x70
	v_mul_f32_e32 v7, 0x4f7ffffe, v3
	v_add3_u32 v1, s1, s0, v0
	s_lshl_b32 s0, s6, 5
	s_add_i32 s0, s2, s0
	v_ashrrev_i32_e32 v2, 31, v1
	s_ashr_i32 s1, s0, 31
	s_lshl_b64 s[0:1], s[0:1], 3
	v_lshlrev_b64 v[1:2], 2, v[1:2]
	s_add_u32 s0, s18, s0
	s_addc_u32 s1, s19, s1
	s_load_dwordx2 s[0:1], s[0:1], 0x0
	v_add_co_u32 v1, vcc_lo, s16, v1
	v_add_co_ci_u32_e64 v2, null, s17, v2, vcc_lo
	s_add_i32 s17, s6, -1
	v_mad_u64_u32 v[3:4], null, 0x70, s2, v[0:1]
	global_load_dword v5, v[1:2], off
	v_cvt_u32_f32_e32 v0, v7
	s_sub_i32 s16, 0, s9
	s_waitcnt lgkmcnt(0)
	v_mov_b32_e32 v4, s1
	v_mov_b32_e32 v6, s0
.LBB8_9:                                ; =>This Inner Loop Header: Depth=1
	s_mul_hi_i32 s5, s17, s3
	s_mul_i32 s6, s17, s3
	s_cmp_lg_u64 s[4:5], 0
	s_mov_b32 s7, -1
                                        ; implicit-def: $sgpr0_sgpr1
	s_cbranch_scc0 .LBB8_11
; %bb.10:                               ;   in Loop: Header=BB8_9 Depth=1
	s_add_u32 s0, s9, 0
	s_addc_u32 s1, 0, 0
	s_xor_b64 s[0:1], s[0:1], 0
	v_cvt_f32_u32_e32 v7, s0
	v_cvt_f32_u32_e32 v8, s1
	s_sub_u32 s21, 0, s0
	s_subb_u32 s22, 0, s1
	v_fmac_f32_e32 v7, 0x4f800000, v8
	v_rcp_f32_e32 v7, v7
	v_mul_f32_e32 v7, 0x5f7ffffc, v7
	v_mul_f32_e32 v8, 0x2f800000, v7
	v_trunc_f32_e32 v8, v8
	v_fmac_f32_e32 v7, 0xcf800000, v8
	v_cvt_u32_f32_e32 v8, v8
	v_cvt_u32_f32_e32 v7, v7
	v_readfirstlane_b32 s7, v8
	v_readfirstlane_b32 s20, v7
	s_mul_i32 s23, s21, s7
	s_mul_hi_u32 s25, s21, s20
	s_mul_i32 s24, s22, s20
	s_add_i32 s23, s25, s23
	s_mul_i32 s26, s21, s20
	s_add_i32 s23, s23, s24
	s_mul_hi_u32 s25, s20, s26
	s_mul_i32 s28, s20, s23
	s_mul_hi_u32 s27, s7, s26
	s_mul_i32 s24, s7, s26
	s_mul_hi_u32 s26, s20, s23
	s_add_u32 s25, s25, s28
	s_addc_u32 s26, 0, s26
	s_mul_hi_u32 s29, s7, s23
	s_add_u32 s24, s25, s24
	s_mul_i32 s23, s7, s23
	s_addc_u32 s24, s26, s27
	s_addc_u32 s25, s29, 0
	s_add_u32 s23, s24, s23
	s_addc_u32 s24, 0, s25
	s_add_u32 s20, s20, s23
	s_cselect_b32 s23, -1, 0
	s_mul_hi_u32 s25, s21, s20
	s_cmp_lg_u32 s23, 0
	s_mul_i32 s23, s21, s20
	s_addc_u32 s7, s7, s24
	s_mul_i32 s22, s22, s20
	s_mul_i32 s21, s21, s7
	s_mul_hi_u32 s24, s20, s23
	s_add_i32 s21, s25, s21
	s_mul_hi_u32 s25, s7, s23
	s_add_i32 s21, s21, s22
	s_mul_i32 s22, s7, s23
	s_mul_i32 s27, s20, s21
	s_mul_hi_u32 s26, s20, s21
	s_add_u32 s24, s24, s27
	s_addc_u32 s26, 0, s26
	s_mul_hi_u32 s23, s7, s21
	s_add_u32 s22, s24, s22
	s_mul_i32 s21, s7, s21
	s_addc_u32 s22, s26, s25
	s_addc_u32 s23, s23, 0
	s_add_u32 s21, s22, s21
	s_addc_u32 s22, 0, s23
	s_add_u32 s24, s20, s21
	s_cselect_b32 s20, -1, 0
	s_cmp_lg_u32 s20, 0
	s_addc_u32 s7, s7, s22
	s_ashr_i32 s20, s5, 31
	s_add_u32 s22, s6, s20
	s_mov_b32 s21, s20
	s_addc_u32 s23, s5, s20
	s_xor_b64 s[22:23], s[22:23], s[20:21]
	s_mul_i32 s25, s22, s7
	s_mul_hi_u32 s26, s22, s24
	s_mul_hi_u32 s5, s22, s7
	;; [unrolled: 1-line block ×3, first 2 shown]
	s_mul_i32 s24, s23, s24
	s_add_u32 s25, s26, s25
	s_addc_u32 s5, 0, s5
	s_mul_hi_u32 s27, s23, s7
	s_add_u32 s24, s25, s24
	s_mul_i32 s7, s23, s7
	s_addc_u32 s5, s5, s28
	s_addc_u32 s24, s27, 0
	s_add_u32 s5, s5, s7
	s_addc_u32 s7, 0, s24
	s_mul_hi_u32 s24, s0, s5
	s_mul_i32 s25, s0, s7
	s_mul_i32 s26, s1, s5
	s_add_i32 s24, s24, s25
	s_mul_i32 s25, s0, s5
	s_add_i32 s24, s24, s26
	s_sub_i32 s26, s23, s24
	s_sub_u32 s22, s22, s25
	s_cselect_b32 s25, -1, 0
	s_cmp_lg_u32 s25, 0
	s_subb_u32 s26, s26, s1
	s_sub_u32 s27, s22, s0
	s_cselect_b32 s28, -1, 0
	s_cmp_lg_u32 s28, 0
	s_subb_u32 s26, s26, 0
	s_cmp_ge_u32 s26, s1
	s_cselect_b32 s28, -1, 0
	s_cmp_ge_u32 s27, s0
	s_cselect_b32 s27, -1, 0
	s_cmp_eq_u32 s26, s1
	s_cselect_b32 s26, s27, s28
	s_add_u32 s27, s5, 1
	s_addc_u32 s28, s7, 0
	s_add_u32 s29, s5, 2
	s_addc_u32 s30, s7, 0
	s_cmp_lg_u32 s26, 0
	s_cselect_b32 s26, s29, s27
	s_cselect_b32 s27, s30, s28
	s_cmp_lg_u32 s25, 0
	s_subb_u32 s23, s23, s24
	s_cmp_ge_u32 s23, s1
	s_cselect_b32 s24, -1, 0
	s_cmp_ge_u32 s22, s0
	s_cselect_b32 s0, -1, 0
	s_cmp_eq_u32 s23, s1
	s_cselect_b32 s0, s0, s24
	s_cmp_lg_u32 s0, 0
	s_cselect_b32 s1, s27, s7
	s_cselect_b32 s0, s26, s5
	s_xor_b64 s[20:21], s[20:21], 0
	s_mov_b32 s7, 0
	s_xor_b64 s[0:1], s[0:1], s[20:21]
	s_sub_u32 s0, s0, s20
.LBB8_11:                               ;   in Loop: Header=BB8_9 Depth=1
	s_andn2_b32 vcc_lo, exec_lo, s7
	s_cbranch_vccnz .LBB8_13
; %bb.12:                               ;   in Loop: Header=BB8_9 Depth=1
	v_readfirstlane_b32 s0, v0
	s_mul_i32 s1, s16, s0
	s_mul_hi_u32 s1, s0, s1
	s_add_i32 s0, s0, s1
	s_mul_hi_u32 s0, s6, s0
	s_mul_i32 s1, s0, s9
	s_add_i32 s5, s0, 1
	s_sub_i32 s1, s6, s1
	s_sub_i32 s6, s1, s9
	s_cmp_ge_u32 s1, s9
	s_cselect_b32 s0, s5, s0
	s_cselect_b32 s1, s6, s1
	s_add_i32 s5, s0, 1
	s_cmp_ge_u32 s1, s9
	s_cselect_b32 s0, s5, s0
.LBB8_13:                               ;   in Loop: Header=BB8_9 Depth=1
	s_cmp_lg_u32 s10, s0
	s_mov_b32 s6, -1
                                        ; implicit-def: $sgpr5
                                        ; implicit-def: $vgpr8
                                        ; implicit-def: $vgpr7
                                        ; implicit-def: $vgpr9
                                        ; implicit-def: $sgpr1
                                        ; implicit-def: $sgpr20
	s_cbranch_scc0 .LBB8_18
; %bb.14:                               ;   in Loop: Header=BB8_9 Depth=1
	s_add_i32 s1, s17, s9
	s_mov_b32 s7, s4
	s_lshl_b32 s1, s1, 5
	s_mov_b32 s20, s10
	s_add_i32 s6, s1, s2
	s_mul_hi_u32 s1, s0, s12
	s_lshl_b64 s[6:7], s[6:7], 3
	s_add_u32 s6, s18, s6
	s_addc_u32 s7, s19, s7
	s_add_i32 s1, s1, s0
	s_lshr_b32 s1, s1, s13
	s_mul_i32 s5, s1, s14
	s_cmp_eq_u32 s5, s0
	s_cselect_b32 s5, -1, 0
	s_cmp_lt_u32 s1, s11
	s_cselect_b32 s1, -1, 0
	s_or_b32 s1, s1, s5
	s_mov_b32 s5, -1
	s_and_b32 vcc_lo, exec_lo, s1
	s_mov_b32 s1, s17
	s_cbranch_vccnz .LBB8_16
; %bb.15:                               ;   in Loop: Header=BB8_9 Depth=1
	s_add_i32 s1, s17, -1
	s_mov_b32 s5, 0
	s_mov_b32 s20, s0
.LBB8_16:                               ;   in Loop: Header=BB8_9 Depth=1
	v_mad_u64_u32 v[7:8], null, 0xe00, s17, v[3:4]
	s_load_dwordx2 s[6:7], s[6:7], 0x0
	v_ashrrev_i32_e32 v8, 31, v7
	v_lshlrev_b64 v[7:8], 2, v[7:8]
	v_add_co_u32 v7, vcc_lo, s8, v7
	v_add_co_ci_u32_e64 v8, null, s15, v8, vcc_lo
	s_waitcnt lgkmcnt(0)
	v_max_f32_e64 v9, s6, s6
	global_load_dword v8, v[7:8], off
	v_max_f32_e32 v7, v6, v6
	v_max_f32_e32 v7, v7, v9
	v_sub_f32_e32 v9, s6, v7
	v_sub_f32_e32 v10, v6, v7
	v_mul_f32_e32 v11, 0x3fb8aa3b, v9
	v_mul_f32_e32 v12, 0x3fb8aa3b, v10
	v_cmp_ngt_f32_e32 vcc_lo, 0xc2ce8ed0, v9
	v_fma_f32 v13, 0x3fb8aa3b, v9, -v11
	v_rndne_f32_e32 v14, v11
	v_fma_f32 v15, 0x3fb8aa3b, v10, -v12
	v_rndne_f32_e32 v16, v12
	v_fmac_f32_e32 v13, 0x32a5705f, v9
	v_sub_f32_e32 v11, v11, v14
	v_fmac_f32_e32 v15, 0x32a5705f, v10
	v_sub_f32_e32 v12, v12, v16
	v_add_f32_e32 v11, v11, v13
	v_cvt_i32_f32_e32 v13, v14
	v_add_f32_e32 v12, v12, v15
	v_cvt_i32_f32_e32 v14, v16
	v_exp_f32_e32 v11, v11
	v_exp_f32_e32 v12, v12
	v_ldexp_f32 v11, v11, v13
	v_ldexp_f32 v12, v12, v14
	v_cndmask_b32_e32 v11, 0, v11, vcc_lo
	v_cmp_ngt_f32_e32 vcc_lo, 0xc2ce8ed0, v10
	v_cndmask_b32_e32 v12, 0, v12, vcc_lo
	v_cmp_nlt_f32_e32 vcc_lo, 0x42b17218, v9
	v_cndmask_b32_e32 v11, 0x7f800000, v11, vcc_lo
	v_cmp_nlt_f32_e32 vcc_lo, 0x42b17218, v10
	v_cndmask_b32_e32 v12, 0x7f800000, v12, vcc_lo
	v_cmp_le_f32_e32 vcc_lo, 0xc1a00000, v9
	v_cndmask_b32_e32 v9, 0, v11, vcc_lo
	v_cmp_le_f32_e32 vcc_lo, 0xc1a00000, v10
	v_cndmask_b32_e32 v10, 0, v12, vcc_lo
	s_waitcnt vmcnt(0)
	v_mul_f32_e32 v8, v8, v9
	v_mul_f32_e32 v9, s7, v9
	v_fmac_f32_e32 v8, v5, v10
	v_fmac_f32_e32 v9, v4, v10
	s_cbranch_execz .LBB8_19
.LBB8_17:                               ;   in Loop: Header=BB8_9 Depth=1
	s_andn2_b32 vcc_lo, exec_lo, s5
	s_cbranch_vccnz .LBB8_20
	s_branch .LBB8_23
.LBB8_18:                               ;   in Loop: Header=BB8_9 Depth=1
	s_andn2_b32 vcc_lo, exec_lo, s6
	s_cbranch_vccnz .LBB8_17
.LBB8_19:                               ;   in Loop: Header=BB8_9 Depth=1
	v_mov_b32_e32 v9, v4
	v_mov_b32_e32 v7, v6
	s_waitcnt vmcnt(0)
	v_mov_b32_e32 v8, v5
	s_add_i32 s1, s17, -1
	s_mov_b32 s20, s10
	s_cbranch_execz .LBB8_23
.LBB8_20:                               ;   in Loop: Header=BB8_9 Depth=1
	v_mov_b32_e32 v4, v9
	v_mov_b32_e32 v6, v7
	s_waitcnt vmcnt(0)
	v_mov_b32_e32 v5, v8
	s_mov_b32 s10, s20
	s_mov_b32 s17, s1
	s_branch .LBB8_9
.LBB8_21:
                                        ; implicit-def: $sgpr10_sgpr11
	s_load_dwordx4 s[12:15], s[4:5], 0x44
	s_branch .LBB8_2
.LBB8_22:
                                        ; implicit-def: $sgpr18_sgpr19
	s_branch .LBB8_5
.LBB8_23:
	v_div_scale_f32 v0, null, v9, v9, v8
	v_rcp_f32_e32 v3, v0
	v_fma_f32 v4, -v0, v3, 1.0
	v_fmac_f32_e32 v3, v4, v3
	v_div_scale_f32 v4, vcc_lo, v8, v9, v8
	s_waitcnt vmcnt(0)
	v_mul_f32_e32 v5, v4, v3
	v_fma_f32 v6, -v0, v5, v4
	v_fmac_f32_e32 v5, v6, v3
	v_fma_f32 v0, -v0, v5, v4
	v_div_fmas_f32 v0, v0, v3, v5
	v_div_fixup_f32 v0, v0, v9, v8
	global_store_dword v[1:2], v0, off
.LBB8_24:
	s_endpgm
	.section	.rodata,"a",@progbits
	.p2align	6, 0x0
	.amdhsa_kernel _ZL33flash_attn_stream_k_fixup_generalILi112ELi4ELi8EEvPfPK15HIP_vector_typeIfLj2EEiiiiS1_IjLj3EES5_S5_S5_
		.amdhsa_group_segment_fixed_size 0
		.amdhsa_private_segment_fixed_size 0
		.amdhsa_kernarg_size 336
		.amdhsa_user_sgpr_count 6
		.amdhsa_user_sgpr_private_segment_buffer 1
		.amdhsa_user_sgpr_dispatch_ptr 0
		.amdhsa_user_sgpr_queue_ptr 0
		.amdhsa_user_sgpr_kernarg_segment_ptr 1
		.amdhsa_user_sgpr_dispatch_id 0
		.amdhsa_user_sgpr_flat_scratch_init 0
		.amdhsa_user_sgpr_private_segment_size 0
		.amdhsa_wavefront_size32 1
		.amdhsa_uses_dynamic_stack 0
		.amdhsa_system_sgpr_private_segment_wavefront_offset 0
		.amdhsa_system_sgpr_workgroup_id_x 1
		.amdhsa_system_sgpr_workgroup_id_y 1
		.amdhsa_system_sgpr_workgroup_id_z 1
		.amdhsa_system_sgpr_workgroup_info 0
		.amdhsa_system_vgpr_workitem_id 0
		.amdhsa_next_free_vgpr 17
		.amdhsa_next_free_sgpr 31
		.amdhsa_reserve_vcc 1
		.amdhsa_reserve_flat_scratch 0
		.amdhsa_float_round_mode_32 0
		.amdhsa_float_round_mode_16_64 0
		.amdhsa_float_denorm_mode_32 3
		.amdhsa_float_denorm_mode_16_64 3
		.amdhsa_dx10_clamp 1
		.amdhsa_ieee_mode 1
		.amdhsa_fp16_overflow 0
		.amdhsa_workgroup_processor_mode 1
		.amdhsa_memory_ordered 1
		.amdhsa_forward_progress 1
		.amdhsa_shared_vgpr_count 0
		.amdhsa_exception_fp_ieee_invalid_op 0
		.amdhsa_exception_fp_denorm_src 0
		.amdhsa_exception_fp_ieee_div_zero 0
		.amdhsa_exception_fp_ieee_overflow 0
		.amdhsa_exception_fp_ieee_underflow 0
		.amdhsa_exception_fp_ieee_inexact 0
		.amdhsa_exception_int_div_zero 0
	.end_amdhsa_kernel
	.section	.text._ZL33flash_attn_stream_k_fixup_generalILi112ELi4ELi8EEvPfPK15HIP_vector_typeIfLj2EEiiiiS1_IjLj3EES5_S5_S5_,"axG",@progbits,_ZL33flash_attn_stream_k_fixup_generalILi112ELi4ELi8EEvPfPK15HIP_vector_typeIfLj2EEiiiiS1_IjLj3EES5_S5_S5_,comdat
.Lfunc_end8:
	.size	_ZL33flash_attn_stream_k_fixup_generalILi112ELi4ELi8EEvPfPK15HIP_vector_typeIfLj2EEiiiiS1_IjLj3EES5_S5_S5_, .Lfunc_end8-_ZL33flash_attn_stream_k_fixup_generalILi112ELi4ELi8EEvPfPK15HIP_vector_typeIfLj2EEiiiiS1_IjLj3EES5_S5_S5_
                                        ; -- End function
	.set _ZL33flash_attn_stream_k_fixup_generalILi112ELi4ELi8EEvPfPK15HIP_vector_typeIfLj2EEiiiiS1_IjLj3EES5_S5_S5_.num_vgpr, 17
	.set _ZL33flash_attn_stream_k_fixup_generalILi112ELi4ELi8EEvPfPK15HIP_vector_typeIfLj2EEiiiiS1_IjLj3EES5_S5_S5_.num_agpr, 0
	.set _ZL33flash_attn_stream_k_fixup_generalILi112ELi4ELi8EEvPfPK15HIP_vector_typeIfLj2EEiiiiS1_IjLj3EES5_S5_S5_.numbered_sgpr, 31
	.set _ZL33flash_attn_stream_k_fixup_generalILi112ELi4ELi8EEvPfPK15HIP_vector_typeIfLj2EEiiiiS1_IjLj3EES5_S5_S5_.num_named_barrier, 0
	.set _ZL33flash_attn_stream_k_fixup_generalILi112ELi4ELi8EEvPfPK15HIP_vector_typeIfLj2EEiiiiS1_IjLj3EES5_S5_S5_.private_seg_size, 0
	.set _ZL33flash_attn_stream_k_fixup_generalILi112ELi4ELi8EEvPfPK15HIP_vector_typeIfLj2EEiiiiS1_IjLj3EES5_S5_S5_.uses_vcc, 1
	.set _ZL33flash_attn_stream_k_fixup_generalILi112ELi4ELi8EEvPfPK15HIP_vector_typeIfLj2EEiiiiS1_IjLj3EES5_S5_S5_.uses_flat_scratch, 0
	.set _ZL33flash_attn_stream_k_fixup_generalILi112ELi4ELi8EEvPfPK15HIP_vector_typeIfLj2EEiiiiS1_IjLj3EES5_S5_S5_.has_dyn_sized_stack, 0
	.set _ZL33flash_attn_stream_k_fixup_generalILi112ELi4ELi8EEvPfPK15HIP_vector_typeIfLj2EEiiiiS1_IjLj3EES5_S5_S5_.has_recursion, 0
	.set _ZL33flash_attn_stream_k_fixup_generalILi112ELi4ELi8EEvPfPK15HIP_vector_typeIfLj2EEiiiiS1_IjLj3EES5_S5_S5_.has_indirect_call, 0
	.section	.AMDGPU.csdata,"",@progbits
; Kernel info:
; codeLenInByte = 2948
; TotalNumSgprs: 33
; NumVgprs: 17
; ScratchSize: 0
; MemoryBound: 0
; FloatMode: 240
; IeeeMode: 1
; LDSByteSize: 0 bytes/workgroup (compile time only)
; SGPRBlocks: 0
; VGPRBlocks: 2
; NumSGPRsForWavesPerEU: 33
; NumVGPRsForWavesPerEU: 17
; Occupancy: 16
; WaveLimiterHint : 0
; COMPUTE_PGM_RSRC2:SCRATCH_EN: 0
; COMPUTE_PGM_RSRC2:USER_SGPR: 6
; COMPUTE_PGM_RSRC2:TRAP_HANDLER: 0
; COMPUTE_PGM_RSRC2:TGID_X_EN: 1
; COMPUTE_PGM_RSRC2:TGID_Y_EN: 1
; COMPUTE_PGM_RSRC2:TGID_Z_EN: 1
; COMPUTE_PGM_RSRC2:TIDIG_COMP_CNT: 0
	.section	.text._ZL15flash_attn_tileILi112ELi112ELi2ELi8ELb0EEvPKcS1_S1_S1_S1_PKiPfP15HIP_vector_typeIfLj2EEffffjfiS5_IjLj3EEiiiiiiiiiiiliiliiiiil,"axG",@progbits,_ZL15flash_attn_tileILi112ELi112ELi2ELi8ELb0EEvPKcS1_S1_S1_S1_PKiPfP15HIP_vector_typeIfLj2EEffffjfiS5_IjLj3EEiiiiiiiiiiiliiliiiiil,comdat
	.globl	_ZL15flash_attn_tileILi112ELi112ELi2ELi8ELb0EEvPKcS1_S1_S1_S1_PKiPfP15HIP_vector_typeIfLj2EEffffjfiS5_IjLj3EEiiiiiiiiiiiliiliiiiil ; -- Begin function _ZL15flash_attn_tileILi112ELi112ELi2ELi8ELb0EEvPKcS1_S1_S1_S1_PKiPfP15HIP_vector_typeIfLj2EEffffjfiS5_IjLj3EEiiiiiiiiiiiliiliiiiil
	.p2align	8
	.type	_ZL15flash_attn_tileILi112ELi112ELi2ELi8ELb0EEvPKcS1_S1_S1_S1_PKiPfP15HIP_vector_typeIfLj2EEffffjfiS5_IjLj3EEiiiiiiiiiiiliiliiiiil,@function
_ZL15flash_attn_tileILi112ELi112ELi2ELi8ELb0EEvPKcS1_S1_S1_S1_PKiPfP15HIP_vector_typeIfLj2EEffffjfiS5_IjLj3EEiiiiiiiiiiiliiliiiiil: ; @_ZL15flash_attn_tileILi112ELi112ELi2ELi8ELb0EEvPKcS1_S1_S1_S1_PKiPfP15HIP_vector_typeIfLj2EEffffjfiS5_IjLj3EEiiiiiiiiiiiliiliiiiil
; %bb.0:
	s_clause 0x1
	s_load_dwordx4 s[24:27], s[4:5], 0x5c
	s_load_dwordx2 s[34:35], s[4:5], 0x80
	s_mov_b64 s[36:37], 0
	s_waitcnt lgkmcnt(0)
	s_ashr_i32 s0, s27, 31
	s_lshr_b32 s0, s0, 29
	s_add_i32 s0, s27, s0
	s_ashr_i32 s0, s0, 3
	v_cvt_f32_u32_e32 v2, s0
	s_sub_i32 s2, 0, s0
	v_rcp_iflag_f32_e32 v2, v2
	v_mul_f32_e32 v2, 0x4f7ffffe, v2
	v_cvt_u32_f32_e32 v2, v2
	v_readfirstlane_b32 s1, v2
	s_mul_i32 s2, s2, s1
	s_mul_hi_u32 s2, s1, s2
	s_add_i32 s1, s1, s2
	s_mul_hi_u32 s1, s8, s1
	s_mul_i32 s2, s1, s0
	s_add_i32 s3, s1, 1
	s_sub_i32 s2, s8, s2
	s_sub_i32 s9, s2, s0
	s_cmp_ge_u32 s2, s0
	s_cselect_b32 s1, s3, s1
	s_cselect_b32 s2, s9, s2
	s_add_i32 s3, s1, 1
	s_cmp_ge_u32 s2, s0
	s_cselect_b32 s33, s3, s1
	s_abs_i32 s0, s35
	s_abs_i32 s3, s27
	v_cvt_f32_u32_e32 v2, s0
	s_sub_i32 s2, 0, s0
	s_lshl_b32 s28, s8, 3
	s_mul_i32 s29, s33, s27
	v_rcp_iflag_f32_e32 v2, v2
	v_mul_f32_e32 v2, 0x4f7ffffe, v2
	v_cvt_u32_f32_e32 v2, v2
	v_readfirstlane_b32 s1, v2
	s_mul_i32 s2, s2, s1
	s_mul_hi_u32 s2, s1, s2
	s_add_i32 s1, s1, s2
	s_xor_b32 s2, s27, s35
	s_mul_hi_u32 s1, s3, s1
	s_ashr_i32 s2, s2, 31
	s_mul_i32 s8, s1, s0
	s_sub_i32 s3, s3, s8
	s_add_i32 s8, s1, 1
	s_sub_i32 s9, s3, s0
	s_cmp_ge_u32 s3, s0
	s_cselect_b32 s1, s8, s1
	s_cselect_b32 s3, s9, s3
	s_add_i32 s8, s1, 1
	s_cmp_ge_u32 s3, s0
	s_cselect_b32 s0, s8, s1
	s_xor_b32 s0, s0, s2
	s_sub_i32 s3, s0, s2
	s_clause 0x1
	s_load_dwordx16 s[8:23], s[4:5], 0x0
	s_load_dwordx2 s[0:1], s[4:5], 0xb8
	s_abs_i32 s2, s3
	v_cvt_f32_u32_e32 v2, s2
	v_rcp_iflag_f32_e32 v2, v2
	v_mul_f32_e32 v2, 0x4f7ffffe, v2
	s_waitcnt lgkmcnt(0)
	s_cmp_eq_u64 s[14:15], 0
	v_cvt_u32_f32_e32 v2, v2
	v_readfirstlane_b32 s35, v2
	s_cbranch_scc1 .LBB9_2
; %bb.1:
	s_abs_i32 s0, s0
	s_abs_i32 s36, s33
	v_cvt_f32_u32_e32 v2, s0
	s_sub_i32 s31, 0, s0
	v_rcp_iflag_f32_e32 v2, v2
	v_mul_f32_e32 v2, 0x4f7ffffe, v2
	v_cvt_u32_f32_e32 v2, v2
	v_readfirstlane_b32 s30, v2
	s_mul_i32 s31, s31, s30
	s_mul_hi_u32 s31, s30, s31
	s_add_i32 s30, s30, s31
	s_mul_hi_u32 s37, s36, s30
	s_load_dwordx2 s[30:31], s[4:5], 0xc8
	s_mul_i32 s37, s37, s0
	s_sub_i32 s36, s36, s37
	s_ashr_i32 s37, s33, 31
	s_sub_i32 s38, s36, s0
	s_cmp_ge_u32 s36, s0
	s_cselect_b32 s36, s38, s36
	s_sub_i32 s38, s36, s0
	s_cmp_ge_u32 s36, s0
	s_cselect_b32 s0, s38, s36
	s_xor_b32 s0, s0, s37
	s_sub_i32 s0, s0, s37
	s_ashr_i32 s36, s0, 31
	s_waitcnt lgkmcnt(0)
	s_mul_hi_u32 s37, s30, s0
	s_mul_i32 s36, s30, s36
	s_mul_i32 s31, s31, s0
	s_add_i32 s36, s37, s36
	s_mul_i32 s0, s30, s0
	s_add_i32 s30, s36, s31
	s_add_u32 s36, s14, s0
	s_addc_u32 s37, s15, s30
.LBB9_2:
	v_lshrrev_b32_e32 v2, 2, v1
	v_lshlrev_b32_e32 v3, 1, v1
	v_cmp_gt_u32_e64 s0, 28, v0
	v_lshlrev_b32_e32 v49, 2, v0
	v_lshlrev_b32_e32 v67, 3, v0
	v_lshl_add_u32 v50, s6, 1, v2
	v_and_b32_e32 v66, 6, v3
	v_mul_hi_u32 v2, s24, v50
	s_sub_i32 s24, s28, s29
	v_add_nc_u32_e32 v2, v50, v2
	v_lshrrev_b32_e32 v2, s25, v2
	v_mul_lo_u32 v2, v2, s26
	v_sub_nc_u32_e32 v2, v50, v2
	s_and_saveexec_b32 s14, s0
	s_cbranch_execz .LBB9_4
; %bb.3:
	s_load_dwordx4 s[28:31], s[4:5], 0x70
	v_or_b32_e32 v12, 1, v3
	v_and_b32_e32 v13, 7, v12
	s_waitcnt lgkmcnt(0)
	s_mul_i32 s15, s33, s30
	s_mul_i32 s25, s24, s29
	s_ashr_i32 s31, s15, 31
	s_add_u32 s8, s8, s15
	s_addc_u32 s9, s9, s31
	s_ashr_i32 s15, s25, 31
	s_add_u32 s25, s8, s25
	s_mov_b32 s30, s28
	s_addc_u32 s15, s9, s15
	s_ashr_i32 s31, s28, 31
	s_lshr_b64 s[8:9], s[30:31], 2
	s_ashr_i32 s9, s29, 31
	v_mad_u64_u32 v[3:4], null, s8, v2, 0
	s_mov_b32 s8, s29
	s_lshr_b64 s[28:29], s[8:9], 2
	s_lshr_b32 s8, s31, 2
	v_mad_u64_u32 v[5:6], null, s28, v66, 0
	v_mad_u64_u32 v[7:8], null, s28, v13, 0
	;; [unrolled: 1-line block ×3, first 2 shown]
	v_mov_b32_e32 v4, v6
	s_lshr_b32 s8, s9, 2
	v_mov_b32_e32 v6, v8
	v_mad_u64_u32 v[10:11], null, s8, v66, v[4:5]
	v_mov_b32_e32 v4, v9
	v_mad_u64_u32 v[8:9], null, s8, v13, v[6:7]
	v_lshlrev_b32_e32 v9, 2, v49
	s_load_dword s8, s[4:5], 0x40
	v_lshlrev_b64 v[3:4], 2, v[3:4]
	v_mov_b32_e32 v6, v10
	v_add_co_u32 v10, vcc_lo, s25, v3
	v_add_co_ci_u32_e64 v11, null, s15, v4, vcc_lo
	v_lshlrev_b64 v[3:4], 2, v[5:6]
	v_add_co_u32 v9, vcc_lo, v10, v9
	v_lshlrev_b64 v[5:6], 2, v[7:8]
	v_add_co_ci_u32_e64 v10, null, 0, v11, vcc_lo
	v_add_co_u32 v3, vcc_lo, v9, v3
	v_add_nc_u32_e32 v11, 0x1040, v67
	v_add_co_ci_u32_e64 v4, null, v10, v4, vcc_lo
	v_add_co_u32 v7, vcc_lo, v9, v5
	v_add_co_ci_u32_e64 v8, null, v10, v6, vcc_lo
	s_clause 0x1
	global_load_dwordx4 v[3:6], v[3:4], off
	global_load_dwordx4 v[7:10], v[7:8], off
	v_mad_u32_u24 v13, 0x1c0, v1, v11
	s_waitcnt vmcnt(1) lgkmcnt(0)
	v_fma_mixlo_f16 v3, s8, v3, 0
	v_fma_mixlo_f16 v4, s8, v4, 0
	s_waitcnt vmcnt(0)
	v_fma_mixlo_f16 v7, s8, v7, 0
	v_fma_mixlo_f16 v8, s8, v8, 0
	;; [unrolled: 1-line block ×4, first 2 shown]
	v_lshlrev_b32_e32 v4, 16, v4
	v_and_b32_e32 v3, 0xffff, v3
	v_fma_mixlo_f16 v9, s8, v9, 0
	v_fma_mixlo_f16 v10, s8, v10, 0
	v_lshlrev_b32_e32 v8, 16, v8
	v_and_b32_e32 v7, 0xffff, v7
	v_lshlrev_b32_e32 v6, 16, v6
	v_and_b32_e32 v5, 0xffff, v5
	v_or_b32_e32 v3, v4, v3
	v_lshlrev_b32_e32 v10, 16, v10
	v_and_b32_e32 v9, 0xffff, v9
	v_or_b32_e32 v7, v8, v7
	v_or3_b32 v4, v6, v5, 0
	v_or3_b32 v3, 0, 0, v3
	v_mad_u32_u24 v8, 0xe0, v12, v11
	v_or3_b32 v6, v10, v9, 0
	v_or3_b32 v5, 0, 0, v7
	ds_write_b64 v13, v[3:4]
	ds_write_b64 v8, v[5:6]
.LBB9_4:
	s_or_b32 exec_lo, exec_lo, s14
	s_cmp_eq_u64 s[18:19], 0
	s_waitcnt lgkmcnt(0)
	s_barrier
	buffer_gl0_inv
	s_cbranch_scc1 .LBB9_6
; %bb.5:
	s_load_dword s8, s[4:5], 0xd0
	s_mov_b32 s9, 0
	s_waitcnt lgkmcnt(0)
	s_mul_i32 s8, s8, s33
	s_add_i32 s8, s8, s6
	s_lshl_b64 s[8:9], s[8:9], 2
	s_add_u32 s8, s18, s8
	s_addc_u32 s9, s19, s9
	s_load_dword s34, s[8:9], 0x0
.LBB9_6:
	v_mbcnt_lo_u32_b32 v68, -1, 0
	s_lshl_b32 s18, s7, 5
	s_waitcnt lgkmcnt(0)
	s_cmp_lt_i32 s18, s34
	s_cbranch_scc1 .LBB9_9
; %bb.7:
	v_mbcnt_lo_u32_b32 v3, -1, 0
	v_mov_b32_e32 v70, 32
	v_xor_b32_e32 v89, 16, v3
	v_xor_b32_e32 v90, 8, v3
	;; [unrolled: 1-line block ×5, first 2 shown]
	s_cbranch_execz .LBB9_10
; %bb.8:
	v_mov_b32_e32 v78, 0
	v_mov_b32_e32 v94, 0
	;; [unrolled: 1-line block ×8, first 2 shown]
	s_branch .LBB9_38
.LBB9_9:
                                        ; implicit-def: $vgpr3
                                        ; implicit-def: $vgpr70
                                        ; implicit-def: $vgpr89
                                        ; implicit-def: $vgpr90
                                        ; implicit-def: $vgpr91
                                        ; implicit-def: $vgpr92
                                        ; implicit-def: $vgpr93
.LBB9_10:
	s_clause 0x1
	s_load_dwordx4 s[28:31], s[4:5], 0x98
	s_load_dwordx2 s[8:9], s[4:5], 0x8c
	s_sub_i32 s6, 0, s2
	s_abs_i32 s38, s24
	s_mul_i32 s6, s6, s35
	s_ashr_i32 s39, s24, 31
	s_mul_hi_u32 s6, s35, s6
	s_ashr_i32 s3, s3, 31
	s_add_i32 s35, s35, s6
	s_ashr_i32 s6, s1, 1
	s_mul_hi_u32 s1, s38, s35
	s_ashr_i32 s35, s33, 31
	s_load_dwordx2 s[14:15], s[4:5], 0xa8
	s_mul_i32 s40, s1, s2
	v_lshrrev_b32_e32 v3, 1, v0
	v_lshrrev_b32_e32 v4, 2, v0
	v_and_b32_e32 v15, 4, v49
	v_mad_u64_u32 v[51:52], null, v2, s6, v[0:1]
	v_lshl_add_u32 v9, v1, 4, v3
	s_waitcnt lgkmcnt(0)
	s_ashr_i32 s19, s30, 2
	s_ashr_i32 s25, s8, 2
	s_mul_hi_u32 s8, s28, s33
	s_mul_i32 s30, s28, s35
	s_mul_i32 s29, s29, s33
	s_add_i32 s8, s8, s30
	s_mul_i32 s28, s28, s33
	s_add_i32 s8, s8, s29
	s_add_u32 s10, s10, s28
	s_addc_u32 s8, s11, s8
	s_sub_i32 s11, s38, s40
	s_xor_b32 s3, s39, s3
	s_add_i32 s28, s1, 1
	s_sub_i32 s29, s11, s2
	s_cmp_ge_u32 s11, s2
	v_lshrrev_b32_e32 v2, 3, v0
	s_cselect_b32 s1, s28, s1
	s_cselect_b32 s11, s29, s11
	s_add_i32 s28, s1, 1
	s_cmp_ge_u32 s11, s2
	s_mul_hi_u32 s2, s14, s33
	s_cselect_b32 s1, s28, s1
	s_mul_i32 s11, s14, s35
	s_xor_b32 s1, s1, s3
	s_mul_i32 s14, s14, s33
	s_sub_i32 s1, s1, s3
	s_mul_i32 s3, s15, s33
	s_mul_i32 s9, s1, s9
	;; [unrolled: 1-line block ×3, first 2 shown]
	s_ashr_i32 s15, s9, 31
	s_add_u32 s28, s10, s9
	s_addc_u32 s29, s8, s15
	s_add_i32 s2, s2, s11
	v_lshl_add_u32 v5, v1, 5, v0
	s_add_i32 s2, s2, s3
	s_add_u32 s3, s12, s14
	s_addc_u32 s9, s13, s2
	s_ashr_i32 s10, s1, 31
	s_add_u32 s30, s3, s1
	s_movk_i32 s3, 0x1c0
	v_lshl_add_u32 v10, v1, 3, v4
	v_lshlrev_b32_e32 v6, 7, v9
	v_lshlrev_b32_e32 v11, 2, v15
	v_mad_u32_u24 v76, v1, s3, 0x1040
	v_mul_u32_u24_e32 v13, 0xe0, v9
	v_lshl_add_u32 v77, v1, 7, 0x1e40
	v_lshl_add_u32 v1, v1, 2, v2
	v_and_b32_e32 v16, 12, v49
	v_cmp_gt_u32_e32 vcc_lo, 32, v5
	v_cmp_gt_u32_e64 s1, 32, v9
	v_mul_lo_u32 v3, s25, v5
	v_mul_lo_u32 v5, s25, v9
	;; [unrolled: 1-line block ×3, first 2 shown]
	v_or3_b32 v74, v6, v11, 64
	v_cmp_gt_u32_e64 s3, 16, v9
	v_or_b32_e32 v2, v13, v11
	v_mul_lo_u32 v9, s19, v9
	v_mul_lo_u32 v11, s19, v10
	;; [unrolled: 1-line block ×3, first 2 shown]
	v_lshlrev_b32_e32 v12, 2, v16
	v_mul_u32_u24_e32 v14, 0xe0, v10
	v_and_b32_e32 v79, 28, v49
	v_cmp_gt_u32_e64 s2, 32, v10
	v_ashrrev_i32_e32 v4, 31, v3
	v_ashrrev_i32_e32 v6, 31, v5
	v_lshl_or_b32 v75, v10, 7, v12
	v_ashrrev_i32_e32 v8, 31, v7
	v_cmp_gt_u32_e64 s6, 16, v10
	v_ashrrev_i32_e32 v10, 31, v9
	v_add3_u32 v81, v14, v12, 0x80
	v_ashrrev_i32_e32 v12, 31, v11
	v_ashrrev_i32_e32 v14, 31, v13
	v_lshlrev_b32_e32 v72, 7, v0
	v_lshlrev_b32_e32 v17, 2, v79
	v_lshlrev_b64 v[52:53], 2, v[3:4]
	v_lshlrev_b64 v[54:55], 2, v[5:6]
	;; [unrolled: 1-line block ×6, first 2 shown]
	v_or_b32_e32 v73, 0x60, v72
	v_mov_b32_e32 v69, 0
	v_cmp_gt_u32_e64 s8, 16, v1
	v_add_nc_u32_e32 v80, 0xc0, v2
	v_mad_u32_u24 v82, 0xe0, v1, v17
	v_mov_b32_e32 v1, 0xfeffffff
	v_mov_b32_e32 v70, 32
	v_lshlrev_b32_e32 v84, 2, v15
	v_lshlrev_b32_e32 v85, 2, v16
	v_mov_b32_e32 v86, 0x10001
	v_mov_b32_e32 v71, 0
	;; [unrolled: 1-line block ×7, first 2 shown]
	s_addc_u32 s31, s9, s10
	s_add_u32 s14, s4, 0xd0
	s_addc_u32 s15, s5, 0
.LBB9_11:                               ; =>This Inner Loop Header: Depth=1
	s_mul_hi_i32 s11, s18, s25
	s_mul_i32 s10, s18, s25
	s_lshl_b64 s[10:11], s[10:11], 2
	s_add_u32 s10, s28, s10
	s_addc_u32 s11, s29, s11
	s_and_saveexec_b32 s12, vcc_lo
	s_cbranch_execnz .LBB9_29
; %bb.12:                               ;   in Loop: Header=BB9_11 Depth=1
	s_or_b32 exec_lo, exec_lo, s12
	s_and_saveexec_b32 s12, s1
	s_cbranch_execnz .LBB9_30
.LBB9_13:                               ;   in Loop: Header=BB9_11 Depth=1
	s_or_b32 exec_lo, exec_lo, s12
	s_and_saveexec_b32 s12, s2
	s_cbranch_execz .LBB9_15
.LBB9_14:                               ;   in Loop: Header=BB9_11 Depth=1
	v_add_co_u32 v3, s9, s10, v56
	v_add_co_ci_u32_e64 v4, null, s11, v57, s9
	v_add_co_u32 v3, s9, v3, v85
	v_add_co_ci_u32_e64 v4, null, 0, v4, s9
	global_load_dwordx4 v[3:6], v[3:4], off
	s_waitcnt vmcnt(0)
	ds_write_b128 v75, v[3:6]
.LBB9_15:                               ;   in Loop: Header=BB9_11 Depth=1
	s_or_b32 exec_lo, exec_lo, s12
	s_waitcnt lgkmcnt(0)
	s_barrier
	buffer_gl0_inv
	ds_read_b128 v[5:8], v72
	ds_read_b128 v[9:12], v76
	ds_read_b128 v[13:16], v76 offset:224
	v_mov_b32_e32 v4, 0
	v_mov_b32_e32 v3, 0
	s_waitcnt lgkmcnt(1)
	;;#ASMSTART
	v_dot2_f32_f16 v4, v5, v9, v4
	;;#ASMEND
	;;#ASMSTART
	v_dot2_f32_f16 v4, v6, v10, v4
	;;#ASMEND
	;;#ASMSTART
	v_dot2_f32_f16 v4, v7, v11, v4
	;;#ASMEND
	;;#ASMSTART
	v_dot2_f32_f16 v4, v8, v12, v4
	;;#ASMEND
	s_waitcnt lgkmcnt(0)
	;;#ASMSTART
	v_dot2_f32_f16 v3, v5, v13, v3
	;;#ASMEND
	;;#ASMSTART
	v_dot2_f32_f16 v3, v6, v14, v3
	;;#ASMEND
	;;#ASMSTART
	v_dot2_f32_f16 v3, v7, v15, v3
	;;#ASMEND
	;;#ASMSTART
	v_dot2_f32_f16 v3, v8, v16, v3
	;;#ASMEND
	ds_read_b128 v[5:8], v72 offset:16
	ds_read_b128 v[9:12], v76 offset:16
	ds_read_b128 v[13:16], v76 offset:240
	s_waitcnt lgkmcnt(1)
	;;#ASMSTART
	v_dot2_f32_f16 v4, v5, v9, v4
	;;#ASMEND
	;;#ASMSTART
	v_dot2_f32_f16 v4, v6, v10, v4
	;;#ASMEND
	;;#ASMSTART
	v_dot2_f32_f16 v4, v7, v11, v4
	;;#ASMEND
	;;#ASMSTART
	v_dot2_f32_f16 v4, v8, v12, v4
	;;#ASMEND
	s_waitcnt lgkmcnt(0)
	;;#ASMSTART
	v_dot2_f32_f16 v3, v5, v13, v3
	;;#ASMEND
	;;#ASMSTART
	v_dot2_f32_f16 v3, v6, v14, v3
	;;#ASMEND
	;;#ASMSTART
	v_dot2_f32_f16 v3, v7, v15, v3
	;;#ASMEND
	;;#ASMSTART
	v_dot2_f32_f16 v3, v8, v16, v3
	;;#ASMEND
	ds_read_b128 v[5:8], v72 offset:32
	ds_read_b128 v[9:12], v76 offset:32
	ds_read_b128 v[13:16], v76 offset:256
	;; [unrolled: 29-line block ×6, first 2 shown]
	s_waitcnt lgkmcnt(1)
	;;#ASMSTART
	v_dot2_f32_f16 v4, v5, v9, v4
	;;#ASMEND
	;;#ASMSTART
	v_dot2_f32_f16 v4, v6, v10, v4
	;;#ASMEND
	;; [unrolled: 3-line block ×4, first 2 shown]
	s_waitcnt lgkmcnt(0)
	;;#ASMSTART
	v_dot2_f32_f16 v3, v5, v13, v3
	;;#ASMEND
	;;#ASMSTART
	v_dot2_f32_f16 v3, v6, v14, v3
	;;#ASMEND
	;; [unrolled: 3-line block ×4, first 2 shown]
	s_barrier
	buffer_gl0_inv
	s_and_saveexec_b32 s12, vcc_lo
	s_cbranch_execnz .LBB9_31
; %bb.16:                               ;   in Loop: Header=BB9_11 Depth=1
	s_or_b32 exec_lo, exec_lo, s12
	s_and_saveexec_b32 s12, s1
	s_cbranch_execnz .LBB9_32
.LBB9_17:                               ;   in Loop: Header=BB9_11 Depth=1
	s_or_b32 exec_lo, exec_lo, s12
	s_and_saveexec_b32 s12, s2
	s_cbranch_execz .LBB9_19
.LBB9_18:                               ;   in Loop: Header=BB9_11 Depth=1
	v_add_co_u32 v5, s9, s10, v56
	v_add_co_ci_u32_e64 v6, null, s11, v57, s9
	v_add_co_u32 v5, s9, v5, v85
	v_add_co_ci_u32_e64 v6, null, 0, v6, s9
	global_load_dwordx4 v[5:8], v[5:6], off offset:112
	s_waitcnt vmcnt(0)
	ds_write_b128 v75, v[5:8]
.LBB9_19:                               ;   in Loop: Header=BB9_11 Depth=1
	s_or_b32 exec_lo, exec_lo, s12
	s_waitcnt lgkmcnt(0)
	s_barrier
	buffer_gl0_inv
	ds_read_b128 v[5:8], v72
	ds_read_b128 v[9:12], v76 offset:112
	ds_read_b128 v[13:16], v76 offset:336
	v_add_nc_u32_e32 v17, s18, v51
	v_xor_b32_e32 v89, 16, v68
	v_xor_b32_e32 v90, 8, v68
	;; [unrolled: 1-line block ×4, first 2 shown]
	v_ashrrev_i32_e32 v18, 31, v17
	v_xor_b32_e32 v93, 1, v68
	s_mul_hi_i32 s39, s18, s19
	s_mul_i32 s38, s18, s19
	s_waitcnt lgkmcnt(1)
	;;#ASMSTART
	v_dot2_f32_f16 v4, v5, v9, v4
	;;#ASMEND
	;;#ASMSTART
	v_dot2_f32_f16 v4, v6, v10, v4
	;;#ASMEND
	;; [unrolled: 3-line block ×4, first 2 shown]
	s_waitcnt lgkmcnt(0)
	;;#ASMSTART
	v_dot2_f32_f16 v3, v5, v13, v3
	;;#ASMEND
	;;#ASMSTART
	v_dot2_f32_f16 v3, v6, v14, v3
	;;#ASMEND
	;; [unrolled: 3-line block ×4, first 2 shown]
	ds_read_b128 v[5:8], v72 offset:16
	ds_read_b128 v[9:12], v76 offset:128
	;; [unrolled: 1-line block ×3, first 2 shown]
	v_lshlrev_b64 v[17:18], 1, v[17:18]
	s_lshl_b64 s[38:39], s[38:39], 2
	s_waitcnt lgkmcnt(1)
	;;#ASMSTART
	v_dot2_f32_f16 v4, v5, v9, v4
	;;#ASMEND
	;;#ASMSTART
	v_dot2_f32_f16 v4, v6, v10, v4
	;;#ASMEND
	;; [unrolled: 3-line block ×4, first 2 shown]
	s_waitcnt lgkmcnt(0)
	;;#ASMSTART
	v_dot2_f32_f16 v3, v5, v13, v3
	;;#ASMEND
	;;#ASMSTART
	v_dot2_f32_f16 v3, v6, v14, v3
	;;#ASMEND
	;;#ASMSTART
	v_dot2_f32_f16 v3, v7, v15, v3
	;;#ASMEND
	;;#ASMSTART
	v_dot2_f32_f16 v3, v8, v16, v3
	;;#ASMEND
	ds_read_b128 v[5:8], v72 offset:32
	ds_read_b128 v[9:12], v76 offset:144
	;; [unrolled: 1-line block ×3, first 2 shown]
	v_add_co_u32 v17, s9, s36, v17
	v_add_co_ci_u32_e64 v18, null, s37, v18, s9
	v_cmp_gt_i32_e64 s9, 32, v89
	s_add_u32 s35, s30, s38
	s_addc_u32 s38, s31, s39
	s_waitcnt lgkmcnt(1)
	;;#ASMSTART
	v_dot2_f32_f16 v4, v5, v9, v4
	;;#ASMEND
	;;#ASMSTART
	v_dot2_f32_f16 v4, v6, v10, v4
	;;#ASMEND
	;;#ASMSTART
	v_dot2_f32_f16 v4, v7, v11, v4
	;;#ASMEND
	;;#ASMSTART
	v_dot2_f32_f16 v4, v8, v12, v4
	;;#ASMEND
	s_waitcnt lgkmcnt(0)
	;;#ASMSTART
	v_dot2_f32_f16 v3, v5, v13, v3
	;;#ASMEND
	;;#ASMSTART
	v_dot2_f32_f16 v3, v6, v14, v3
	;;#ASMEND
	;;#ASMSTART
	v_dot2_f32_f16 v3, v7, v15, v3
	;;#ASMEND
	;;#ASMSTART
	v_dot2_f32_f16 v3, v8, v16, v3
	;;#ASMEND
	ds_read_b128 v[5:8], v72 offset:48
	ds_read_b128 v[9:12], v76 offset:160
	ds_read_b128 v[13:16], v76 offset:384
	s_waitcnt lgkmcnt(1)
	;;#ASMSTART
	v_dot2_f32_f16 v4, v5, v9, v4
	;;#ASMEND
	;;#ASMSTART
	v_dot2_f32_f16 v4, v6, v10, v4
	;;#ASMEND
	;;#ASMSTART
	v_dot2_f32_f16 v4, v7, v11, v4
	;;#ASMEND
	;;#ASMSTART
	v_dot2_f32_f16 v4, v8, v12, v4
	;;#ASMEND
	s_waitcnt lgkmcnt(0)
	;;#ASMSTART
	v_dot2_f32_f16 v3, v5, v13, v3
	;;#ASMEND
	;;#ASMSTART
	v_dot2_f32_f16 v3, v6, v14, v3
	;;#ASMEND
	;;#ASMSTART
	v_dot2_f32_f16 v3, v7, v15, v3
	;;#ASMEND
	;;#ASMSTART
	v_dot2_f32_f16 v3, v8, v16, v3
	;;#ASMEND
	ds_read_b128 v[5:8], v72 offset:64
	ds_read_b128 v[9:12], v76 offset:176
	ds_read_b128 v[13:16], v76 offset:400
	;; [unrolled: 29-line block ×4, first 2 shown]
	s_waitcnt lgkmcnt(1)
	;;#ASMSTART
	v_dot2_f32_f16 v4, v5, v9, v4
	;;#ASMEND
	;;#ASMSTART
	v_dot2_f32_f16 v4, v6, v10, v4
	;;#ASMEND
	;; [unrolled: 3-line block ×4, first 2 shown]
	s_waitcnt lgkmcnt(0)
	;;#ASMSTART
	v_dot2_f32_f16 v3, v5, v13, v3
	;;#ASMEND
	;;#ASMSTART
	v_dot2_f32_f16 v3, v6, v14, v3
	;;#ASMEND
	;;#ASMSTART
	v_dot2_f32_f16 v3, v7, v15, v3
	;;#ASMEND
	;;#ASMSTART
	v_dot2_f32_f16 v3, v8, v16, v3
	;;#ASMEND
	global_load_ushort v5, v[17:18], off
	v_max_f32_e32 v6, v1, v1
	v_max_f32_e32 v8, v2, v2
	s_waitcnt vmcnt(0)
	s_barrier
	buffer_gl0_inv
	v_cvt_f32_f16_e32 v5, v5
	v_add_f32_e32 v4, v4, v5
	v_add_f32_e32 v3, v3, v5
	v_cndmask_b32_e64 v5, v68, v89, s9
	v_cmp_gt_i32_e64 s9, 32, v90
	v_add_f32_e32 v7, 0x40051340, v4
	v_add_f32_e32 v9, 0x40051340, v3
	v_lshlrev_b32_e32 v5, 2, v5
	v_max_f32_e32 v6, v6, v7
	v_max_f32_e32 v7, v8, v9
	v_cndmask_b32_e64 v9, v68, v90, s9
	v_cmp_gt_i32_e64 s9, 32, v91
	ds_bpermute_b32 v8, v5, v6
	ds_bpermute_b32 v5, v5, v7
	v_lshlrev_b32_e32 v9, 2, v9
	s_waitcnt lgkmcnt(1)
	v_max_f32_e32 v8, v8, v8
	s_waitcnt lgkmcnt(0)
	v_max_f32_e32 v5, v5, v5
	v_max_f32_e32 v6, v6, v8
	v_max_f32_e32 v5, v7, v5
	ds_bpermute_b32 v7, v9, v6
	ds_bpermute_b32 v8, v9, v5
	v_cndmask_b32_e64 v9, v68, v91, s9
	v_cmp_gt_i32_e64 s9, 32, v92
	v_lshlrev_b32_e32 v9, 2, v9
	s_waitcnt lgkmcnt(1)
	v_max_f32_e32 v7, v7, v7
	s_waitcnt lgkmcnt(0)
	v_max_f32_e32 v8, v8, v8
	v_max_f32_e32 v6, v6, v7
	;; [unrolled: 1-line block ×3, first 2 shown]
	ds_bpermute_b32 v7, v9, v6
	ds_bpermute_b32 v8, v9, v5
	v_cndmask_b32_e64 v9, v68, v92, s9
	v_cmp_gt_i32_e64 s9, 32, v93
	v_lshlrev_b32_e32 v9, 2, v9
	s_waitcnt lgkmcnt(1)
	v_max_f32_e32 v7, v7, v7
	s_waitcnt lgkmcnt(0)
	v_max_f32_e32 v8, v8, v8
	v_max_f32_e32 v6, v6, v7
	v_max_f32_e32 v5, v5, v8
	ds_bpermute_b32 v7, v9, v6
	ds_bpermute_b32 v8, v9, v5
	v_cndmask_b32_e64 v9, v68, v93, s9
	v_lshlrev_b32_e32 v9, 2, v9
	s_waitcnt lgkmcnt(1)
	v_max_f32_e32 v7, v7, v7
	s_waitcnt lgkmcnt(0)
	v_max_f32_e32 v8, v8, v8
	v_max_f32_e32 v6, v6, v7
	;; [unrolled: 1-line block ×3, first 2 shown]
	ds_bpermute_b32 v7, v9, v6
	ds_bpermute_b32 v8, v9, v5
	s_waitcnt lgkmcnt(1)
	v_max_f32_e32 v7, v7, v7
	s_waitcnt lgkmcnt(0)
	v_max_f32_e32 v8, v8, v8
	v_max_f32_e32 v64, v6, v7
	;; [unrolled: 1-line block ×3, first 2 shown]
	v_sub_f32_e32 v4, v4, v64
	v_sub_f32_e32 v3, v3, v65
	;; [unrolled: 1-line block ×4, first 2 shown]
	v_mul_f32_e32 v5, 0x3fb8aa3b, v4
	v_mul_f32_e32 v6, 0x3fb8aa3b, v3
	v_cmp_ngt_f32_e64 s9, 0xc2ce8ed0, v4
	v_cmp_ngt_f32_e64 s11, 0xc2ce8ed0, v97
	v_cmp_ngt_f32_e64 s12, 0xc2ce8ed0, v98
	v_fma_f32 v7, 0x3fb8aa3b, v4, -v5
	v_rndne_f32_e32 v8, v5
	v_fma_f32 v9, 0x3fb8aa3b, v3, -v6
	v_rndne_f32_e32 v10, v6
	v_cmp_nlt_f32_e64 s10, 0x42b17218, v98
	v_fmac_f32_e32 v7, 0x32a5705f, v4
	v_sub_f32_e32 v5, v5, v8
	v_fmac_f32_e32 v9, 0x32a5705f, v3
	v_sub_f32_e32 v6, v6, v10
	v_add_f32_e32 v5, v5, v7
	v_cvt_i32_f32_e32 v7, v8
	v_add_f32_e32 v6, v6, v9
	v_cvt_i32_f32_e32 v8, v10
	v_exp_f32_e32 v5, v5
	v_exp_f32_e32 v6, v6
	v_ldexp_f32 v5, v5, v7
	v_ldexp_f32 v6, v6, v8
	v_cndmask_b32_e64 v1, 0, v5, s9
	v_cmp_ngt_f32_e64 s9, 0xc2ce8ed0, v3
	v_cndmask_b32_e64 v5, 0, v6, s9
	v_cmp_nlt_f32_e64 s9, 0x42b17218, v4
	v_cndmask_b32_e64 v95, 0x7f800000, v1, s9
	v_cmp_nlt_f32_e64 s9, 0x42b17218, v3
	v_add_nc_u32_e32 v3, v77, v49
	v_cvt_f16_f32_e32 v1, v95
	v_cndmask_b32_e64 v94, 0x7f800000, v5, s9
	v_cmp_nlt_f32_e64 s9, 0x42b17218, v97
	v_cvt_f16_f32_e32 v2, v94
	v_pack_b32_f16 v1, v1, v2
	ds_write_b32 v3, v1
	s_and_saveexec_b32 s39, s3
	s_cbranch_execnz .LBB9_33
; %bb.20:                               ;   in Loop: Header=BB9_11 Depth=1
	s_or_b32 exec_lo, exec_lo, s39
	s_and_saveexec_b32 s39, s6
	s_cbranch_execnz .LBB9_34
.LBB9_21:                               ;   in Loop: Header=BB9_11 Depth=1
	s_or_b32 exec_lo, exec_lo, s39
	v_lshlrev_b32_e32 v99, 2, v79
	s_and_saveexec_b32 s39, s8
	s_cbranch_execz .LBB9_23
.LBB9_22:                               ;   in Loop: Header=BB9_11 Depth=1
	v_add_co_u32 v1, s13, s35, v62
	v_add_co_ci_u32_e64 v2, null, s38, v63, s13
	v_add_co_u32 v1, s13, v1, v99
	v_add_co_ci_u32_e64 v2, null, 0, v2, s13
	global_load_dwordx4 v[1:4], v[1:2], off
	s_waitcnt vmcnt(0)
	ds_write_b128 v82, v[1:4]
.LBB9_23:                               ;   in Loop: Header=BB9_11 Depth=1
	s_or_b32 exec_lo, exec_lo, s39
	v_add_nc_u32_e32 v96, 0x800, v67
	s_waitcnt lgkmcnt(0)
	s_barrier
	buffer_gl0_inv
	ds_read2_b64 v[29:32], v67 offset1:28
	ds_read_b128 v[45:48], v77
	ds_read_b128 v[41:44], v77 offset:16
	ds_read_b128 v[37:40], v77 offset:32
	;; [unrolled: 1-line block ×3, first 2 shown]
	ds_read2_b64 v[33:36], v67 offset0:56 offset1:84
	ds_read2_b64 v[21:24], v67 offset0:112 offset1:140
	;; [unrolled: 1-line block ×7, first 2 shown]
	s_or_b32 s13, s18, 16
	s_waitcnt lgkmcnt(0)
	s_mul_hi_i32 s39, s13, s19
	s_mul_i32 s38, s13, s19
	s_barrier
	s_lshl_b64 s[38:39], s[38:39], 2
	buffer_gl0_inv
	s_add_u32 s35, s30, s38
	s_addc_u32 s38, s31, s39
	s_and_saveexec_b32 s39, s3
	s_cbranch_execnz .LBB9_35
; %bb.24:                               ;   in Loop: Header=BB9_11 Depth=1
	s_or_b32 exec_lo, exec_lo, s39
	s_and_saveexec_b32 s39, s6
	s_cbranch_execnz .LBB9_36
.LBB9_25:                               ;   in Loop: Header=BB9_11 Depth=1
	s_or_b32 exec_lo, exec_lo, s39
	s_and_saveexec_b32 s39, s8
	s_cbranch_execz .LBB9_27
.LBB9_26:                               ;   in Loop: Header=BB9_11 Depth=1
	v_add_co_u32 v100, s13, s35, v62
	v_add_co_ci_u32_e64 v101, null, s38, v63, s13
	v_add_co_u32 v99, s13, v100, v99
	v_add_co_ci_u32_e64 v100, null, 0, v101, s13
	global_load_dwordx4 v[99:102], v[99:100], off
	s_waitcnt vmcnt(0)
	ds_write_b128 v82, v[99:102]
.LBB9_27:                               ;   in Loop: Header=BB9_11 Depth=1
	s_or_b32 exec_lo, exec_lo, s39
	v_mul_f32_e32 v99, 0x3fb8aa3b, v97
	v_mul_f32_e32 v100, 0x3fb8aa3b, v98
	v_mul_u32_u24_sdwa v101, v45, v86 dst_sel:DWORD dst_unused:UNUSED_PAD src0_sel:WORD_0 src1_sel:DWORD
	v_mul_u32_u24_sdwa v45, v45, v86 dst_sel:DWORD dst_unused:UNUSED_PAD src0_sel:WORD_1 src1_sel:DWORD
	v_mul_u32_u24_sdwa v113, v25, v86 dst_sel:DWORD dst_unused:UNUSED_PAD src0_sel:WORD_0 src1_sel:DWORD
	v_fma_f32 v102, 0x3fb8aa3b, v97, -v99
	v_rndne_f32_e32 v103, v99
	v_fma_f32 v104, 0x3fb8aa3b, v98, -v100
	v_rndne_f32_e32 v105, v100
	v_mul_u32_u24_sdwa v114, v25, v86 dst_sel:DWORD dst_unused:UNUSED_PAD src0_sel:WORD_1 src1_sel:DWORD
	v_fmac_f32_e32 v102, 0x32a5705f, v97
	v_sub_f32_e32 v97, v99, v103
	v_fmac_f32_e32 v104, 0x32a5705f, v98
	v_sub_f32_e32 v98, v100, v105
	v_cvt_i32_f32_e32 v103, v103
	v_cvt_i32_f32_e32 v105, v105
	v_add_f32_e32 v97, v97, v102
	v_mul_u32_u24_sdwa v99, v46, v86 dst_sel:DWORD dst_unused:UNUSED_PAD src0_sel:WORD_0 src1_sel:DWORD
	v_add_f32_e32 v98, v98, v104
	v_mul_u32_u24_sdwa v46, v46, v86 dst_sel:DWORD dst_unused:UNUSED_PAD src0_sel:WORD_1 src1_sel:DWORD
	v_mul_u32_u24_sdwa v100, v47, v86 dst_sel:DWORD dst_unused:UNUSED_PAD src0_sel:WORD_0 src1_sel:DWORD
	v_exp_f32_e32 v97, v97
	v_mul_u32_u24_sdwa v47, v47, v86 dst_sel:DWORD dst_unused:UNUSED_PAD src0_sel:WORD_1 src1_sel:DWORD
	v_exp_f32_e32 v98, v98
	v_mul_u32_u24_sdwa v115, v26, v86 dst_sel:DWORD dst_unused:UNUSED_PAD src0_sel:WORD_0 src1_sel:DWORD
	v_mul_u32_u24_sdwa v102, v48, v86 dst_sel:DWORD dst_unused:UNUSED_PAD src0_sel:WORD_0 src1_sel:DWORD
	v_mul_u32_u24_sdwa v48, v48, v86 dst_sel:DWORD dst_unused:UNUSED_PAD src0_sel:WORD_1 src1_sel:DWORD
	v_mul_u32_u24_sdwa v104, v41, v86 dst_sel:DWORD dst_unused:UNUSED_PAD src0_sel:WORD_0 src1_sel:DWORD
	v_mul_u32_u24_sdwa v41, v41, v86 dst_sel:DWORD dst_unused:UNUSED_PAD src0_sel:WORD_1 src1_sel:DWORD
	;; [unrolled: 2-line block ×3, first 2 shown]
	v_ldexp_f32 v97, v97, v103
	v_mul_u32_u24_sdwa v107, v43, v86 dst_sel:DWORD dst_unused:UNUSED_PAD src0_sel:WORD_0 src1_sel:DWORD
	v_ldexp_f32 v98, v98, v105
	v_mul_u32_u24_sdwa v43, v43, v86 dst_sel:DWORD dst_unused:UNUSED_PAD src0_sel:WORD_1 src1_sel:DWORD
	v_mul_u32_u24_sdwa v103, v44, v86 dst_sel:DWORD dst_unused:UNUSED_PAD src0_sel:WORD_0 src1_sel:DWORD
	v_cndmask_b32_e64 v97, 0, v97, s11
	v_mul_u32_u24_sdwa v44, v44, v86 dst_sel:DWORD dst_unused:UNUSED_PAD src0_sel:WORD_1 src1_sel:DWORD
	v_cndmask_b32_e64 v98, 0, v98, s12
	v_mul_u32_u24_sdwa v105, v37, v86 dst_sel:DWORD dst_unused:UNUSED_PAD src0_sel:WORD_0 src1_sel:DWORD
	v_mul_u32_u24_sdwa v37, v37, v86 dst_sel:DWORD dst_unused:UNUSED_PAD src0_sel:WORD_1 src1_sel:DWORD
	v_cndmask_b32_e64 v97, 0x7f800000, v97, s9
	v_mul_u32_u24_sdwa v108, v38, v86 dst_sel:DWORD dst_unused:UNUSED_PAD src0_sel:WORD_0 src1_sel:DWORD
	v_cndmask_b32_e64 v98, 0x7f800000, v98, s10
	v_mul_u32_u24_sdwa v38, v38, v86 dst_sel:DWORD dst_unused:UNUSED_PAD src0_sel:WORD_1 src1_sel:DWORD
	v_mul_u32_u24_sdwa v109, v39, v86 dst_sel:DWORD dst_unused:UNUSED_PAD src0_sel:WORD_0 src1_sel:DWORD
	v_cvt_f16_f32_e32 v111, v97
	v_mul_u32_u24_sdwa v39, v39, v86 dst_sel:DWORD dst_unused:UNUSED_PAD src0_sel:WORD_1 src1_sel:DWORD
	v_cvt_f16_f32_e32 v112, v98
	v_mul_u32_u24_sdwa v110, v40, v86 dst_sel:DWORD dst_unused:UNUSED_PAD src0_sel:WORD_0 src1_sel:DWORD
	v_mul_u32_u24_sdwa v40, v40, v86 dst_sel:DWORD dst_unused:UNUSED_PAD src0_sel:WORD_1 src1_sel:DWORD
	v_mul_u32_u24_sdwa v25, v111, v86 dst_sel:DWORD dst_unused:UNUSED_PAD src0_sel:WORD_0 src1_sel:DWORD
	s_waitcnt lgkmcnt(0)
	v_mul_u32_u24_sdwa v111, v112, v86 dst_sel:DWORD dst_unused:UNUSED_PAD src0_sel:WORD_0 src1_sel:DWORD
	v_pk_mul_f16 v112, v29, v101
	v_pk_mul_f16 v29, v29, v45
	;; [unrolled: 1-line block ×3, first 2 shown]
	s_barrier
	v_pk_mul_f16 v69, v69, v111
	v_pk_fma_f16 v25, v78, v25, v112
	v_pk_fma_f16 v29, v71, v111, v29
	v_mul_u32_u24_sdwa v71, v26, v86 dst_sel:DWORD dst_unused:UNUSED_PAD src0_sel:WORD_1 src1_sel:DWORD
	v_pk_fma_f16 v26, v30, v101, v83
	v_pk_fma_f16 v30, v30, v45, v69
	;; [unrolled: 1-line block ×4, first 2 shown]
	v_mul_u32_u24_sdwa v31, v27, v86 dst_sel:DWORD dst_unused:UNUSED_PAD src0_sel:WORD_0 src1_sel:DWORD
	v_pk_fma_f16 v26, v32, v99, v26
	v_pk_fma_f16 v30, v32, v46, v30
	;; [unrolled: 1-line block ×4, first 2 shown]
	v_mul_u32_u24_sdwa v32, v27, v86 dst_sel:DWORD dst_unused:UNUSED_PAD src0_sel:WORD_1 src1_sel:DWORD
	v_pk_fma_f16 v26, v34, v100, v26
	v_pk_fma_f16 v27, v34, v47, v30
	;; [unrolled: 1-line block ×4, first 2 shown]
	buffer_gl0_inv
	v_pk_fma_f16 v26, v36, v102, v26
	v_pk_fma_f16 v27, v36, v48, v27
	;; [unrolled: 1-line block ×4, first 2 shown]
	v_mul_u32_u24_sdwa v30, v28, v86 dst_sel:DWORD dst_unused:UNUSED_PAD src0_sel:WORD_0 src1_sel:DWORD
	v_pk_fma_f16 v26, v22, v104, v26
	v_pk_fma_f16 v22, v22, v41, v27
	;; [unrolled: 1-line block ×4, first 2 shown]
	v_mul_u32_u24_sdwa v29, v28, v86 dst_sel:DWORD dst_unused:UNUSED_PAD src0_sel:WORD_1 src1_sel:DWORD
	v_pk_fma_f16 v23, v24, v106, v26
	v_pk_fma_f16 v22, v24, v42, v22
	;; [unrolled: 1-line block ×4, first 2 shown]
	v_fmac_f32_e32 v95, v88, v97
	v_pk_fma_f16 v21, v18, v107, v23
	v_pk_fma_f16 v18, v18, v43, v22
	;; [unrolled: 1-line block ×4, first 2 shown]
	v_fmac_f32_e32 v94, v87, v98
	v_pk_fma_f16 v21, v20, v103, v21
	v_pk_fma_f16 v23, v20, v44, v18
	;; [unrolled: 1-line block ×4, first 2 shown]
	ds_read_b128 v[17:20], v77 offset:64
	v_pk_fma_f16 v25, v14, v105, v21
	v_pk_fma_f16 v14, v14, v37, v23
	;; [unrolled: 1-line block ×4, first 2 shown]
	ds_read2_b64 v[21:24], v67 offset1:28
	v_pk_fma_f16 v25, v16, v108, v25
	v_pk_fma_f16 v27, v16, v38, v14
	v_pk_fma_f16 v26, v9, v109, v26
	v_pk_fma_f16 v9, v9, v39, v13
	ds_read_b128 v[13:16], v77 offset:80
	v_pk_fma_f16 v33, v10, v109, v25
	v_pk_fma_f16 v10, v10, v39, v27
	;; [unrolled: 1-line block ×4, first 2 shown]
	ds_read2_b64 v[25:28], v67 offset0:56 offset1:84
	v_pk_fma_f16 v11, v12, v110, v33
	v_pk_fma_f16 v10, v12, v40, v10
	;; [unrolled: 1-line block ×4, first 2 shown]
	s_waitcnt lgkmcnt(3)
	v_mul_u32_u24_sdwa v9, v17, v86 dst_sel:DWORD dst_unused:UNUSED_PAD src0_sel:WORD_0 src1_sel:DWORD
	v_pk_fma_f16 v11, v6, v113, v11
	v_pk_fma_f16 v6, v6, v114, v10
	;; [unrolled: 1-line block ×4, first 2 shown]
	v_mul_u32_u24_sdwa v7, v17, v86 dst_sel:DWORD dst_unused:UNUSED_PAD src0_sel:WORD_1 src1_sel:DWORD
	v_pk_fma_f16 v11, v8, v115, v11
	v_pk_fma_f16 v6, v8, v71, v6
	v_pk_fma_f16 v8, v1, v31, v10
	v_pk_fma_f16 v1, v1, v32, v5
	v_mul_u32_u24_sdwa v5, v18, v86 dst_sel:DWORD dst_unused:UNUSED_PAD src0_sel:WORD_0 src1_sel:DWORD
	v_pk_fma_f16 v10, v2, v31, v11
	v_pk_fma_f16 v2, v2, v32, v6
	;; [unrolled: 1-line block ×4, first 2 shown]
	v_mul_u32_u24_sdwa v8, v18, v86 dst_sel:DWORD dst_unused:UNUSED_PAD src0_sel:WORD_1 src1_sel:DWORD
	v_pk_fma_f16 v3, v4, v30, v10
	v_pk_fma_f16 v2, v4, v29, v2
	s_waitcnt lgkmcnt(2)
	v_pk_fma_f16 v4, v21, v9, v6
	v_pk_fma_f16 v1, v21, v7, v1
	v_mul_u32_u24_sdwa v11, v19, v86 dst_sel:DWORD dst_unused:UNUSED_PAD src0_sel:WORD_0 src1_sel:DWORD
	v_pk_fma_f16 v6, v22, v9, v3
	v_pk_fma_f16 v7, v22, v7, v2
	;; [unrolled: 1-line block ×4, first 2 shown]
	ds_read2_b64 v[1:4], v67 offset0:112 offset1:140
	v_mul_u32_u24_sdwa v12, v19, v86 dst_sel:DWORD dst_unused:UNUSED_PAD src0_sel:WORD_1 src1_sel:DWORD
	v_pk_fma_f16 v5, v24, v5, v6
	v_pk_fma_f16 v6, v24, v8, v7
	s_waitcnt lgkmcnt(1)
	v_pk_fma_f16 v7, v25, v11, v9
	v_mul_u32_u24_sdwa v9, v20, v86 dst_sel:DWORD dst_unused:UNUSED_PAD src0_sel:WORD_0 src1_sel:DWORD
	v_pk_fma_f16 v8, v25, v12, v10
	v_mul_u32_u24_sdwa v10, v20, v86 dst_sel:DWORD dst_unused:UNUSED_PAD src0_sel:WORD_1 src1_sel:DWORD
	v_pk_fma_f16 v11, v26, v11, v5
	v_pk_fma_f16 v12, v26, v12, v6
	;; [unrolled: 1-line block ×3, first 2 shown]
	v_mul_u32_u24_sdwa v19, v13, v86 dst_sel:DWORD dst_unused:UNUSED_PAD src0_sel:WORD_0 src1_sel:DWORD
	v_pk_fma_f16 v18, v27, v10, v8
	ds_read2_b64 v[5:8], v67 offset0:168 offset1:196
	v_mul_u32_u24_sdwa v13, v13, v86 dst_sel:DWORD dst_unused:UNUSED_PAD src0_sel:WORD_1 src1_sel:DWORD
	v_pk_fma_f16 v20, v28, v9, v11
	v_pk_fma_f16 v21, v28, v10, v12
	v_mul_u32_u24_sdwa v22, v14, v86 dst_sel:DWORD dst_unused:UNUSED_PAD src0_sel:WORD_0 src1_sel:DWORD
	ds_read_b128 v[9:12], v77 offset:96
	v_mul_u32_u24_sdwa v14, v14, v86 dst_sel:DWORD dst_unused:UNUSED_PAD src0_sel:WORD_1 src1_sel:DWORD
	s_waitcnt lgkmcnt(2)
	v_pk_fma_f16 v17, v1, v19, v17
	v_pk_fma_f16 v1, v1, v13, v18
	;; [unrolled: 1-line block ×4, first 2 shown]
	v_mul_u32_u24_sdwa v21, v15, v86 dst_sel:DWORD dst_unused:UNUSED_PAD src0_sel:WORD_0 src1_sel:DWORD
	v_pk_fma_f16 v13, v3, v22, v17
	ds_read2_b64 v[17:20], v67 offset0:224 offset1:252
	v_pk_fma_f16 v1, v3, v14, v1
	v_mul_u32_u24_sdwa v15, v15, v86 dst_sel:DWORD dst_unused:UNUSED_PAD src0_sel:WORD_1 src1_sel:DWORD
	v_pk_fma_f16 v22, v4, v22, v23
	v_pk_fma_f16 v14, v4, v14, v2
	v_mul_u32_u24_sdwa v23, v16, v86 dst_sel:DWORD dst_unused:UNUSED_PAD src0_sel:WORD_0 src1_sel:DWORD
	v_mul_u32_u24_sdwa v24, v16, v86 dst_sel:DWORD dst_unused:UNUSED_PAD src0_sel:WORD_1 src1_sel:DWORD
	s_waitcnt lgkmcnt(2)
	v_pk_fma_f16 v13, v5, v21, v13
	v_pk_fma_f16 v5, v5, v15, v1
	;; [unrolled: 1-line block ×4, first 2 shown]
	ds_read_b128 v[1:4], v77 offset:112
	v_pk_fma_f16 v22, v7, v23, v13
	ds_read2_b64 v[13:16], v96 offset0:24 offset1:52
	v_pk_fma_f16 v5, v7, v24, v5
	s_waitcnt lgkmcnt(3)
	v_mul_u32_u24_sdwa v7, v9, v86 dst_sel:DWORD dst_unused:UNUSED_PAD src0_sel:WORD_0 src1_sel:DWORD
	v_mul_u32_u24_sdwa v9, v9, v86 dst_sel:DWORD dst_unused:UNUSED_PAD src0_sel:WORD_1 src1_sel:DWORD
	v_pk_fma_f16 v21, v8, v23, v21
	v_pk_fma_f16 v6, v8, v24, v6
	s_waitcnt lgkmcnt(2)
	v_pk_fma_f16 v8, v17, v7, v22
	v_pk_fma_f16 v5, v17, v9, v5
	v_mul_u32_u24_sdwa v17, v10, v86 dst_sel:DWORD dst_unused:UNUSED_PAD src0_sel:WORD_0 src1_sel:DWORD
	v_mul_u32_u24_sdwa v10, v10, v86 dst_sel:DWORD dst_unused:UNUSED_PAD src0_sel:WORD_1 src1_sel:DWORD
	v_pk_fma_f16 v21, v18, v7, v21
	v_pk_fma_f16 v9, v18, v9, v6
	v_mul_u32_u24_sdwa v22, v11, v86 dst_sel:DWORD dst_unused:UNUSED_PAD src0_sel:WORD_0 src1_sel:DWORD
	v_pk_fma_f16 v18, v19, v17, v8
	v_pk_fma_f16 v19, v19, v10, v5
	ds_read2_b64 v[5:8], v96 offset0:80 offset1:108
	v_mul_u32_u24_sdwa v11, v11, v86 dst_sel:DWORD dst_unused:UNUSED_PAD src0_sel:WORD_1 src1_sel:DWORD
	v_pk_fma_f16 v17, v20, v17, v21
	v_pk_fma_f16 v9, v20, v10, v9
	s_waitcnt lgkmcnt(1)
	v_pk_fma_f16 v10, v13, v22, v18
	v_mul_u32_u24_sdwa v18, v12, v86 dst_sel:DWORD dst_unused:UNUSED_PAD src0_sel:WORD_0 src1_sel:DWORD
	v_pk_fma_f16 v13, v13, v11, v19
	v_mul_u32_u24_sdwa v19, v12, v86 dst_sel:DWORD dst_unused:UNUSED_PAD src0_sel:WORD_1 src1_sel:DWORD
	v_pk_fma_f16 v17, v14, v22, v17
	v_pk_fma_f16 v14, v14, v11, v9
	v_pk_fma_f16 v20, v15, v18, v10
	ds_read2_b64 v[9:12], v96 offset0:136 offset1:164
	s_waitcnt lgkmcnt(0)
	s_barrier
	buffer_gl0_inv
	s_load_dword s9, s[14:15], 0x4
	v_pk_fma_f16 v13, v15, v19, v13
	v_mul_u32_u24_sdwa v15, v1, v86 dst_sel:DWORD dst_unused:UNUSED_PAD src0_sel:WORD_0 src1_sel:DWORD
	v_mul_u32_u24_sdwa v1, v1, v86 dst_sel:DWORD dst_unused:UNUSED_PAD src0_sel:WORD_1 src1_sel:DWORD
	v_pk_fma_f16 v17, v16, v18, v17
	v_pk_fma_f16 v14, v16, v19, v14
	;; [unrolled: 1-line block ×4, first 2 shown]
	v_mul_u32_u24_sdwa v13, v2, v86 dst_sel:DWORD dst_unused:UNUSED_PAD src0_sel:WORD_0 src1_sel:DWORD
	v_mul_u32_u24_sdwa v2, v2, v86 dst_sel:DWORD dst_unused:UNUSED_PAD src0_sel:WORD_1 src1_sel:DWORD
	v_pk_fma_f16 v15, v6, v15, v17
	v_pk_fma_f16 v1, v6, v1, v14
	;; [unrolled: 1-line block ×4, first 2 shown]
	v_mul_u32_u24_sdwa v7, v3, v86 dst_sel:DWORD dst_unused:UNUSED_PAD src0_sel:WORD_0 src1_sel:DWORD
	v_mul_u32_u24_sdwa v3, v3, v86 dst_sel:DWORD dst_unused:UNUSED_PAD src0_sel:WORD_1 src1_sel:DWORD
	v_pk_fma_f16 v13, v8, v13, v15
	v_pk_fma_f16 v1, v8, v2, v1
	s_waitcnt lgkmcnt(0)
	s_lshl_b32 s9, s9, 5
	v_pk_fma_f16 v2, v9, v7, v6
	v_pk_fma_f16 v5, v9, v3, v5
	v_mul_u32_u24_sdwa v6, v4, v86 dst_sel:DWORD dst_unused:UNUSED_PAD src0_sel:WORD_0 src1_sel:DWORD
	v_mul_u32_u24_sdwa v4, v4, v86 dst_sel:DWORD dst_unused:UNUSED_PAD src0_sel:WORD_1 src1_sel:DWORD
	v_pk_fma_f16 v7, v10, v7, v13
	v_pk_fma_f16 v1, v10, v3, v1
	s_add_i32 s18, s9, s18
	v_pk_fma_f16 v78, v11, v6, v2
	v_pk_fma_f16 v71, v11, v4, v5
	;; [unrolled: 1-line block ×4, first 2 shown]
	s_cmp_ge_i32 s18, s34
	s_cbranch_scc1 .LBB9_37
; %bb.28:                               ;   in Loop: Header=BB9_11 Depth=1
	v_mov_b32_e32 v1, v64
	v_mov_b32_e32 v2, v65
	;; [unrolled: 1-line block ×4, first 2 shown]
	s_branch .LBB9_11
.LBB9_29:                               ;   in Loop: Header=BB9_11 Depth=1
	v_add_co_u32 v3, s9, s10, v52
	v_add_co_ci_u32_e64 v4, null, s11, v53, s9
	global_load_dwordx4 v[3:6], v[3:4], off offset:96
	s_waitcnt vmcnt(0)
	ds_write_b128 v73, v[3:6]
	s_or_b32 exec_lo, exec_lo, s12
	s_and_saveexec_b32 s12, s1
	s_cbranch_execz .LBB9_13
.LBB9_30:                               ;   in Loop: Header=BB9_11 Depth=1
	v_add_co_u32 v3, s9, s10, v54
	v_add_co_ci_u32_e64 v4, null, s11, v55, s9
	v_add_co_u32 v3, s9, v3, v84
	v_add_co_ci_u32_e64 v4, null, 0, v4, s9
	global_load_dwordx4 v[3:6], v[3:4], off offset:64
	s_waitcnt vmcnt(0)
	ds_write_b128 v74, v[3:6]
	s_or_b32 exec_lo, exec_lo, s12
	s_and_saveexec_b32 s12, s2
	s_cbranch_execnz .LBB9_14
	s_branch .LBB9_15
.LBB9_31:                               ;   in Loop: Header=BB9_11 Depth=1
	v_add_co_u32 v5, s9, s10, v52
	v_add_co_ci_u32_e64 v6, null, s11, v53, s9
	global_load_dwordx4 v[5:8], v[5:6], off offset:208
	s_waitcnt vmcnt(0)
	ds_write_b128 v73, v[5:8]
	s_or_b32 exec_lo, exec_lo, s12
	s_and_saveexec_b32 s12, s1
	s_cbranch_execz .LBB9_17
.LBB9_32:                               ;   in Loop: Header=BB9_11 Depth=1
	v_add_co_u32 v5, s9, s10, v54
	v_add_co_ci_u32_e64 v6, null, s11, v55, s9
	v_add_co_u32 v5, s9, v5, v84
	v_add_co_ci_u32_e64 v6, null, 0, v6, s9
	global_load_dwordx4 v[5:8], v[5:6], off offset:176
	s_waitcnt vmcnt(0)
	ds_write_b128 v74, v[5:8]
	s_or_b32 exec_lo, exec_lo, s12
	s_and_saveexec_b32 s12, s2
	s_cbranch_execnz .LBB9_18
	s_branch .LBB9_19
.LBB9_33:                               ;   in Loop: Header=BB9_11 Depth=1
	v_add_co_u32 v1, s13, s35, v58
	v_add_co_ci_u32_e64 v2, null, s38, v59, s13
	v_add_co_u32 v1, s13, v1, v84
	v_add_co_ci_u32_e64 v2, null, 0, v2, s13
	global_load_dwordx4 v[1:4], v[1:2], off offset:192
	s_waitcnt vmcnt(0)
	ds_write_b128 v80, v[1:4]
	s_or_b32 exec_lo, exec_lo, s39
	s_and_saveexec_b32 s39, s6
	s_cbranch_execz .LBB9_21
.LBB9_34:                               ;   in Loop: Header=BB9_11 Depth=1
	v_add_co_u32 v1, s13, s35, v60
	v_add_co_ci_u32_e64 v2, null, s38, v61, s13
	v_add_co_u32 v1, s13, v1, v85
	v_add_co_ci_u32_e64 v2, null, 0, v2, s13
	global_load_dwordx4 v[1:4], v[1:2], off offset:128
	s_waitcnt vmcnt(0)
	ds_write_b128 v81, v[1:4]
	s_or_b32 exec_lo, exec_lo, s39
	v_lshlrev_b32_e32 v99, 2, v79
	s_and_saveexec_b32 s39, s8
	s_cbranch_execnz .LBB9_22
	s_branch .LBB9_23
.LBB9_35:                               ;   in Loop: Header=BB9_11 Depth=1
	v_add_co_u32 v100, s13, s35, v58
	v_add_co_ci_u32_e64 v101, null, s38, v59, s13
	v_add_co_u32 v100, s13, v100, v84
	v_add_co_ci_u32_e64 v101, null, 0, v101, s13
	global_load_dwordx4 v[100:103], v[100:101], off offset:192
	s_waitcnt vmcnt(0)
	ds_write_b128 v80, v[100:103]
	s_or_b32 exec_lo, exec_lo, s39
	s_and_saveexec_b32 s39, s6
	s_cbranch_execz .LBB9_25
.LBB9_36:                               ;   in Loop: Header=BB9_11 Depth=1
	v_add_co_u32 v100, s13, s35, v60
	v_add_co_ci_u32_e64 v101, null, s38, v61, s13
	v_add_co_u32 v100, s13, v100, v85
	v_add_co_ci_u32_e64 v101, null, 0, v101, s13
	global_load_dwordx4 v[100:103], v[100:101], off offset:128
	s_waitcnt vmcnt(0)
	ds_write_b128 v81, v[100:103]
	s_or_b32 exec_lo, exec_lo, s39
	s_and_saveexec_b32 s39, s8
	s_cbranch_execnz .LBB9_26
	s_branch .LBB9_27
.LBB9_37:
	v_mov_b32_e32 v3, v68
.LBB9_38:
	v_cmp_lt_i32_e32 vcc_lo, v89, v70
	s_cmp_lg_u64 s[16:17], 0
	s_cselect_b32 s1, -1, 0
	s_cmp_eq_u32 s7, 0
	v_cndmask_b32_e32 v1, v3, v89, vcc_lo
	v_cmp_lt_i32_e32 vcc_lo, v90, v70
	s_cselect_b32 s2, -1, 0
	s_and_b32 s1, s2, s1
	v_lshlrev_b32_e32 v1, 2, v1
	v_cndmask_b32_e32 v4, v3, v90, vcc_lo
	v_cmp_lt_i32_e32 vcc_lo, v91, v70
	ds_bpermute_b32 v2, v1, v95
	ds_bpermute_b32 v1, v1, v94
	v_lshlrev_b32_e32 v4, 2, v4
	v_cndmask_b32_e32 v6, v3, v91, vcc_lo
	v_cmp_lt_i32_e32 vcc_lo, v92, v70
	v_lshlrev_b32_e32 v6, 2, v6
	s_waitcnt lgkmcnt(1)
	v_add_f32_e32 v2, v95, v2
	s_waitcnt lgkmcnt(0)
	v_add_f32_e32 v1, v94, v1
	ds_bpermute_b32 v5, v4, v2
	ds_bpermute_b32 v4, v4, v1
	s_waitcnt lgkmcnt(1)
	v_add_f32_e32 v2, v2, v5
	s_waitcnt lgkmcnt(0)
	v_add_f32_e32 v1, v1, v4
	ds_bpermute_b32 v4, v6, v2
	ds_bpermute_b32 v5, v6, v1
	v_cndmask_b32_e32 v6, v3, v92, vcc_lo
	v_cmp_lt_i32_e32 vcc_lo, v93, v70
	v_lshlrev_b32_e32 v6, 2, v6
	v_cndmask_b32_e32 v3, v3, v93, vcc_lo
	s_and_b32 vcc_lo, exec_lo, s1
	v_lshlrev_b32_e32 v3, 2, v3
	s_waitcnt lgkmcnt(1)
	v_add_f32_e32 v2, v2, v4
	s_waitcnt lgkmcnt(0)
	v_add_f32_e32 v1, v1, v5
	ds_bpermute_b32 v4, v6, v2
	ds_bpermute_b32 v5, v6, v1
	s_waitcnt lgkmcnt(1)
	v_add_f32_e32 v2, v2, v4
	s_waitcnt lgkmcnt(0)
	v_add_f32_e32 v4, v1, v5
	ds_bpermute_b32 v1, v3, v2
	ds_bpermute_b32 v3, v3, v4
	s_waitcnt lgkmcnt(1)
	v_add_f32_e32 v1, v2, v1
	s_waitcnt lgkmcnt(0)
	v_add_f32_e32 v2, v4, v3
	s_cbranch_vccz .LBB9_41
; %bb.39:
	v_add_nc_u32_e32 v3, s24, v66
	v_max_f32_e32 v5, v64, v64
	v_max_f32_e32 v7, v65, v65
	v_ashrrev_i32_e32 v4, 31, v3
	v_lshlrev_b64 v[3:4], 2, v[3:4]
	v_add_co_u32 v3, vcc_lo, s16, v3
	v_add_co_ci_u32_e64 v4, null, s17, v4, vcc_lo
	global_load_dwordx2 v[3:4], v[3:4], off
	s_waitcnt vmcnt(0)
	v_max_f32_e32 v6, v3, v3
	v_max_f32_e32 v8, v4, v4
	v_max_f32_e32 v5, v5, v6
	v_max_f32_e32 v6, v7, v8
	v_sub_f32_e32 v7, v64, v5
	v_sub_f32_e32 v8, v65, v6
	;; [unrolled: 1-line block ×4, first 2 shown]
	v_mov_b32_e32 v65, v6
	v_mul_f32_e32 v9, 0x3fb8aa3b, v7
	v_mul_f32_e32 v11, 0x3fb8aa3b, v8
	;; [unrolled: 1-line block ×4, first 2 shown]
	v_cmp_ngt_f32_e32 vcc_lo, 0xc2ce8ed0, v7
	v_fma_f32 v13, 0x3fb8aa3b, v7, -v9
	v_rndne_f32_e32 v14, v9
	v_fma_f32 v17, 0x3fb8aa3b, v8, -v11
	v_rndne_f32_e32 v18, v11
	v_fma_f32 v15, 0x3fb8aa3b, v3, -v10
	v_fmac_f32_e32 v13, 0x32a5705f, v7
	v_sub_f32_e32 v9, v9, v14
	v_rndne_f32_e32 v16, v10
	v_fmac_f32_e32 v17, 0x32a5705f, v8
	v_sub_f32_e32 v11, v11, v18
	v_fmac_f32_e32 v15, 0x32a5705f, v3
	v_add_f32_e32 v9, v9, v13
	v_sub_f32_e32 v10, v10, v16
	v_cvt_i32_f32_e32 v13, v14
	v_add_f32_e32 v11, v11, v17
	v_fma_f32 v19, 0x3fb8aa3b, v4, -v12
	v_exp_f32_e32 v9, v9
	v_add_f32_e32 v10, v10, v15
	v_rndne_f32_e32 v20, v12
	v_exp_f32_e32 v11, v11
	v_cvt_i32_f32_e32 v15, v18
	v_fmac_f32_e32 v19, 0x32a5705f, v4
	v_exp_f32_e32 v10, v10
	v_sub_f32_e32 v12, v12, v20
	v_cvt_i32_f32_e32 v14, v16
	v_cvt_i32_f32_e32 v16, v20
	v_ldexp_f32 v9, v9, v13
	v_mov_b32_e32 v17, 0x10001
	v_add_f32_e32 v12, v12, v19
	v_ldexp_f32 v11, v11, v15
	v_mov_b32_e32 v64, v5
	v_cndmask_b32_e32 v9, 0, v9, vcc_lo
	v_cmp_ngt_f32_e32 vcc_lo, 0xc2ce8ed0, v8
	v_ldexp_f32 v10, v10, v14
	v_exp_f32_e32 v12, v12
	v_cndmask_b32_e32 v11, 0, v11, vcc_lo
	v_cmp_ngt_f32_e32 vcc_lo, 0xc2ce8ed0, v3
	v_cndmask_b32_e32 v10, 0, v10, vcc_lo
	v_cmp_nlt_f32_e32 vcc_lo, 0x42b17218, v7
	v_ldexp_f32 v12, v12, v16
	v_cndmask_b32_e32 v7, 0x7f800000, v9, vcc_lo
	v_cmp_nlt_f32_e32 vcc_lo, 0x42b17218, v8
	v_cndmask_b32_e32 v8, 0x7f800000, v11, vcc_lo
	v_cmp_ngt_f32_e32 vcc_lo, 0xc2ce8ed0, v4
	v_cvt_f16_f32_e32 v11, v8
	v_cndmask_b32_e32 v9, 0, v12, vcc_lo
	v_cmp_nlt_f32_e32 vcc_lo, 0x42b17218, v3
	v_mul_u32_u24_sdwa v5, v11, v17 dst_sel:DWORD dst_unused:UNUSED_PAD src0_sel:WORD_0 src1_sel:DWORD
	v_cndmask_b32_e32 v3, 0x7f800000, v10, vcc_lo
	v_cmp_nlt_f32_e32 vcc_lo, 0x42b17218, v4
	v_cvt_f16_f32_e32 v10, v7
	v_pk_mul_f16 v71, v71, v5
	v_pk_mul_f16 v69, v69, v5
	v_fmac_f32_e32 v3, v1, v7
	v_cndmask_b32_e32 v4, 0x7f800000, v9, vcc_lo
	v_mul_u32_u24_sdwa v7, v10, v17 dst_sel:DWORD dst_unused:UNUSED_PAD src0_sel:WORD_0 src1_sel:DWORD
	v_mov_b32_e32 v1, v3
	v_fmac_f32_e32 v4, v2, v8
	v_pk_mul_f16 v78, v78, v7
	v_pk_mul_f16 v83, v83, v7
	v_mov_b32_e32 v2, v4
	s_mov_b32 s1, exec_lo
	v_cmpx_gt_i32_e64 s26, v50
	s_cbranch_execnz .LBB9_42
.LBB9_40:
	s_endpgm
.LBB9_41:
	v_mov_b32_e32 v4, v2
	v_mov_b32_e32 v3, v1
	s_mov_b32 s1, exec_lo
	v_cmpx_gt_i32_e64 s26, v50
	s_cbranch_execz .LBB9_40
.LBB9_42:
	s_load_dword s1, s[4:5], 0xd4
	v_mov_b32_e32 v6, 1.0
	s_waitcnt lgkmcnt(0)
	s_cmp_lg_u32 s1, 1
	s_cselect_b32 s3, -1, 0
	s_cmp_eq_u32 s1, 1
	s_cselect_b32 s2, -1, 0
	s_and_b32 vcc_lo, exec_lo, s3
	s_cbranch_vccnz .LBB9_44
; %bb.43:
	v_div_scale_f32 v5, null, v1, v1, 1.0
	v_rcp_f32_e32 v6, v5
	v_fma_f32 v7, -v5, v6, 1.0
	v_fmac_f32_e32 v6, v7, v6
	v_div_scale_f32 v7, vcc_lo, 1.0, v1, 1.0
	v_mul_f32_e32 v8, v7, v6
	v_fma_f32 v9, -v5, v8, v7
	v_fmac_f32_e32 v8, v9, v6
	v_fma_f32 v5, -v5, v8, v7
	v_div_fmas_f32 v5, v5, v6, v8
	v_div_fixup_f32 v6, v5, v1, 1.0
.LBB9_44:
	v_mad_u64_u32 v[7:8], null, s33, s26, v[50:51]
	v_mul_lo_u32 v1, v7, s27
	v_add3_u32 v1, s24, v66, v1
	v_mul_lo_u32 v1, s1, v1
	v_add_nc_u32_e32 v5, s7, v1
	s_and_saveexec_b32 s4, s0
	s_cbranch_execz .LBB9_46
; %bb.45:
	v_mad_u64_u32 v[7:8], null, 0x70, v5, v[49:50]
	v_mov_b32_e32 v8, 0
	v_cvt_f32_f16_sdwa v9, v83 dst_sel:DWORD dst_unused:UNUSED_PAD src0_sel:WORD_1
	v_cvt_f32_f16_e32 v12, v83
	v_cvt_f32_f16_sdwa v13, v78 dst_sel:DWORD dst_unused:UNUSED_PAD src0_sel:WORD_1
	v_cvt_f32_f16_e32 v14, v78
	v_mul_f32_e32 v9, v6, v9
	v_lshlrev_b64 v[10:11], 2, v[7:8]
	v_mul_f32_e32 v8, v6, v12
	v_mul_f32_e32 v7, v6, v13
	;; [unrolled: 1-line block ×3, first 2 shown]
	v_add_co_u32 v10, vcc_lo, s20, v10
	v_add_co_ci_u32_e64 v11, null, s21, v11, vcc_lo
	global_store_dwordx4 v[10:11], v[6:9], off
.LBB9_46:
	s_or_b32 exec_lo, exec_lo, s4
	v_cmp_eq_u32_e32 vcc_lo, 0, v0
	s_and_b32 s3, vcc_lo, s3
	s_and_saveexec_b32 s4, s3
	s_cbranch_execnz .LBB9_50
; %bb.47:
	s_or_b32 exec_lo, exec_lo, s4
	v_mov_b32_e32 v3, 1.0
	s_andn2_b32 vcc_lo, exec_lo, s2
	s_cbranch_vccz .LBB9_51
.LBB9_48:
	v_add3_u32 v0, s7, s1, v1
	s_and_saveexec_b32 s1, s0
	s_cbranch_execnz .LBB9_52
.LBB9_49:
	s_or_b32 exec_lo, exec_lo, s1
	s_and_b32 exec_lo, exec_lo, s3
	s_cbranch_execz .LBB9_40
	s_branch .LBB9_53
.LBB9_50:
	v_ashrrev_i32_e32 v6, 31, v5
	v_mov_b32_e32 v7, v64
	v_mov_b32_e32 v8, v3
	v_lshlrev_b64 v[5:6], 3, v[5:6]
	v_add_co_u32 v5, vcc_lo, s22, v5
	v_add_co_ci_u32_e64 v6, null, s23, v6, vcc_lo
	global_store_dwordx2 v[5:6], v[7:8], off
	s_or_b32 exec_lo, exec_lo, s4
	v_mov_b32_e32 v3, 1.0
	s_andn2_b32 vcc_lo, exec_lo, s2
	s_cbranch_vccnz .LBB9_48
.LBB9_51:
	v_div_scale_f32 v0, null, v2, v2, 1.0
	v_rcp_f32_e32 v3, v0
	v_fma_f32 v5, -v0, v3, 1.0
	v_fmac_f32_e32 v3, v5, v3
	v_div_scale_f32 v5, vcc_lo, 1.0, v2, 1.0
	v_mul_f32_e32 v6, v5, v3
	v_fma_f32 v7, -v0, v6, v5
	v_fmac_f32_e32 v6, v7, v3
	v_fma_f32 v0, -v0, v6, v5
	v_div_fmas_f32 v0, v0, v3, v6
	v_div_fixup_f32 v3, v0, v2, 1.0
	v_add3_u32 v0, s7, s1, v1
	s_and_saveexec_b32 s1, s0
	s_cbranch_execz .LBB9_49
.LBB9_52:
	v_mad_u64_u32 v[1:2], null, 0x70, v0, v[49:50]
	v_mov_b32_e32 v2, 0
	v_cvt_f32_f16_sdwa v5, v69 dst_sel:DWORD dst_unused:UNUSED_PAD src0_sel:WORD_1
	v_cvt_f32_f16_e32 v6, v69
	v_cvt_f32_f16_sdwa v9, v71 dst_sel:DWORD dst_unused:UNUSED_PAD src0_sel:WORD_1
	v_cvt_f32_f16_e32 v10, v71
	v_mul_f32_e32 v8, v3, v5
	v_lshlrev_b64 v[1:2], 2, v[1:2]
	v_mul_f32_e32 v7, v3, v6
	v_mul_f32_e32 v6, v3, v9
	;; [unrolled: 1-line block ×3, first 2 shown]
	v_add_co_u32 v1, vcc_lo, s20, v1
	v_add_co_ci_u32_e64 v2, null, s21, v2, vcc_lo
	global_store_dwordx4 v[1:2], v[5:8], off
	s_or_b32 exec_lo, exec_lo, s1
	s_and_b32 exec_lo, exec_lo, s3
	s_cbranch_execz .LBB9_40
.LBB9_53:
	v_ashrrev_i32_e32 v1, 31, v0
	v_mov_b32_e32 v3, v65
	v_lshlrev_b64 v[0:1], 3, v[0:1]
	v_add_co_u32 v0, vcc_lo, s22, v0
	v_add_co_ci_u32_e64 v1, null, s23, v1, vcc_lo
	global_store_dwordx2 v[0:1], v[3:4], off
	s_endpgm
	.section	.rodata,"a",@progbits
	.p2align	6, 0x0
	.amdhsa_kernel _ZL15flash_attn_tileILi112ELi112ELi2ELi8ELb0EEvPKcS1_S1_S1_S1_PKiPfP15HIP_vector_typeIfLj2EEffffjfiS5_IjLj3EEiiiiiiiiiiiliiliiiiil
		.amdhsa_group_segment_fixed_size 8768
		.amdhsa_private_segment_fixed_size 0
		.amdhsa_kernarg_size 464
		.amdhsa_user_sgpr_count 6
		.amdhsa_user_sgpr_private_segment_buffer 1
		.amdhsa_user_sgpr_dispatch_ptr 0
		.amdhsa_user_sgpr_queue_ptr 0
		.amdhsa_user_sgpr_kernarg_segment_ptr 1
		.amdhsa_user_sgpr_dispatch_id 0
		.amdhsa_user_sgpr_flat_scratch_init 0
		.amdhsa_user_sgpr_private_segment_size 0
		.amdhsa_wavefront_size32 1
		.amdhsa_uses_dynamic_stack 0
		.amdhsa_system_sgpr_private_segment_wavefront_offset 0
		.amdhsa_system_sgpr_workgroup_id_x 1
		.amdhsa_system_sgpr_workgroup_id_y 1
		.amdhsa_system_sgpr_workgroup_id_z 1
		.amdhsa_system_sgpr_workgroup_info 0
		.amdhsa_system_vgpr_workitem_id 1
		.amdhsa_next_free_vgpr 116
		.amdhsa_next_free_sgpr 41
		.amdhsa_reserve_vcc 1
		.amdhsa_reserve_flat_scratch 0
		.amdhsa_float_round_mode_32 0
		.amdhsa_float_round_mode_16_64 0
		.amdhsa_float_denorm_mode_32 3
		.amdhsa_float_denorm_mode_16_64 3
		.amdhsa_dx10_clamp 1
		.amdhsa_ieee_mode 1
		.amdhsa_fp16_overflow 0
		.amdhsa_workgroup_processor_mode 1
		.amdhsa_memory_ordered 1
		.amdhsa_forward_progress 1
		.amdhsa_shared_vgpr_count 0
		.amdhsa_exception_fp_ieee_invalid_op 0
		.amdhsa_exception_fp_denorm_src 0
		.amdhsa_exception_fp_ieee_div_zero 0
		.amdhsa_exception_fp_ieee_overflow 0
		.amdhsa_exception_fp_ieee_underflow 0
		.amdhsa_exception_fp_ieee_inexact 0
		.amdhsa_exception_int_div_zero 0
	.end_amdhsa_kernel
	.section	.text._ZL15flash_attn_tileILi112ELi112ELi2ELi8ELb0EEvPKcS1_S1_S1_S1_PKiPfP15HIP_vector_typeIfLj2EEffffjfiS5_IjLj3EEiiiiiiiiiiiliiliiiiil,"axG",@progbits,_ZL15flash_attn_tileILi112ELi112ELi2ELi8ELb0EEvPKcS1_S1_S1_S1_PKiPfP15HIP_vector_typeIfLj2EEffffjfiS5_IjLj3EEiiiiiiiiiiiliiliiiiil,comdat
.Lfunc_end9:
	.size	_ZL15flash_attn_tileILi112ELi112ELi2ELi8ELb0EEvPKcS1_S1_S1_S1_PKiPfP15HIP_vector_typeIfLj2EEffffjfiS5_IjLj3EEiiiiiiiiiiiliiliiiiil, .Lfunc_end9-_ZL15flash_attn_tileILi112ELi112ELi2ELi8ELb0EEvPKcS1_S1_S1_S1_PKiPfP15HIP_vector_typeIfLj2EEffffjfiS5_IjLj3EEiiiiiiiiiiiliiliiiiil
                                        ; -- End function
	.set _ZL15flash_attn_tileILi112ELi112ELi2ELi8ELb0EEvPKcS1_S1_S1_S1_PKiPfP15HIP_vector_typeIfLj2EEffffjfiS5_IjLj3EEiiiiiiiiiiiliiliiiiil.num_vgpr, 116
	.set _ZL15flash_attn_tileILi112ELi112ELi2ELi8ELb0EEvPKcS1_S1_S1_S1_PKiPfP15HIP_vector_typeIfLj2EEffffjfiS5_IjLj3EEiiiiiiiiiiiliiliiiiil.num_agpr, 0
	.set _ZL15flash_attn_tileILi112ELi112ELi2ELi8ELb0EEvPKcS1_S1_S1_S1_PKiPfP15HIP_vector_typeIfLj2EEffffjfiS5_IjLj3EEiiiiiiiiiiiliiliiiiil.numbered_sgpr, 41
	.set _ZL15flash_attn_tileILi112ELi112ELi2ELi8ELb0EEvPKcS1_S1_S1_S1_PKiPfP15HIP_vector_typeIfLj2EEffffjfiS5_IjLj3EEiiiiiiiiiiiliiliiiiil.num_named_barrier, 0
	.set _ZL15flash_attn_tileILi112ELi112ELi2ELi8ELb0EEvPKcS1_S1_S1_S1_PKiPfP15HIP_vector_typeIfLj2EEffffjfiS5_IjLj3EEiiiiiiiiiiiliiliiiiil.private_seg_size, 0
	.set _ZL15flash_attn_tileILi112ELi112ELi2ELi8ELb0EEvPKcS1_S1_S1_S1_PKiPfP15HIP_vector_typeIfLj2EEffffjfiS5_IjLj3EEiiiiiiiiiiiliiliiiiil.uses_vcc, 1
	.set _ZL15flash_attn_tileILi112ELi112ELi2ELi8ELb0EEvPKcS1_S1_S1_S1_PKiPfP15HIP_vector_typeIfLj2EEffffjfiS5_IjLj3EEiiiiiiiiiiiliiliiiiil.uses_flat_scratch, 0
	.set _ZL15flash_attn_tileILi112ELi112ELi2ELi8ELb0EEvPKcS1_S1_S1_S1_PKiPfP15HIP_vector_typeIfLj2EEffffjfiS5_IjLj3EEiiiiiiiiiiiliiliiiiil.has_dyn_sized_stack, 0
	.set _ZL15flash_attn_tileILi112ELi112ELi2ELi8ELb0EEvPKcS1_S1_S1_S1_PKiPfP15HIP_vector_typeIfLj2EEffffjfiS5_IjLj3EEiiiiiiiiiiiliiliiiiil.has_recursion, 0
	.set _ZL15flash_attn_tileILi112ELi112ELi2ELi8ELb0EEvPKcS1_S1_S1_S1_PKiPfP15HIP_vector_typeIfLj2EEffffjfiS5_IjLj3EEiiiiiiiiiiiliiliiiiil.has_indirect_call, 0
	.section	.AMDGPU.csdata,"",@progbits
; Kernel info:
; codeLenInByte = 9704
; TotalNumSgprs: 43
; NumVgprs: 116
; ScratchSize: 0
; MemoryBound: 0
; FloatMode: 240
; IeeeMode: 1
; LDSByteSize: 8768 bytes/workgroup (compile time only)
; SGPRBlocks: 0
; VGPRBlocks: 14
; NumSGPRsForWavesPerEU: 43
; NumVGPRsForWavesPerEU: 116
; Occupancy: 8
; WaveLimiterHint : 1
; COMPUTE_PGM_RSRC2:SCRATCH_EN: 0
; COMPUTE_PGM_RSRC2:USER_SGPR: 6
; COMPUTE_PGM_RSRC2:TRAP_HANDLER: 0
; COMPUTE_PGM_RSRC2:TGID_X_EN: 1
; COMPUTE_PGM_RSRC2:TGID_Y_EN: 1
; COMPUTE_PGM_RSRC2:TGID_Z_EN: 1
; COMPUTE_PGM_RSRC2:TIDIG_COMP_CNT: 1
	.section	.text._ZL25flash_attn_mask_to_KV_maxILi2EEvPK7__half2Piiii,"axG",@progbits,_ZL25flash_attn_mask_to_KV_maxILi2EEvPK7__half2Piiii,comdat
	.globl	_ZL25flash_attn_mask_to_KV_maxILi2EEvPK7__half2Piiii ; -- Begin function _ZL25flash_attn_mask_to_KV_maxILi2EEvPK7__half2Piiii
	.p2align	8
	.type	_ZL25flash_attn_mask_to_KV_maxILi2EEvPK7__half2Piiii,@function
_ZL25flash_attn_mask_to_KV_maxILi2EEvPK7__half2Piiii: ; @_ZL25flash_attn_mask_to_KV_maxILi2EEvPK7__half2Piiii
; %bb.0:
	s_load_dwordx4 s[8:11], s[4:5], 0x0
	s_mov_b32 s0, exec_lo
	v_cmpx_gt_u32_e32 32, v0
; %bb.1:
	v_lshlrev_b32_e32 v1, 2, v0
	v_mov_b32_e32 v2, 1
	ds_write_b32 v1, v2
; %bb.2:
	s_or_b32 exec_lo, exec_lo, s0
	s_clause 0x1
	s_load_dwordx4 s[12:15], s[4:5], 0x10
	s_load_dword s1, s[4:5], 0x20
	v_and_b32_e32 v1, 31, v0
	v_lshrrev_b32_e32 v3, 3, v0
	v_mov_b32_e32 v2, 0
	v_mov_b32_e32 v4, 0x204
	s_waitcnt lgkmcnt(0)
	v_lshlrev_b32_e32 v5, 2, v1
	s_barrier
	buffer_gl0_inv
	s_mul_i32 s0, s6, s13
	s_mul_i32 s2, s14, s7
	s_lshl_b32 s0, s0, 1
	s_add_i32 s2, s2, s0
	v_cmp_eq_u32_e64 s0, 0, v1
	s_ashr_i32 s3, s2, 31
	s_lshl_b64 s[4:5], s[2:3], 2
	s_add_u32 s3, s8, s4
	s_addc_u32 s4, s9, s5
	s_lshl_b32 s5, s12, 8
	s_branch .LBB10_4
.LBB10_3:                               ;   in Loop: Header=BB10_4 Depth=1
	s_or_b32 exec_lo, exec_lo, s8
	s_waitcnt lgkmcnt(0)
	s_barrier
	buffer_gl0_inv
	ds_read_b32 v1, v5
	s_waitcnt lgkmcnt(0)
	s_barrier
	buffer_gl0_inv
	v_cmp_ne_u32_e32 vcc_lo, 0, v1
	s_cmp_lg_u32 vcc_lo, exec_lo
	s_cselect_b32 s8, -1, 0
	s_and_b32 vcc_lo, exec_lo, s8
	s_cbranch_vccnz .LBB10_12
.LBB10_4:                               ; =>This Inner Loop Header: Depth=1
	s_mov_b32 s2, s5
	s_addk_i32 s5, 0xff00
	s_cmp_lt_i32 s5, 0
	s_cbranch_scc1 .LBB10_11
; %bb.5:                                ;   in Loop: Header=BB10_4 Depth=1
	s_lshr_b32 s8, s5, 1
	v_add_nc_u32_e32 v1, s8, v0
	v_lshlrev_b64 v[6:7], 2, v[1:2]
	v_add_co_u32 v6, vcc_lo, s3, v6
	v_add_co_ci_u32_e64 v7, null, s4, v7, vcc_lo
	global_load_dword v6, v[6:7], off
	s_waitcnt vmcnt(0)
	v_cmp_class_f16_e64 s8, v6, 0x204
	v_cmp_class_f16_sdwa s9, v6, v4 src0_sel:WORD_1 src1_sel:DWORD
	s_and_b32 s12, s8, s9
	s_mov_b32 s9, 0
	s_and_saveexec_b32 s8, s12
	s_cbranch_execz .LBB10_9
; %bb.6:                                ;   in Loop: Header=BB10_4 Depth=1
	v_add_nc_u32_e32 v6, s13, v1
	v_ashrrev_i32_e32 v7, 31, v6
	v_lshlrev_b64 v[6:7], 2, v[6:7]
	v_add_co_u32 v6, vcc_lo, s3, v6
	v_add_co_ci_u32_e64 v7, null, s4, v7, vcc_lo
	global_load_dword v1, v[6:7], off
	s_waitcnt vmcnt(0)
	v_cmp_class_f16_e64 s14, v1, 0x204
	s_and_saveexec_b32 s12, s14
; %bb.7:                                ;   in Loop: Header=BB10_4 Depth=1
	v_cmp_class_f16_sdwa s9, v1, v4 src0_sel:WORD_1 src1_sel:DWORD
	s_and_b32 s9, s9, exec_lo
; %bb.8:                                ;   in Loop: Header=BB10_4 Depth=1
	s_or_b32 exec_lo, exec_lo, s12
	s_and_b32 s9, s9, exec_lo
.LBB10_9:                               ;   in Loop: Header=BB10_4 Depth=1
	s_or_b32 exec_lo, exec_lo, s8
	v_cndmask_b32_e64 v1, 0, 1, s9
	s_mov_b32 s12, exec_lo
	v_cmp_ne_u32_e32 vcc_lo, 0, v1
	s_and_saveexec_b32 s8, s0
	s_cbranch_execz .LBB10_3
; %bb.10:                               ;   in Loop: Header=BB10_4 Depth=1
	s_cmp_eq_u32 vcc_lo, s12
	s_cselect_b32 s9, -1, 0
	v_cndmask_b32_e64 v1, 0, 1, s9
	ds_write_b32 v3, v1
	s_branch .LBB10_3
.LBB10_11:                              ;   in Loop: Header=BB10_4 Depth=1
	s_cbranch_execz .LBB10_4
.LBB10_12:
	s_mov_b32 s0, exec_lo
	v_cmpx_eq_u32_e32 0, v0
	s_cbranch_execz .LBB10_14
; %bb.13:
	s_mul_i32 s0, s1, s7
	v_mov_b32_e32 v0, 0
	s_add_i32 s0, s0, s6
	v_mov_b32_e32 v1, s2
	s_ashr_i32 s1, s0, 31
	s_lshl_b64 s[0:1], s[0:1], 2
	s_add_u32 s0, s10, s0
	s_addc_u32 s1, s11, s1
	global_store_dword v0, v1, s[0:1]
.LBB10_14:
	s_endpgm
	.section	.rodata,"a",@progbits
	.p2align	6, 0x0
	.amdhsa_kernel _ZL25flash_attn_mask_to_KV_maxILi2EEvPK7__half2Piiii
		.amdhsa_group_segment_fixed_size 128
		.amdhsa_private_segment_fixed_size 0
		.amdhsa_kernarg_size 288
		.amdhsa_user_sgpr_count 6
		.amdhsa_user_sgpr_private_segment_buffer 1
		.amdhsa_user_sgpr_dispatch_ptr 0
		.amdhsa_user_sgpr_queue_ptr 0
		.amdhsa_user_sgpr_kernarg_segment_ptr 1
		.amdhsa_user_sgpr_dispatch_id 0
		.amdhsa_user_sgpr_flat_scratch_init 0
		.amdhsa_user_sgpr_private_segment_size 0
		.amdhsa_wavefront_size32 1
		.amdhsa_uses_dynamic_stack 0
		.amdhsa_system_sgpr_private_segment_wavefront_offset 0
		.amdhsa_system_sgpr_workgroup_id_x 1
		.amdhsa_system_sgpr_workgroup_id_y 1
		.amdhsa_system_sgpr_workgroup_id_z 0
		.amdhsa_system_sgpr_workgroup_info 0
		.amdhsa_system_vgpr_workitem_id 0
		.amdhsa_next_free_vgpr 8
		.amdhsa_next_free_sgpr 16
		.amdhsa_reserve_vcc 1
		.amdhsa_reserve_flat_scratch 0
		.amdhsa_float_round_mode_32 0
		.amdhsa_float_round_mode_16_64 0
		.amdhsa_float_denorm_mode_32 3
		.amdhsa_float_denorm_mode_16_64 3
		.amdhsa_dx10_clamp 1
		.amdhsa_ieee_mode 1
		.amdhsa_fp16_overflow 0
		.amdhsa_workgroup_processor_mode 1
		.amdhsa_memory_ordered 1
		.amdhsa_forward_progress 1
		.amdhsa_shared_vgpr_count 0
		.amdhsa_exception_fp_ieee_invalid_op 0
		.amdhsa_exception_fp_denorm_src 0
		.amdhsa_exception_fp_ieee_div_zero 0
		.amdhsa_exception_fp_ieee_overflow 0
		.amdhsa_exception_fp_ieee_underflow 0
		.amdhsa_exception_fp_ieee_inexact 0
		.amdhsa_exception_int_div_zero 0
	.end_amdhsa_kernel
	.section	.text._ZL25flash_attn_mask_to_KV_maxILi2EEvPK7__half2Piiii,"axG",@progbits,_ZL25flash_attn_mask_to_KV_maxILi2EEvPK7__half2Piiii,comdat
.Lfunc_end10:
	.size	_ZL25flash_attn_mask_to_KV_maxILi2EEvPK7__half2Piiii, .Lfunc_end10-_ZL25flash_attn_mask_to_KV_maxILi2EEvPK7__half2Piiii
                                        ; -- End function
	.set _ZL25flash_attn_mask_to_KV_maxILi2EEvPK7__half2Piiii.num_vgpr, 8
	.set _ZL25flash_attn_mask_to_KV_maxILi2EEvPK7__half2Piiii.num_agpr, 0
	.set _ZL25flash_attn_mask_to_KV_maxILi2EEvPK7__half2Piiii.numbered_sgpr, 16
	.set _ZL25flash_attn_mask_to_KV_maxILi2EEvPK7__half2Piiii.num_named_barrier, 0
	.set _ZL25flash_attn_mask_to_KV_maxILi2EEvPK7__half2Piiii.private_seg_size, 0
	.set _ZL25flash_attn_mask_to_KV_maxILi2EEvPK7__half2Piiii.uses_vcc, 1
	.set _ZL25flash_attn_mask_to_KV_maxILi2EEvPK7__half2Piiii.uses_flat_scratch, 0
	.set _ZL25flash_attn_mask_to_KV_maxILi2EEvPK7__half2Piiii.has_dyn_sized_stack, 0
	.set _ZL25flash_attn_mask_to_KV_maxILi2EEvPK7__half2Piiii.has_recursion, 0
	.set _ZL25flash_attn_mask_to_KV_maxILi2EEvPK7__half2Piiii.has_indirect_call, 0
	.section	.AMDGPU.csdata,"",@progbits
; Kernel info:
; codeLenInByte = 500
; TotalNumSgprs: 18
; NumVgprs: 8
; ScratchSize: 0
; MemoryBound: 0
; FloatMode: 240
; IeeeMode: 1
; LDSByteSize: 128 bytes/workgroup (compile time only)
; SGPRBlocks: 0
; VGPRBlocks: 0
; NumSGPRsForWavesPerEU: 18
; NumVGPRsForWavesPerEU: 8
; Occupancy: 16
; WaveLimiterHint : 0
; COMPUTE_PGM_RSRC2:SCRATCH_EN: 0
; COMPUTE_PGM_RSRC2:USER_SGPR: 6
; COMPUTE_PGM_RSRC2:TRAP_HANDLER: 0
; COMPUTE_PGM_RSRC2:TGID_X_EN: 1
; COMPUTE_PGM_RSRC2:TGID_Y_EN: 1
; COMPUTE_PGM_RSRC2:TGID_Z_EN: 0
; COMPUTE_PGM_RSRC2:TIDIG_COMP_CNT: 0
	.section	.text._ZL33flash_attn_stream_k_fixup_uniformILi112ELi2ELi8EEvPfPK15HIP_vector_typeIfLj2EEiiiiiiS1_IjLj3EES5_S5_,"axG",@progbits,_ZL33flash_attn_stream_k_fixup_uniformILi112ELi2ELi8EEvPfPK15HIP_vector_typeIfLj2EEiiiiiiS1_IjLj3EES5_S5_,comdat
	.globl	_ZL33flash_attn_stream_k_fixup_uniformILi112ELi2ELi8EEvPfPK15HIP_vector_typeIfLj2EEiiiiiiS1_IjLj3EES5_S5_ ; -- Begin function _ZL33flash_attn_stream_k_fixup_uniformILi112ELi2ELi8EEvPfPK15HIP_vector_typeIfLj2EEiiiiiiS1_IjLj3EES5_S5_
	.p2align	8
	.type	_ZL33flash_attn_stream_k_fixup_uniformILi112ELi2ELi8EEvPfPK15HIP_vector_typeIfLj2EEiiiiiiS1_IjLj3EES5_S5_,@function
_ZL33flash_attn_stream_k_fixup_uniformILi112ELi2ELi8EEvPfPK15HIP_vector_typeIfLj2EEiiiiiiS1_IjLj3EES5_S5_: ; @_ZL33flash_attn_stream_k_fixup_uniformILi112ELi2ELi8EEvPfPK15HIP_vector_typeIfLj2EEiiiiiiS1_IjLj3EES5_S5_
; %bb.0:
	s_clause 0x2
	s_load_dwordx8 s[12:19], s[4:5], 0x1c
	s_load_dwordx4 s[20:23], s[4:5], 0x3c
	s_load_dwordx2 s[10:11], s[4:5], 0x10
	s_waitcnt lgkmcnt(0)
	s_mul_hi_u32 s0, s15, s6
	s_add_i32 s0, s6, s0
	s_lshr_b32 s0, s0, s16
	s_mul_i32 s1, s0, s17
	s_sub_i32 s1, s6, s1
	s_mul_hi_u32 s2, s1, s18
	s_add_i32 s2, s1, s2
	s_lshr_b32 s9, s2, s19
	s_mul_i32 s2, s9, s20
	s_sub_i32 s1, s1, s2
	s_mul_hi_u32 s2, s1, s21
	s_add_i32 s2, s1, s2
	s_lshr_b32 s2, s2, s22
	s_mul_i32 s3, s2, s23
	s_lshl_b32 s16, s2, 3
	s_sub_i32 s15, s1, s3
	s_lshl_b32 s1, s15, 1
	s_add_i32 s1, s1, s7
	s_cmp_lt_i32 s1, s10
	s_cselect_b32 s1, -1, 0
	s_add_i32 s16, s16, s8
	s_cmp_lt_i32 s16, s13
	s_cselect_b32 s2, -1, 0
	s_and_b32 s1, s1, s2
	s_andn2_b32 vcc_lo, exec_lo, s1
	s_cbranch_vccnz .LBB11_6
; %bb.1:
	s_mul_i32 s10, s0, s10
	s_load_dwordx4 s[0:3], s[4:5], 0x0
	s_add_i32 s4, s10, s7
	s_mul_i32 s9, s9, s13
	s_mul_i32 s4, s4, s11
	s_add_i32 s5, s16, s9
	s_mul_i32 s9, s11, s15
	s_add_i32 s4, s5, s4
	s_mulk_i32 s9, 0xe0
	s_mulk_i32 s4, 0x70
	s_lshl_b32 s10, s7, 3
	v_add3_u32 v1, s4, s9, v0
	s_mul_i32 s4, s14, s6
	s_add_i32 s11, s4, s14
	v_ashrrev_i32_e32 v2, 31, v1
	v_lshlrev_b64 v[1:2], 2, v[1:2]
	s_waitcnt lgkmcnt(0)
	v_add_co_u32 v1, vcc_lo, s0, v1
	v_add_co_ci_u32_e64 v2, null, s1, v2, vcc_lo
	s_add_i32 s0, s10, s8
	s_lshl_b32 s1, s11, 4
	global_load_dword v5, v[1:2], off
	s_add_i32 s0, s0, s1
	s_add_i32 s0, s0, -16
	s_ashr_i32 s1, s0, 31
	s_lshl_b64 s[0:1], s[0:1], 3
	s_add_u32 s0, s2, s0
	s_addc_u32 s1, s3, s1
	s_add_i32 s5, s11, -2
	s_load_dword s13, s[0:1], 0x4
	s_cmp_lt_i32 s5, s4
	s_cbranch_scc1 .LBB11_4
; %bb.2:
	s_load_dword s15, s[0:1], 0x0
	s_lshl_b32 s16, s12, 6
	s_mulk_i32 s7, 0x380
	s_ashr_i32 s17, s16, 31
	s_waitcnt lgkmcnt(0)
	v_mov_b32_e32 v6, s13
	s_lshl_b64 s[0:1], s[16:17], 2
	s_add_u32 s5, s2, s0
	s_addc_u32 s9, s3, s1
	s_add_i32 s6, s6, 1
	s_mul_i32 s0, s14, s6
	s_mul_i32 s6, s8, 0x70
	s_lshl_b32 s1, s0, 4
	s_mulk_i32 s0, 0x700
	s_add_i32 s6, s6, s7
	s_add_i32 s1, s8, s1
	s_lshl_b32 s7, s12, 4
	s_add_i32 s6, s6, s0
	s_add_i32 s0, s1, s7
	v_add3_u32 v3, s6, v0, 0xfffff200
	v_mov_b32_e32 v0, s15
	s_add_i32 s0, s0, s10
	s_add_i32 s6, s11, -1
	s_sub_i32 s0, s0, 32
.LBB11_3:                               ; =>This Inner Loop Header: Depth=1
	v_ashrrev_i32_e32 v4, 31, v3
	s_ashr_i32 s1, s0, 31
	s_lshl_b64 s[10:11], s[0:1], 3
	s_add_u32 s10, s2, s10
	v_lshlrev_b64 v[7:8], 2, v[3:4]
	s_addc_u32 s11, s3, s11
	v_add_nc_u32_e32 v3, 0xfffff900, v3
	s_add_i32 s6, s6, -1
	s_add_i32 s0, s0, -16
	s_cmp_le_i32 s6, s4
	v_add_co_u32 v7, vcc_lo, s5, v7
	v_add_co_ci_u32_e64 v8, null, s9, v8, vcc_lo
	s_load_dwordx2 s[10:11], s[10:11], 0x0
	global_load_dword v4, v[7:8], off
	v_max_f32_e32 v7, v0, v0
	s_waitcnt lgkmcnt(0)
	v_max_f32_e64 v8, s10, s10
	v_max_f32_e32 v7, v7, v8
	v_sub_f32_e32 v8, s10, v7
	v_sub_f32_e32 v0, v0, v7
	v_mul_f32_e32 v9, 0x3fb8aa3b, v8
	v_mul_f32_e32 v12, 0x3fb8aa3b, v0
	v_cmp_ngt_f32_e32 vcc_lo, 0xc2ce8ed0, v8
	v_fma_f32 v10, 0x3fb8aa3b, v8, -v9
	v_rndne_f32_e32 v11, v9
	v_fma_f32 v13, 0x3fb8aa3b, v0, -v12
	v_rndne_f32_e32 v14, v12
	v_fmac_f32_e32 v10, 0x32a5705f, v8
	v_sub_f32_e32 v9, v9, v11
	v_fmac_f32_e32 v13, 0x32a5705f, v0
	v_cvt_i32_f32_e32 v11, v11
	v_add_f32_e32 v9, v9, v10
	v_sub_f32_e32 v10, v12, v14
	v_exp_f32_e32 v9, v9
	v_add_f32_e32 v10, v10, v13
	v_exp_f32_e32 v10, v10
	v_ldexp_f32 v9, v9, v11
	v_cvt_i32_f32_e32 v11, v14
	v_cndmask_b32_e32 v9, 0, v9, vcc_lo
	v_cmp_nlt_f32_e32 vcc_lo, 0x42b17218, v8
	v_ldexp_f32 v10, v10, v11
	v_mov_b32_e32 v11, v6
	v_cndmask_b32_e32 v9, 0x7f800000, v9, vcc_lo
	v_cmp_ngt_f32_e32 vcc_lo, 0xc2ce8ed0, v0
	v_cndmask_b32_e32 v10, 0, v10, vcc_lo
	v_cmp_le_f32_e32 vcc_lo, 0xc1a00000, v8
	v_cndmask_b32_e32 v8, 0, v9, vcc_lo
	v_cmp_nlt_f32_e32 vcc_lo, 0x42b17218, v0
	s_waitcnt vmcnt(1)
	v_mov_b32_e32 v9, v5
	v_cndmask_b32_e32 v5, 0x7f800000, v10, vcc_lo
	v_mul_f32_e32 v10, s11, v8
	v_cmp_le_f32_e32 vcc_lo, 0xc1a00000, v0
	v_mov_b32_e32 v0, v7
	v_mov_b32_e32 v6, v10
	v_cndmask_b32_e32 v12, 0, v5, vcc_lo
	v_fmac_f32_e32 v6, v11, v12
	s_waitcnt vmcnt(0)
	v_mul_f32_e32 v5, v4, v8
	v_fmac_f32_e32 v5, v9, v12
	s_cbranch_scc0 .LBB11_3
	s_branch .LBB11_5
.LBB11_4:
	s_waitcnt lgkmcnt(0)
	v_mov_b32_e32 v6, s13
.LBB11_5:
	s_waitcnt vmcnt(0)
	v_div_scale_f32 v0, null, v6, v6, v5
	v_rcp_f32_e32 v3, v0
	v_fma_f32 v4, -v0, v3, 1.0
	v_fmac_f32_e32 v3, v4, v3
	v_div_scale_f32 v4, vcc_lo, v5, v6, v5
	v_mul_f32_e32 v7, v4, v3
	v_fma_f32 v8, -v0, v7, v4
	v_fmac_f32_e32 v7, v8, v3
	v_fma_f32 v0, -v0, v7, v4
	v_div_fmas_f32 v0, v0, v3, v7
	v_div_fixup_f32 v0, v0, v6, v5
	global_store_dword v[1:2], v0, off
.LBB11_6:
	s_endpgm
	.section	.rodata,"a",@progbits
	.p2align	6, 0x0
	.amdhsa_kernel _ZL33flash_attn_stream_k_fixup_uniformILi112ELi2ELi8EEvPfPK15HIP_vector_typeIfLj2EEiiiiiiS1_IjLj3EES5_S5_
		.amdhsa_group_segment_fixed_size 0
		.amdhsa_private_segment_fixed_size 0
		.amdhsa_kernarg_size 76
		.amdhsa_user_sgpr_count 6
		.amdhsa_user_sgpr_private_segment_buffer 1
		.amdhsa_user_sgpr_dispatch_ptr 0
		.amdhsa_user_sgpr_queue_ptr 0
		.amdhsa_user_sgpr_kernarg_segment_ptr 1
		.amdhsa_user_sgpr_dispatch_id 0
		.amdhsa_user_sgpr_flat_scratch_init 0
		.amdhsa_user_sgpr_private_segment_size 0
		.amdhsa_wavefront_size32 1
		.amdhsa_uses_dynamic_stack 0
		.amdhsa_system_sgpr_private_segment_wavefront_offset 0
		.amdhsa_system_sgpr_workgroup_id_x 1
		.amdhsa_system_sgpr_workgroup_id_y 1
		.amdhsa_system_sgpr_workgroup_id_z 1
		.amdhsa_system_sgpr_workgroup_info 0
		.amdhsa_system_vgpr_workitem_id 0
		.amdhsa_next_free_vgpr 15
		.amdhsa_next_free_sgpr 24
		.amdhsa_reserve_vcc 1
		.amdhsa_reserve_flat_scratch 0
		.amdhsa_float_round_mode_32 0
		.amdhsa_float_round_mode_16_64 0
		.amdhsa_float_denorm_mode_32 3
		.amdhsa_float_denorm_mode_16_64 3
		.amdhsa_dx10_clamp 1
		.amdhsa_ieee_mode 1
		.amdhsa_fp16_overflow 0
		.amdhsa_workgroup_processor_mode 1
		.amdhsa_memory_ordered 1
		.amdhsa_forward_progress 1
		.amdhsa_shared_vgpr_count 0
		.amdhsa_exception_fp_ieee_invalid_op 0
		.amdhsa_exception_fp_denorm_src 0
		.amdhsa_exception_fp_ieee_div_zero 0
		.amdhsa_exception_fp_ieee_overflow 0
		.amdhsa_exception_fp_ieee_underflow 0
		.amdhsa_exception_fp_ieee_inexact 0
		.amdhsa_exception_int_div_zero 0
	.end_amdhsa_kernel
	.section	.text._ZL33flash_attn_stream_k_fixup_uniformILi112ELi2ELi8EEvPfPK15HIP_vector_typeIfLj2EEiiiiiiS1_IjLj3EES5_S5_,"axG",@progbits,_ZL33flash_attn_stream_k_fixup_uniformILi112ELi2ELi8EEvPfPK15HIP_vector_typeIfLj2EEiiiiiiS1_IjLj3EES5_S5_,comdat
.Lfunc_end11:
	.size	_ZL33flash_attn_stream_k_fixup_uniformILi112ELi2ELi8EEvPfPK15HIP_vector_typeIfLj2EEiiiiiiS1_IjLj3EES5_S5_, .Lfunc_end11-_ZL33flash_attn_stream_k_fixup_uniformILi112ELi2ELi8EEvPfPK15HIP_vector_typeIfLj2EEiiiiiiS1_IjLj3EES5_S5_
                                        ; -- End function
	.set _ZL33flash_attn_stream_k_fixup_uniformILi112ELi2ELi8EEvPfPK15HIP_vector_typeIfLj2EEiiiiiiS1_IjLj3EES5_S5_.num_vgpr, 15
	.set _ZL33flash_attn_stream_k_fixup_uniformILi112ELi2ELi8EEvPfPK15HIP_vector_typeIfLj2EEiiiiiiS1_IjLj3EES5_S5_.num_agpr, 0
	.set _ZL33flash_attn_stream_k_fixup_uniformILi112ELi2ELi8EEvPfPK15HIP_vector_typeIfLj2EEiiiiiiS1_IjLj3EES5_S5_.numbered_sgpr, 24
	.set _ZL33flash_attn_stream_k_fixup_uniformILi112ELi2ELi8EEvPfPK15HIP_vector_typeIfLj2EEiiiiiiS1_IjLj3EES5_S5_.num_named_barrier, 0
	.set _ZL33flash_attn_stream_k_fixup_uniformILi112ELi2ELi8EEvPfPK15HIP_vector_typeIfLj2EEiiiiiiS1_IjLj3EES5_S5_.private_seg_size, 0
	.set _ZL33flash_attn_stream_k_fixup_uniformILi112ELi2ELi8EEvPfPK15HIP_vector_typeIfLj2EEiiiiiiS1_IjLj3EES5_S5_.uses_vcc, 1
	.set _ZL33flash_attn_stream_k_fixup_uniformILi112ELi2ELi8EEvPfPK15HIP_vector_typeIfLj2EEiiiiiiS1_IjLj3EES5_S5_.uses_flat_scratch, 0
	.set _ZL33flash_attn_stream_k_fixup_uniformILi112ELi2ELi8EEvPfPK15HIP_vector_typeIfLj2EEiiiiiiS1_IjLj3EES5_S5_.has_dyn_sized_stack, 0
	.set _ZL33flash_attn_stream_k_fixup_uniformILi112ELi2ELi8EEvPfPK15HIP_vector_typeIfLj2EEiiiiiiS1_IjLj3EES5_S5_.has_recursion, 0
	.set _ZL33flash_attn_stream_k_fixup_uniformILi112ELi2ELi8EEvPfPK15HIP_vector_typeIfLj2EEiiiiiiS1_IjLj3EES5_S5_.has_indirect_call, 0
	.section	.AMDGPU.csdata,"",@progbits
; Kernel info:
; codeLenInByte = 848
; TotalNumSgprs: 26
; NumVgprs: 15
; ScratchSize: 0
; MemoryBound: 0
; FloatMode: 240
; IeeeMode: 1
; LDSByteSize: 0 bytes/workgroup (compile time only)
; SGPRBlocks: 0
; VGPRBlocks: 1
; NumSGPRsForWavesPerEU: 26
; NumVGPRsForWavesPerEU: 15
; Occupancy: 16
; WaveLimiterHint : 0
; COMPUTE_PGM_RSRC2:SCRATCH_EN: 0
; COMPUTE_PGM_RSRC2:USER_SGPR: 6
; COMPUTE_PGM_RSRC2:TRAP_HANDLER: 0
; COMPUTE_PGM_RSRC2:TGID_X_EN: 1
; COMPUTE_PGM_RSRC2:TGID_Y_EN: 1
; COMPUTE_PGM_RSRC2:TGID_Z_EN: 1
; COMPUTE_PGM_RSRC2:TIDIG_COMP_CNT: 0
	.section	.text._ZL33flash_attn_stream_k_fixup_generalILi112ELi2ELi8EEvPfPK15HIP_vector_typeIfLj2EEiiiiS1_IjLj3EES5_S5_S5_,"axG",@progbits,_ZL33flash_attn_stream_k_fixup_generalILi112ELi2ELi8EEvPfPK15HIP_vector_typeIfLj2EEiiiiS1_IjLj3EES5_S5_S5_,comdat
	.globl	_ZL33flash_attn_stream_k_fixup_generalILi112ELi2ELi8EEvPfPK15HIP_vector_typeIfLj2EEiiiiS1_IjLj3EES5_S5_S5_ ; -- Begin function _ZL33flash_attn_stream_k_fixup_generalILi112ELi2ELi8EEvPfPK15HIP_vector_typeIfLj2EEiiiiS1_IjLj3EES5_S5_S5_
	.p2align	8
	.type	_ZL33flash_attn_stream_k_fixup_generalILi112ELi2ELi8EEvPfPK15HIP_vector_typeIfLj2EEiiiiS1_IjLj3EES5_S5_S5_,@function
_ZL33flash_attn_stream_k_fixup_generalILi112ELi2ELi8EEvPfPK15HIP_vector_typeIfLj2EEiiiiS1_IjLj3EES5_S5_S5_: ; @_ZL33flash_attn_stream_k_fixup_generalILi112ELi2ELi8EEvPfPK15HIP_vector_typeIfLj2EEiiiiS1_IjLj3EES5_S5_S5_
; %bb.0:
	s_clause 0x1
	s_load_dwordx4 s[0:3], s[4:5], 0x10
	s_load_dword s9, s[4:5], 0x50
	s_mov_b32 s16, 0
	s_waitcnt lgkmcnt(0)
	s_mul_hi_i32 s17, s3, s6
	s_mul_i32 s18, s3, s6
	s_cmp_lg_u64 s[16:17], 0
	s_cbranch_scc0 .LBB12_21
; %bb.1:
	s_add_u32 s10, s9, 0
	s_addc_u32 s11, 0, 0
	s_xor_b64 s[10:11], s[10:11], 0
	v_cvt_f32_u32_e32 v1, s10
	v_cvt_f32_u32_e32 v2, s11
	s_sub_u32 s14, 0, s10
	s_subb_u32 s15, 0, s11
	v_fmamk_f32 v1, v2, 0x4f800000, v1
	v_rcp_f32_e32 v1, v1
	v_mul_f32_e32 v1, 0x5f7ffffc, v1
	v_mul_f32_e32 v2, 0x2f800000, v1
	v_trunc_f32_e32 v2, v2
	v_fmamk_f32 v1, v2, 0xcf800000, v1
	v_cvt_u32_f32_e32 v2, v2
	v_cvt_u32_f32_e32 v1, v1
	v_readfirstlane_b32 s12, v2
	v_readfirstlane_b32 s13, v1
	s_mul_i32 s19, s14, s12
	s_mul_hi_u32 s21, s14, s13
	s_mul_i32 s20, s15, s13
	s_add_i32 s19, s21, s19
	s_mul_i32 s22, s14, s13
	s_add_i32 s19, s19, s20
	s_mul_hi_u32 s21, s13, s22
	s_mul_i32 s24, s13, s19
	s_mul_hi_u32 s23, s12, s22
	s_mul_i32 s20, s12, s22
	s_mul_hi_u32 s22, s13, s19
	s_add_u32 s21, s21, s24
	s_addc_u32 s22, 0, s22
	s_mul_hi_u32 s25, s12, s19
	s_add_u32 s20, s21, s20
	s_mul_i32 s19, s12, s19
	s_addc_u32 s20, s22, s23
	s_addc_u32 s21, s25, 0
	s_add_u32 s19, s20, s19
	s_addc_u32 s20, 0, s21
	s_add_u32 s13, s13, s19
	s_cselect_b32 s19, -1, 0
	s_mul_hi_u32 s21, s14, s13
	s_cmp_lg_u32 s19, 0
	s_mul_i32 s19, s14, s13
	s_addc_u32 s12, s12, s20
	s_mul_i32 s15, s15, s13
	s_mul_i32 s14, s14, s12
	s_mul_hi_u32 s20, s13, s19
	s_add_i32 s14, s21, s14
	s_mul_hi_u32 s21, s12, s19
	s_add_i32 s14, s14, s15
	s_mul_i32 s15, s12, s19
	s_mul_i32 s23, s13, s14
	s_mul_hi_u32 s22, s13, s14
	s_add_u32 s20, s20, s23
	s_addc_u32 s22, 0, s22
	s_mul_hi_u32 s19, s12, s14
	s_add_u32 s15, s20, s15
	s_mul_i32 s14, s12, s14
	s_addc_u32 s15, s22, s21
	s_addc_u32 s19, s19, 0
	s_add_u32 s14, s15, s14
	s_addc_u32 s15, 0, s19
	s_add_u32 s19, s13, s14
	s_cselect_b32 s13, -1, 0
	s_cmp_lg_u32 s13, 0
	s_addc_u32 s20, s12, s15
	s_ashr_i32 s12, s17, 31
	s_add_u32 s14, s18, s12
	s_mov_b32 s13, s12
	s_addc_u32 s15, s17, s12
	s_xor_b64 s[14:15], s[14:15], s[12:13]
	s_mul_i32 s21, s14, s20
	s_mul_hi_u32 s22, s14, s19
	s_mul_hi_u32 s17, s14, s20
	s_mul_hi_u32 s24, s15, s19
	s_mul_i32 s19, s15, s19
	s_add_u32 s21, s22, s21
	s_addc_u32 s17, 0, s17
	s_mul_hi_u32 s23, s15, s20
	s_add_u32 s19, s21, s19
	s_mul_i32 s20, s15, s20
	s_addc_u32 s17, s17, s24
	s_addc_u32 s19, s23, 0
	s_add_u32 s17, s17, s20
	s_addc_u32 s19, 0, s19
	s_mul_hi_u32 s20, s10, s17
	s_mul_i32 s21, s10, s19
	s_mul_i32 s22, s11, s17
	s_add_i32 s20, s20, s21
	s_mul_i32 s21, s10, s17
	s_add_i32 s20, s20, s22
	s_sub_i32 s22, s15, s20
	s_sub_u32 s14, s14, s21
	s_cselect_b32 s21, -1, 0
	s_cmp_lg_u32 s21, 0
	s_subb_u32 s22, s22, s11
	s_sub_u32 s23, s14, s10
	s_cselect_b32 s24, -1, 0
	s_cmp_lg_u32 s24, 0
	s_subb_u32 s22, s22, 0
	s_cmp_ge_u32 s22, s11
	s_cselect_b32 s24, -1, 0
	s_cmp_ge_u32 s23, s10
	s_cselect_b32 s23, -1, 0
	s_cmp_eq_u32 s22, s11
	s_cselect_b32 s22, s23, s24
	s_add_u32 s23, s17, 1
	s_addc_u32 s24, s19, 0
	s_add_u32 s25, s17, 2
	s_addc_u32 s26, s19, 0
	s_cmp_lg_u32 s22, 0
	s_cselect_b32 s22, s25, s23
	s_cselect_b32 s23, s26, s24
	s_cmp_lg_u32 s21, 0
	s_subb_u32 s15, s15, s20
	s_cmp_ge_u32 s15, s11
	s_cselect_b32 s20, -1, 0
	s_cmp_ge_u32 s14, s10
	s_cselect_b32 s10, -1, 0
	s_cmp_eq_u32 s15, s11
	s_cselect_b32 s10, s10, s20
	s_cmp_lg_u32 s10, 0
	s_cselect_b32 s11, s23, s19
	s_cselect_b32 s10, s22, s17
	s_xor_b64 s[12:13], s[12:13], 0
	s_xor_b64 s[10:11], s[10:11], s[12:13]
	s_sub_u32 s10, s10, s12
	s_load_dwordx4 s[12:15], s[4:5], 0x44
	s_andn2_b32 vcc_lo, exec_lo, s16
	s_cbranch_vccnz .LBB12_3
.LBB12_2:
	v_cvt_f32_u32_e32 v1, s9
	s_sub_i32 s11, 0, s9
	v_rcp_iflag_f32_e32 v1, v1
	v_mul_f32_e32 v1, 0x4f7ffffe, v1
	v_cvt_u32_f32_e32 v1, v1
	v_readfirstlane_b32 s10, v1
	s_mul_i32 s11, s11, s10
	s_mul_hi_u32 s11, s10, s11
	s_add_i32 s10, s10, s11
	s_mul_hi_u32 s10, s18, s10
	s_mul_i32 s11, s10, s9
	s_waitcnt lgkmcnt(0)
	s_add_i32 s15, s10, 1
	s_sub_i32 s11, s18, s11
	s_sub_i32 s16, s11, s9
	s_cmp_ge_u32 s11, s9
	s_cselect_b32 s10, s15, s10
	s_cselect_b32 s11, s16, s11
	s_add_i32 s15, s10, 1
	s_cmp_ge_u32 s11, s9
	s_cselect_b32 s10, s15, s10
.LBB12_3:
	s_add_i32 s11, s6, 1
	s_mov_b32 s16, 0
	s_mul_hi_i32 s17, s3, s11
	s_mul_i32 s11, s3, s11
	s_cmp_lg_u64 s[16:17], 0
	s_cbranch_scc0 .LBB12_22
; %bb.4:
	s_add_u32 s18, s9, 0
	s_addc_u32 s19, 0, 0
	s_xor_b64 s[18:19], s[18:19], 0
	v_cvt_f32_u32_e32 v1, s18
	v_cvt_f32_u32_e32 v2, s19
	s_sub_u32 s21, 0, s18
	s_subb_u32 s22, 0, s19
	v_fmamk_f32 v1, v2, 0x4f800000, v1
	v_rcp_f32_e32 v1, v1
	v_mul_f32_e32 v1, 0x5f7ffffc, v1
	v_mul_f32_e32 v2, 0x2f800000, v1
	v_trunc_f32_e32 v2, v2
	v_fmamk_f32 v1, v2, 0xcf800000, v1
	v_cvt_u32_f32_e32 v2, v2
	v_cvt_u32_f32_e32 v1, v1
	s_waitcnt lgkmcnt(0)
	v_readfirstlane_b32 s15, v2
	v_readfirstlane_b32 s20, v1
	s_mul_i32 s23, s21, s15
	s_mul_hi_u32 s25, s21, s20
	s_mul_i32 s24, s22, s20
	s_add_i32 s23, s25, s23
	s_mul_i32 s26, s21, s20
	s_add_i32 s23, s23, s24
	s_mul_hi_u32 s25, s20, s26
	s_mul_i32 s28, s20, s23
	s_mul_hi_u32 s27, s15, s26
	s_mul_i32 s24, s15, s26
	s_mul_hi_u32 s26, s20, s23
	s_add_u32 s25, s25, s28
	s_addc_u32 s26, 0, s26
	s_mul_hi_u32 s29, s15, s23
	s_add_u32 s24, s25, s24
	s_mul_i32 s23, s15, s23
	s_addc_u32 s24, s26, s27
	s_addc_u32 s25, s29, 0
	s_add_u32 s23, s24, s23
	s_addc_u32 s24, 0, s25
	s_add_u32 s20, s20, s23
	s_cselect_b32 s23, -1, 0
	s_mul_hi_u32 s25, s21, s20
	s_cmp_lg_u32 s23, 0
	s_mul_i32 s23, s21, s20
	s_addc_u32 s15, s15, s24
	s_mul_i32 s22, s22, s20
	s_mul_i32 s21, s21, s15
	s_mul_hi_u32 s24, s20, s23
	s_add_i32 s21, s25, s21
	s_mul_hi_u32 s25, s15, s23
	s_add_i32 s21, s21, s22
	s_mul_i32 s22, s15, s23
	s_mul_i32 s27, s20, s21
	s_mul_hi_u32 s26, s20, s21
	s_add_u32 s24, s24, s27
	s_addc_u32 s26, 0, s26
	s_mul_hi_u32 s23, s15, s21
	s_add_u32 s22, s24, s22
	s_mul_i32 s21, s15, s21
	s_addc_u32 s22, s26, s25
	s_addc_u32 s23, s23, 0
	s_add_u32 s21, s22, s21
	s_addc_u32 s22, 0, s23
	s_add_u32 s24, s20, s21
	s_cselect_b32 s20, -1, 0
	s_cmp_lg_u32 s20, 0
	s_addc_u32 s15, s15, s22
	s_ashr_i32 s20, s17, 31
	s_add_u32 s22, s11, s20
	s_mov_b32 s21, s20
	s_addc_u32 s23, s17, s20
	s_xor_b64 s[22:23], s[22:23], s[20:21]
	s_mul_i32 s25, s22, s15
	s_mul_hi_u32 s26, s22, s24
	s_mul_hi_u32 s17, s22, s15
	;; [unrolled: 1-line block ×3, first 2 shown]
	s_mul_i32 s24, s23, s24
	s_add_u32 s25, s26, s25
	s_addc_u32 s17, 0, s17
	s_mul_hi_u32 s27, s23, s15
	s_add_u32 s24, s25, s24
	s_mul_i32 s15, s23, s15
	s_addc_u32 s17, s17, s28
	s_addc_u32 s24, s27, 0
	s_add_u32 s15, s17, s15
	s_addc_u32 s17, 0, s24
	s_mul_hi_u32 s24, s18, s15
	s_mul_i32 s25, s18, s17
	s_mul_i32 s26, s19, s15
	s_add_i32 s24, s24, s25
	s_mul_i32 s25, s18, s15
	s_add_i32 s24, s24, s26
	s_sub_i32 s26, s23, s24
	s_sub_u32 s22, s22, s25
	s_cselect_b32 s25, -1, 0
	s_cmp_lg_u32 s25, 0
	s_subb_u32 s26, s26, s19
	s_sub_u32 s27, s22, s18
	s_cselect_b32 s28, -1, 0
	s_cmp_lg_u32 s28, 0
	s_subb_u32 s26, s26, 0
	s_cmp_ge_u32 s26, s19
	s_cselect_b32 s28, -1, 0
	s_cmp_ge_u32 s27, s18
	s_cselect_b32 s27, -1, 0
	s_cmp_eq_u32 s26, s19
	s_cselect_b32 s26, s27, s28
	s_add_u32 s27, s15, 1
	s_addc_u32 s28, s17, 0
	s_add_u32 s29, s15, 2
	s_addc_u32 s30, s17, 0
	s_cmp_lg_u32 s26, 0
	s_cselect_b32 s26, s29, s27
	s_cselect_b32 s27, s30, s28
	s_cmp_lg_u32 s25, 0
	s_subb_u32 s23, s23, s24
	s_cmp_ge_u32 s23, s19
	s_cselect_b32 s24, -1, 0
	s_cmp_ge_u32 s22, s18
	s_cselect_b32 s18, -1, 0
	s_cmp_eq_u32 s23, s19
	s_cselect_b32 s18, s18, s24
	s_cmp_lg_u32 s18, 0
	s_cselect_b32 s19, s27, s17
	s_cselect_b32 s18, s26, s15
	s_xor_b64 s[20:21], s[20:21], 0
	s_xor_b64 s[18:19], s[18:19], s[20:21]
	s_sub_u32 s18, s18, s20
	s_andn2_b32 vcc_lo, exec_lo, s16
	s_cbranch_vccnz .LBB12_6
.LBB12_5:
	v_cvt_f32_u32_e32 v1, s9
	s_sub_i32 s16, 0, s9
	v_rcp_iflag_f32_e32 v1, v1
	v_mul_f32_e32 v1, 0x4f7ffffe, v1
	v_cvt_u32_f32_e32 v1, v1
	s_waitcnt lgkmcnt(0)
	v_readfirstlane_b32 s15, v1
	s_mul_i32 s16, s16, s15
	s_mul_hi_u32 s16, s15, s16
	s_add_i32 s15, s15, s16
	s_mul_hi_u32 s15, s11, s15
	s_mul_i32 s16, s15, s9
	s_sub_i32 s11, s11, s16
	s_add_i32 s16, s15, 1
	s_sub_i32 s17, s11, s9
	s_cmp_ge_u32 s11, s9
	s_cselect_b32 s15, s16, s15
	s_cselect_b32 s11, s17, s11
	s_add_i32 s16, s15, 1
	s_cmp_ge_u32 s11, s9
	s_cselect_b32 s18, s16, s15
.LBB12_6:
	s_cmp_eq_u32 s10, s18
	s_waitcnt lgkmcnt(0)
	s_mul_hi_u32 s11, s10, s12
	s_cselect_b32 s15, -1, 0
	s_add_i32 s11, s11, s10
	s_lshr_b32 s11, s11, s13
	s_mul_i32 s16, s11, s14
	s_cmp_eq_u32 s16, s10
	s_mul_hi_u32 s16, s18, s12
	s_cselect_b32 s17, -1, 0
	s_add_i32 s16, s16, s18
	s_lshr_b32 s16, s16, s13
	s_cmp_eq_u32 s11, s16
	s_mul_i32 s16, s16, s14
	s_cselect_b32 s19, -1, 0
	s_cmp_lg_u32 s16, s18
	s_cselect_b32 s16, -1, 0
	s_or_b32 s15, s15, s17
	s_and_b32 s16, s19, s16
	s_or_b32 s15, s15, s16
	s_and_b32 vcc_lo, exec_lo, s15
	s_cbranch_vccnz .LBB12_24
; %bb.7:
	s_clause 0x1
	s_load_dwordx8 s[20:27], s[4:5], 0x20
	s_load_dword s16, s[4:5], 0x40
	s_waitcnt lgkmcnt(0)
	s_mul_hi_u32 s15, s10, s20
	s_add_i32 s15, s15, s10
	s_lshr_b32 s15, s15, s21
	s_mul_i32 s17, s15, s22
	s_sub_i32 s17, s10, s17
	s_mul_hi_u32 s18, s17, s23
	s_add_i32 s18, s17, s18
	s_lshr_b32 s21, s18, s24
	s_mul_i32 s18, s21, s25
	s_sub_i32 s17, s17, s18
	s_mul_hi_u32 s18, s17, s26
	s_add_i32 s18, s17, s18
	s_lshr_b32 s18, s18, s27
	s_mul_i32 s16, s18, s16
	s_lshl_b32 s22, s18, 3
	s_sub_i32 s16, s17, s16
	s_mul_hi_u32 s17, s16, s12
	s_add_i32 s16, s16, s17
	s_lshr_b32 s20, s16, s13
	s_lshl_b32 s16, s20, 1
	s_add_i32 s16, s16, s7
	s_cmp_lt_i32 s16, s0
	s_cselect_b32 s16, -1, 0
	s_add_i32 s22, s22, s8
	s_cmp_lt_i32 s22, s2
	s_cselect_b32 s17, -1, 0
	s_and_b32 s16, s16, s17
	s_andn2_b32 vcc_lo, exec_lo, s16
	s_cbranch_vccnz .LBB12_24
; %bb.8:
	s_load_dwordx4 s[16:19], s[4:5], 0x0
	s_mov_b32 s4, 0
	s_lshl_b32 s24, s9, 6
	s_mov_b32 s25, s4
	s_lshl_b32 s5, s7, 3
	s_lshl_b64 s[24:25], s[24:25], 2
	s_mul_i32 s21, s21, s2
	s_mul_i32 s0, s15, s0
	s_add_i32 s2, s5, s8
	v_cvt_f32_u32_e32 v3, s9
	v_rcp_iflag_f32_e32 v3, v3
	s_waitcnt lgkmcnt(0)
	s_add_u32 s8, s18, s24
	s_addc_u32 s15, s19, s25
	s_add_i32 s0, s0, s7
	s_add_i32 s5, s22, s21
	s_mul_i32 s0, s0, s1
	s_mul_i32 s1, s1, s20
	s_add_i32 s0, s5, s0
	s_mulk_i32 s1, 0xe0
	s_mulk_i32 s0, 0x70
	v_mul_f32_e32 v7, 0x4f7ffffe, v3
	v_add3_u32 v1, s1, s0, v0
	s_lshl_b32 s0, s6, 4
	s_add_i32 s0, s2, s0
	v_ashrrev_i32_e32 v2, 31, v1
	s_ashr_i32 s1, s0, 31
	s_lshl_b64 s[0:1], s[0:1], 3
	v_lshlrev_b64 v[1:2], 2, v[1:2]
	s_add_u32 s0, s18, s0
	s_addc_u32 s1, s19, s1
	s_load_dwordx2 s[0:1], s[0:1], 0x0
	v_add_co_u32 v1, vcc_lo, s16, v1
	v_add_co_ci_u32_e64 v2, null, s17, v2, vcc_lo
	s_add_i32 s17, s6, -1
	v_mad_u64_u32 v[3:4], null, 0x70, s2, v[0:1]
	global_load_dword v5, v[1:2], off
	v_cvt_u32_f32_e32 v0, v7
	s_sub_i32 s16, 0, s9
	s_waitcnt lgkmcnt(0)
	v_mov_b32_e32 v4, s1
	v_mov_b32_e32 v6, s0
.LBB12_9:                               ; =>This Inner Loop Header: Depth=1
	s_mul_hi_i32 s5, s17, s3
	s_mul_i32 s6, s17, s3
	s_cmp_lg_u64 s[4:5], 0
	s_mov_b32 s7, -1
                                        ; implicit-def: $sgpr0_sgpr1
	s_cbranch_scc0 .LBB12_11
; %bb.10:                               ;   in Loop: Header=BB12_9 Depth=1
	s_add_u32 s0, s9, 0
	s_addc_u32 s1, 0, 0
	s_xor_b64 s[0:1], s[0:1], 0
	v_cvt_f32_u32_e32 v7, s0
	v_cvt_f32_u32_e32 v8, s1
	s_sub_u32 s21, 0, s0
	s_subb_u32 s22, 0, s1
	v_fmac_f32_e32 v7, 0x4f800000, v8
	v_rcp_f32_e32 v7, v7
	v_mul_f32_e32 v7, 0x5f7ffffc, v7
	v_mul_f32_e32 v8, 0x2f800000, v7
	v_trunc_f32_e32 v8, v8
	v_fmac_f32_e32 v7, 0xcf800000, v8
	v_cvt_u32_f32_e32 v8, v8
	v_cvt_u32_f32_e32 v7, v7
	v_readfirstlane_b32 s7, v8
	v_readfirstlane_b32 s20, v7
	s_mul_i32 s23, s21, s7
	s_mul_hi_u32 s25, s21, s20
	s_mul_i32 s24, s22, s20
	s_add_i32 s23, s25, s23
	s_mul_i32 s26, s21, s20
	s_add_i32 s23, s23, s24
	s_mul_hi_u32 s25, s20, s26
	s_mul_i32 s28, s20, s23
	s_mul_hi_u32 s27, s7, s26
	s_mul_i32 s24, s7, s26
	s_mul_hi_u32 s26, s20, s23
	s_add_u32 s25, s25, s28
	s_addc_u32 s26, 0, s26
	s_mul_hi_u32 s29, s7, s23
	s_add_u32 s24, s25, s24
	s_mul_i32 s23, s7, s23
	s_addc_u32 s24, s26, s27
	s_addc_u32 s25, s29, 0
	s_add_u32 s23, s24, s23
	s_addc_u32 s24, 0, s25
	s_add_u32 s20, s20, s23
	s_cselect_b32 s23, -1, 0
	s_mul_hi_u32 s25, s21, s20
	s_cmp_lg_u32 s23, 0
	s_mul_i32 s23, s21, s20
	s_addc_u32 s7, s7, s24
	s_mul_i32 s22, s22, s20
	s_mul_i32 s21, s21, s7
	s_mul_hi_u32 s24, s20, s23
	s_add_i32 s21, s25, s21
	s_mul_hi_u32 s25, s7, s23
	s_add_i32 s21, s21, s22
	s_mul_i32 s22, s7, s23
	s_mul_i32 s27, s20, s21
	s_mul_hi_u32 s26, s20, s21
	s_add_u32 s24, s24, s27
	s_addc_u32 s26, 0, s26
	s_mul_hi_u32 s23, s7, s21
	s_add_u32 s22, s24, s22
	s_mul_i32 s21, s7, s21
	s_addc_u32 s22, s26, s25
	s_addc_u32 s23, s23, 0
	s_add_u32 s21, s22, s21
	s_addc_u32 s22, 0, s23
	s_add_u32 s24, s20, s21
	s_cselect_b32 s20, -1, 0
	s_cmp_lg_u32 s20, 0
	s_addc_u32 s7, s7, s22
	s_ashr_i32 s20, s5, 31
	s_add_u32 s22, s6, s20
	s_mov_b32 s21, s20
	s_addc_u32 s23, s5, s20
	s_xor_b64 s[22:23], s[22:23], s[20:21]
	s_mul_i32 s25, s22, s7
	s_mul_hi_u32 s26, s22, s24
	s_mul_hi_u32 s5, s22, s7
	;; [unrolled: 1-line block ×3, first 2 shown]
	s_mul_i32 s24, s23, s24
	s_add_u32 s25, s26, s25
	s_addc_u32 s5, 0, s5
	s_mul_hi_u32 s27, s23, s7
	s_add_u32 s24, s25, s24
	s_mul_i32 s7, s23, s7
	s_addc_u32 s5, s5, s28
	s_addc_u32 s24, s27, 0
	s_add_u32 s5, s5, s7
	s_addc_u32 s7, 0, s24
	s_mul_hi_u32 s24, s0, s5
	s_mul_i32 s25, s0, s7
	s_mul_i32 s26, s1, s5
	s_add_i32 s24, s24, s25
	s_mul_i32 s25, s0, s5
	s_add_i32 s24, s24, s26
	s_sub_i32 s26, s23, s24
	s_sub_u32 s22, s22, s25
	s_cselect_b32 s25, -1, 0
	s_cmp_lg_u32 s25, 0
	s_subb_u32 s26, s26, s1
	s_sub_u32 s27, s22, s0
	s_cselect_b32 s28, -1, 0
	s_cmp_lg_u32 s28, 0
	s_subb_u32 s26, s26, 0
	s_cmp_ge_u32 s26, s1
	s_cselect_b32 s28, -1, 0
	s_cmp_ge_u32 s27, s0
	s_cselect_b32 s27, -1, 0
	s_cmp_eq_u32 s26, s1
	s_cselect_b32 s26, s27, s28
	s_add_u32 s27, s5, 1
	s_addc_u32 s28, s7, 0
	s_add_u32 s29, s5, 2
	s_addc_u32 s30, s7, 0
	s_cmp_lg_u32 s26, 0
	s_cselect_b32 s26, s29, s27
	s_cselect_b32 s27, s30, s28
	s_cmp_lg_u32 s25, 0
	s_subb_u32 s23, s23, s24
	s_cmp_ge_u32 s23, s1
	s_cselect_b32 s24, -1, 0
	s_cmp_ge_u32 s22, s0
	s_cselect_b32 s0, -1, 0
	s_cmp_eq_u32 s23, s1
	s_cselect_b32 s0, s0, s24
	s_cmp_lg_u32 s0, 0
	s_cselect_b32 s1, s27, s7
	s_cselect_b32 s0, s26, s5
	s_xor_b64 s[20:21], s[20:21], 0
	s_mov_b32 s7, 0
	s_xor_b64 s[0:1], s[0:1], s[20:21]
	s_sub_u32 s0, s0, s20
.LBB12_11:                              ;   in Loop: Header=BB12_9 Depth=1
	s_andn2_b32 vcc_lo, exec_lo, s7
	s_cbranch_vccnz .LBB12_13
; %bb.12:                               ;   in Loop: Header=BB12_9 Depth=1
	v_readfirstlane_b32 s0, v0
	s_mul_i32 s1, s16, s0
	s_mul_hi_u32 s1, s0, s1
	s_add_i32 s0, s0, s1
	s_mul_hi_u32 s0, s6, s0
	s_mul_i32 s1, s0, s9
	s_add_i32 s5, s0, 1
	s_sub_i32 s1, s6, s1
	s_sub_i32 s6, s1, s9
	s_cmp_ge_u32 s1, s9
	s_cselect_b32 s0, s5, s0
	s_cselect_b32 s1, s6, s1
	s_add_i32 s5, s0, 1
	s_cmp_ge_u32 s1, s9
	s_cselect_b32 s0, s5, s0
.LBB12_13:                              ;   in Loop: Header=BB12_9 Depth=1
	s_cmp_lg_u32 s10, s0
	s_mov_b32 s6, -1
                                        ; implicit-def: $sgpr5
                                        ; implicit-def: $vgpr8
                                        ; implicit-def: $vgpr7
                                        ; implicit-def: $vgpr9
                                        ; implicit-def: $sgpr1
                                        ; implicit-def: $sgpr20
	s_cbranch_scc0 .LBB12_18
; %bb.14:                               ;   in Loop: Header=BB12_9 Depth=1
	s_add_i32 s1, s17, s9
	s_mov_b32 s7, s4
	s_lshl_b32 s1, s1, 4
	s_mov_b32 s20, s10
	s_add_i32 s6, s1, s2
	s_mul_hi_u32 s1, s0, s12
	s_lshl_b64 s[6:7], s[6:7], 3
	s_add_u32 s6, s18, s6
	s_addc_u32 s7, s19, s7
	s_add_i32 s1, s1, s0
	s_lshr_b32 s1, s1, s13
	s_mul_i32 s5, s1, s14
	s_cmp_eq_u32 s5, s0
	s_cselect_b32 s5, -1, 0
	s_cmp_lt_u32 s1, s11
	s_cselect_b32 s1, -1, 0
	s_or_b32 s1, s1, s5
	s_mov_b32 s5, -1
	s_and_b32 vcc_lo, exec_lo, s1
	s_mov_b32 s1, s17
	s_cbranch_vccnz .LBB12_16
; %bb.15:                               ;   in Loop: Header=BB12_9 Depth=1
	s_add_i32 s1, s17, -1
	s_mov_b32 s5, 0
	s_mov_b32 s20, s0
.LBB12_16:                              ;   in Loop: Header=BB12_9 Depth=1
	v_mad_u64_u32 v[7:8], null, 0x700, s17, v[3:4]
	s_load_dwordx2 s[6:7], s[6:7], 0x0
	v_ashrrev_i32_e32 v8, 31, v7
	v_lshlrev_b64 v[7:8], 2, v[7:8]
	v_add_co_u32 v7, vcc_lo, s8, v7
	v_add_co_ci_u32_e64 v8, null, s15, v8, vcc_lo
	s_waitcnt lgkmcnt(0)
	v_max_f32_e64 v9, s6, s6
	global_load_dword v8, v[7:8], off
	v_max_f32_e32 v7, v6, v6
	v_max_f32_e32 v7, v7, v9
	v_sub_f32_e32 v9, s6, v7
	v_sub_f32_e32 v10, v6, v7
	v_mul_f32_e32 v11, 0x3fb8aa3b, v9
	v_mul_f32_e32 v12, 0x3fb8aa3b, v10
	v_cmp_ngt_f32_e32 vcc_lo, 0xc2ce8ed0, v9
	v_fma_f32 v13, 0x3fb8aa3b, v9, -v11
	v_rndne_f32_e32 v14, v11
	v_fma_f32 v15, 0x3fb8aa3b, v10, -v12
	v_rndne_f32_e32 v16, v12
	v_fmac_f32_e32 v13, 0x32a5705f, v9
	v_sub_f32_e32 v11, v11, v14
	v_fmac_f32_e32 v15, 0x32a5705f, v10
	v_sub_f32_e32 v12, v12, v16
	v_add_f32_e32 v11, v11, v13
	v_cvt_i32_f32_e32 v13, v14
	v_add_f32_e32 v12, v12, v15
	v_cvt_i32_f32_e32 v14, v16
	v_exp_f32_e32 v11, v11
	v_exp_f32_e32 v12, v12
	v_ldexp_f32 v11, v11, v13
	v_ldexp_f32 v12, v12, v14
	v_cndmask_b32_e32 v11, 0, v11, vcc_lo
	v_cmp_ngt_f32_e32 vcc_lo, 0xc2ce8ed0, v10
	v_cndmask_b32_e32 v12, 0, v12, vcc_lo
	v_cmp_nlt_f32_e32 vcc_lo, 0x42b17218, v9
	v_cndmask_b32_e32 v11, 0x7f800000, v11, vcc_lo
	v_cmp_nlt_f32_e32 vcc_lo, 0x42b17218, v10
	v_cndmask_b32_e32 v12, 0x7f800000, v12, vcc_lo
	v_cmp_le_f32_e32 vcc_lo, 0xc1a00000, v9
	v_cndmask_b32_e32 v9, 0, v11, vcc_lo
	v_cmp_le_f32_e32 vcc_lo, 0xc1a00000, v10
	v_cndmask_b32_e32 v10, 0, v12, vcc_lo
	s_waitcnt vmcnt(0)
	v_mul_f32_e32 v8, v8, v9
	v_mul_f32_e32 v9, s7, v9
	v_fmac_f32_e32 v8, v5, v10
	v_fmac_f32_e32 v9, v4, v10
	s_cbranch_execz .LBB12_19
.LBB12_17:                              ;   in Loop: Header=BB12_9 Depth=1
	s_andn2_b32 vcc_lo, exec_lo, s5
	s_cbranch_vccnz .LBB12_20
	s_branch .LBB12_23
.LBB12_18:                              ;   in Loop: Header=BB12_9 Depth=1
	s_andn2_b32 vcc_lo, exec_lo, s6
	s_cbranch_vccnz .LBB12_17
.LBB12_19:                              ;   in Loop: Header=BB12_9 Depth=1
	v_mov_b32_e32 v9, v4
	v_mov_b32_e32 v7, v6
	s_waitcnt vmcnt(0)
	v_mov_b32_e32 v8, v5
	s_add_i32 s1, s17, -1
	s_mov_b32 s20, s10
	s_cbranch_execz .LBB12_23
.LBB12_20:                              ;   in Loop: Header=BB12_9 Depth=1
	v_mov_b32_e32 v4, v9
	v_mov_b32_e32 v6, v7
	s_waitcnt vmcnt(0)
	v_mov_b32_e32 v5, v8
	s_mov_b32 s10, s20
	s_mov_b32 s17, s1
	s_branch .LBB12_9
.LBB12_21:
                                        ; implicit-def: $sgpr10_sgpr11
	s_load_dwordx4 s[12:15], s[4:5], 0x44
	s_branch .LBB12_2
.LBB12_22:
                                        ; implicit-def: $sgpr18_sgpr19
	s_branch .LBB12_5
.LBB12_23:
	v_div_scale_f32 v0, null, v9, v9, v8
	v_rcp_f32_e32 v3, v0
	v_fma_f32 v4, -v0, v3, 1.0
	v_fmac_f32_e32 v3, v4, v3
	v_div_scale_f32 v4, vcc_lo, v8, v9, v8
	s_waitcnt vmcnt(0)
	v_mul_f32_e32 v5, v4, v3
	v_fma_f32 v6, -v0, v5, v4
	v_fmac_f32_e32 v5, v6, v3
	v_fma_f32 v0, -v0, v5, v4
	v_div_fmas_f32 v0, v0, v3, v5
	v_div_fixup_f32 v0, v0, v9, v8
	global_store_dword v[1:2], v0, off
.LBB12_24:
	s_endpgm
	.section	.rodata,"a",@progbits
	.p2align	6, 0x0
	.amdhsa_kernel _ZL33flash_attn_stream_k_fixup_generalILi112ELi2ELi8EEvPfPK15HIP_vector_typeIfLj2EEiiiiS1_IjLj3EES5_S5_S5_
		.amdhsa_group_segment_fixed_size 0
		.amdhsa_private_segment_fixed_size 0
		.amdhsa_kernarg_size 336
		.amdhsa_user_sgpr_count 6
		.amdhsa_user_sgpr_private_segment_buffer 1
		.amdhsa_user_sgpr_dispatch_ptr 0
		.amdhsa_user_sgpr_queue_ptr 0
		.amdhsa_user_sgpr_kernarg_segment_ptr 1
		.amdhsa_user_sgpr_dispatch_id 0
		.amdhsa_user_sgpr_flat_scratch_init 0
		.amdhsa_user_sgpr_private_segment_size 0
		.amdhsa_wavefront_size32 1
		.amdhsa_uses_dynamic_stack 0
		.amdhsa_system_sgpr_private_segment_wavefront_offset 0
		.amdhsa_system_sgpr_workgroup_id_x 1
		.amdhsa_system_sgpr_workgroup_id_y 1
		.amdhsa_system_sgpr_workgroup_id_z 1
		.amdhsa_system_sgpr_workgroup_info 0
		.amdhsa_system_vgpr_workitem_id 0
		.amdhsa_next_free_vgpr 17
		.amdhsa_next_free_sgpr 31
		.amdhsa_reserve_vcc 1
		.amdhsa_reserve_flat_scratch 0
		.amdhsa_float_round_mode_32 0
		.amdhsa_float_round_mode_16_64 0
		.amdhsa_float_denorm_mode_32 3
		.amdhsa_float_denorm_mode_16_64 3
		.amdhsa_dx10_clamp 1
		.amdhsa_ieee_mode 1
		.amdhsa_fp16_overflow 0
		.amdhsa_workgroup_processor_mode 1
		.amdhsa_memory_ordered 1
		.amdhsa_forward_progress 1
		.amdhsa_shared_vgpr_count 0
		.amdhsa_exception_fp_ieee_invalid_op 0
		.amdhsa_exception_fp_denorm_src 0
		.amdhsa_exception_fp_ieee_div_zero 0
		.amdhsa_exception_fp_ieee_overflow 0
		.amdhsa_exception_fp_ieee_underflow 0
		.amdhsa_exception_fp_ieee_inexact 0
		.amdhsa_exception_int_div_zero 0
	.end_amdhsa_kernel
	.section	.text._ZL33flash_attn_stream_k_fixup_generalILi112ELi2ELi8EEvPfPK15HIP_vector_typeIfLj2EEiiiiS1_IjLj3EES5_S5_S5_,"axG",@progbits,_ZL33flash_attn_stream_k_fixup_generalILi112ELi2ELi8EEvPfPK15HIP_vector_typeIfLj2EEiiiiS1_IjLj3EES5_S5_S5_,comdat
.Lfunc_end12:
	.size	_ZL33flash_attn_stream_k_fixup_generalILi112ELi2ELi8EEvPfPK15HIP_vector_typeIfLj2EEiiiiS1_IjLj3EES5_S5_S5_, .Lfunc_end12-_ZL33flash_attn_stream_k_fixup_generalILi112ELi2ELi8EEvPfPK15HIP_vector_typeIfLj2EEiiiiS1_IjLj3EES5_S5_S5_
                                        ; -- End function
	.set _ZL33flash_attn_stream_k_fixup_generalILi112ELi2ELi8EEvPfPK15HIP_vector_typeIfLj2EEiiiiS1_IjLj3EES5_S5_S5_.num_vgpr, 17
	.set _ZL33flash_attn_stream_k_fixup_generalILi112ELi2ELi8EEvPfPK15HIP_vector_typeIfLj2EEiiiiS1_IjLj3EES5_S5_S5_.num_agpr, 0
	.set _ZL33flash_attn_stream_k_fixup_generalILi112ELi2ELi8EEvPfPK15HIP_vector_typeIfLj2EEiiiiS1_IjLj3EES5_S5_S5_.numbered_sgpr, 31
	.set _ZL33flash_attn_stream_k_fixup_generalILi112ELi2ELi8EEvPfPK15HIP_vector_typeIfLj2EEiiiiS1_IjLj3EES5_S5_S5_.num_named_barrier, 0
	.set _ZL33flash_attn_stream_k_fixup_generalILi112ELi2ELi8EEvPfPK15HIP_vector_typeIfLj2EEiiiiS1_IjLj3EES5_S5_S5_.private_seg_size, 0
	.set _ZL33flash_attn_stream_k_fixup_generalILi112ELi2ELi8EEvPfPK15HIP_vector_typeIfLj2EEiiiiS1_IjLj3EES5_S5_S5_.uses_vcc, 1
	.set _ZL33flash_attn_stream_k_fixup_generalILi112ELi2ELi8EEvPfPK15HIP_vector_typeIfLj2EEiiiiS1_IjLj3EES5_S5_S5_.uses_flat_scratch, 0
	.set _ZL33flash_attn_stream_k_fixup_generalILi112ELi2ELi8EEvPfPK15HIP_vector_typeIfLj2EEiiiiS1_IjLj3EES5_S5_S5_.has_dyn_sized_stack, 0
	.set _ZL33flash_attn_stream_k_fixup_generalILi112ELi2ELi8EEvPfPK15HIP_vector_typeIfLj2EEiiiiS1_IjLj3EES5_S5_S5_.has_recursion, 0
	.set _ZL33flash_attn_stream_k_fixup_generalILi112ELi2ELi8EEvPfPK15HIP_vector_typeIfLj2EEiiiiS1_IjLj3EES5_S5_S5_.has_indirect_call, 0
	.section	.AMDGPU.csdata,"",@progbits
; Kernel info:
; codeLenInByte = 2948
; TotalNumSgprs: 33
; NumVgprs: 17
; ScratchSize: 0
; MemoryBound: 0
; FloatMode: 240
; IeeeMode: 1
; LDSByteSize: 0 bytes/workgroup (compile time only)
; SGPRBlocks: 0
; VGPRBlocks: 2
; NumSGPRsForWavesPerEU: 33
; NumVGPRsForWavesPerEU: 17
; Occupancy: 16
; WaveLimiterHint : 0
; COMPUTE_PGM_RSRC2:SCRATCH_EN: 0
; COMPUTE_PGM_RSRC2:USER_SGPR: 6
; COMPUTE_PGM_RSRC2:TRAP_HANDLER: 0
; COMPUTE_PGM_RSRC2:TGID_X_EN: 1
; COMPUTE_PGM_RSRC2:TGID_Y_EN: 1
; COMPUTE_PGM_RSRC2:TGID_Z_EN: 1
; COMPUTE_PGM_RSRC2:TIDIG_COMP_CNT: 0
	.section	.text._ZL15flash_attn_tileILi112ELi112ELi1ELi8ELb0EEvPKcS1_S1_S1_S1_PKiPfP15HIP_vector_typeIfLj2EEffffjfiS5_IjLj3EEiiiiiiiiiiiliiliiiiil,"axG",@progbits,_ZL15flash_attn_tileILi112ELi112ELi1ELi8ELb0EEvPKcS1_S1_S1_S1_PKiPfP15HIP_vector_typeIfLj2EEffffjfiS5_IjLj3EEiiiiiiiiiiiliiliiiiil,comdat
	.globl	_ZL15flash_attn_tileILi112ELi112ELi1ELi8ELb0EEvPKcS1_S1_S1_S1_PKiPfP15HIP_vector_typeIfLj2EEffffjfiS5_IjLj3EEiiiiiiiiiiiliiliiiiil ; -- Begin function _ZL15flash_attn_tileILi112ELi112ELi1ELi8ELb0EEvPKcS1_S1_S1_S1_PKiPfP15HIP_vector_typeIfLj2EEffffjfiS5_IjLj3EEiiiiiiiiiiiliiliiiiil
	.p2align	8
	.type	_ZL15flash_attn_tileILi112ELi112ELi1ELi8ELb0EEvPKcS1_S1_S1_S1_PKiPfP15HIP_vector_typeIfLj2EEffffjfiS5_IjLj3EEiiiiiiiiiiiliiliiiiil,@function
_ZL15flash_attn_tileILi112ELi112ELi1ELi8ELb0EEvPKcS1_S1_S1_S1_PKiPfP15HIP_vector_typeIfLj2EEffffjfiS5_IjLj3EEiiiiiiiiiiiliiliiiiil: ; @_ZL15flash_attn_tileILi112ELi112ELi1ELi8ELb0EEvPKcS1_S1_S1_S1_PKiPfP15HIP_vector_typeIfLj2EEffffjfiS5_IjLj3EEiiiiiiiiiiiliiliiiiil
; %bb.0:
	s_clause 0x1
	s_load_dwordx4 s[24:27], s[4:5], 0x5c
	s_load_dwordx2 s[36:37], s[4:5], 0x80
	s_mov_b32 s34, s7
	s_mov_b64 s[38:39], 0
	s_waitcnt lgkmcnt(0)
	s_ashr_i32 s0, s27, 31
	s_lshr_b32 s0, s0, 29
	s_add_i32 s0, s27, s0
	s_ashr_i32 s0, s0, 3
	v_cvt_f32_u32_e32 v2, s0
	s_sub_i32 s2, 0, s0
	v_rcp_iflag_f32_e32 v2, v2
	v_mul_f32_e32 v2, 0x4f7ffffe, v2
	v_cvt_u32_f32_e32 v2, v2
	v_readfirstlane_b32 s1, v2
	s_mul_i32 s2, s2, s1
	s_mul_hi_u32 s2, s1, s2
	s_add_i32 s1, s1, s2
	s_mul_hi_u32 s1, s8, s1
	s_mul_i32 s2, s1, s0
	s_add_i32 s3, s1, 1
	s_sub_i32 s2, s8, s2
	s_sub_i32 s7, s2, s0
	s_cmp_ge_u32 s2, s0
	s_cselect_b32 s1, s3, s1
	s_cselect_b32 s2, s7, s2
	s_add_i32 s3, s1, 1
	s_cmp_ge_u32 s2, s0
	s_cselect_b32 s33, s3, s1
	s_abs_i32 s0, s37
	s_abs_i32 s3, s27
	v_cvt_f32_u32_e32 v2, s0
	s_sub_i32 s2, 0, s0
	s_xor_b32 s7, s27, s37
	s_ashr_i32 s7, s7, 31
	v_rcp_iflag_f32_e32 v2, v2
	v_mul_f32_e32 v2, 0x4f7ffffe, v2
	v_cvt_u32_f32_e32 v2, v2
	v_readfirstlane_b32 s1, v2
	s_mul_i32 s2, s2, s1
	s_mul_hi_u32 s2, s1, s2
	s_add_i32 s1, s1, s2
	s_lshl_b32 s2, s8, 3
	s_mul_hi_u32 s1, s3, s1
	s_mul_i32 s8, s1, s0
	s_sub_i32 s3, s3, s8
	s_add_i32 s8, s1, 1
	s_sub_i32 s9, s3, s0
	s_cmp_ge_u32 s3, s0
	s_cselect_b32 s1, s8, s1
	s_cselect_b32 s3, s9, s3
	s_add_i32 s8, s1, 1
	s_cmp_ge_u32 s3, s0
	s_mul_i32 s3, s33, s27
	s_cselect_b32 s0, s8, s1
	s_xor_b32 s0, s0, s7
	s_sub_i32 s35, s0, s7
	s_clause 0x1
	s_load_dwordx16 s[8:23], s[4:5], 0x0
	s_load_dwordx2 s[0:1], s[4:5], 0xb8
	s_abs_i32 s7, s35
	v_cvt_f32_u32_e32 v2, s7
	v_rcp_iflag_f32_e32 v2, v2
	v_mul_f32_e32 v2, 0x4f7ffffe, v2
	s_waitcnt lgkmcnt(0)
	s_cmp_eq_u64 s[14:15], 0
	v_cvt_u32_f32_e32 v2, v2
	v_readfirstlane_b32 s37, v2
	s_cbranch_scc1 .LBB13_2
; %bb.1:
	s_abs_i32 s0, s0
	s_abs_i32 s30, s33
	v_cvt_f32_u32_e32 v2, s0
	s_sub_i32 s29, 0, s0
	v_rcp_iflag_f32_e32 v2, v2
	v_mul_f32_e32 v2, 0x4f7ffffe, v2
	v_cvt_u32_f32_e32 v2, v2
	v_readfirstlane_b32 s28, v2
	s_mul_i32 s29, s29, s28
	s_mul_hi_u32 s29, s28, s29
	s_add_i32 s28, s28, s29
	s_mul_hi_u32 s31, s30, s28
	s_load_dwordx2 s[28:29], s[4:5], 0xc8
	s_mul_i32 s31, s31, s0
	s_sub_i32 s30, s30, s31
	s_ashr_i32 s31, s33, 31
	s_sub_i32 s38, s30, s0
	s_cmp_ge_u32 s30, s0
	s_cselect_b32 s30, s38, s30
	s_sub_i32 s38, s30, s0
	s_cmp_ge_u32 s30, s0
	s_cselect_b32 s0, s38, s30
	s_xor_b32 s0, s0, s31
	s_sub_i32 s0, s0, s31
	s_ashr_i32 s30, s0, 31
	s_waitcnt lgkmcnt(0)
	s_mul_hi_u32 s31, s28, s0
	s_mul_i32 s30, s28, s30
	s_mul_i32 s29, s29, s0
	s_add_i32 s30, s31, s30
	s_mul_i32 s0, s28, s0
	s_add_i32 s30, s30, s29
	s_add_u32 s38, s14, s0
	s_addc_u32 s39, s15, s30
.LBB13_2:
	s_movk_i32 s14, 0xe0
	v_cmp_gt_u32_e64 s0, 28, v0
	v_mad_u32_u24 v57, v1, s14, 0x1040
	v_lshlrev_b32_e32 v58, 3, v0
	v_and_b32_e32 v55, 7, v1
	v_lshrrev_b32_e32 v56, 3, v1
	s_sub_i32 s14, s2, s3
	s_and_saveexec_b32 s2, s0
	s_cbranch_execz .LBB13_4
; %bb.3:
	v_add_nc_u32_e32 v2, s6, v56
	s_load_dwordx4 s[28:31], s[4:5], 0x70
	v_mul_hi_u32 v3, s24, v2
	v_add_nc_u32_e32 v3, v2, v3
	v_lshrrev_b32_e32 v3, s25, v3
	s_waitcnt lgkmcnt(0)
	s_mul_i32 s3, s33, s30
	s_mul_i32 s15, s14, s29
	v_mul_lo_u32 v3, v3, s26
	s_ashr_i32 s31, s3, 31
	s_add_u32 s3, s8, s3
	s_addc_u32 s8, s9, s31
	s_ashr_i32 s9, s15, 31
	s_add_u32 s3, s3, s15
	s_mov_b32 s30, s29
	s_addc_u32 s15, s8, s9
	s_ashr_i32 s31, s29, 31
	v_sub_nc_u32_e32 v8, v2, v3
	s_ashr_i32 s29, s28, 31
	s_lshr_b64 s[8:9], s[30:31], 2
	v_mad_u64_u32 v[2:3], null, s8, v55, 0
	s_lshr_b64 s[8:9], s[28:29], 2
	v_mad_u64_u32 v[4:5], null, s8, v8, 0
	s_lshr_b32 s8, s31, 2
	v_mad_u64_u32 v[6:7], null, s8, v55, v[3:4]
	s_lshr_b32 s8, s29, 2
	v_mad_u64_u32 v[7:8], null, s8, v8, v[5:6]
	v_mov_b32_e32 v3, v6
	v_lshlrev_b32_e32 v6, 4, v0
	v_lshlrev_b64 v[2:3], 2, v[2:3]
	v_mov_b32_e32 v5, v7
	v_lshlrev_b64 v[4:5], 2, v[4:5]
	v_add_co_u32 v2, vcc_lo, s3, v2
	v_add_co_ci_u32_e64 v3, null, s15, v3, vcc_lo
	s_load_dword s3, s[4:5], 0x40
	v_add_co_u32 v2, vcc_lo, v2, v4
	v_add_co_ci_u32_e64 v3, null, v3, v5, vcc_lo
	v_add_co_u32 v2, vcc_lo, v2, v6
	v_add_co_ci_u32_e64 v3, null, 0, v3, vcc_lo
	v_add_nc_u32_e32 v6, v57, v58
	global_load_dwordx4 v[2:5], v[2:3], off
	s_waitcnt vmcnt(0) lgkmcnt(0)
	v_fma_mixlo_f16 v3, s3, v3, 0
	v_fma_mixlo_f16 v2, s3, v2, 0
	;; [unrolled: 1-line block ×4, first 2 shown]
	v_lshlrev_b32_e32 v3, 16, v3
	v_and_b32_e32 v2, 0xffff, v2
	v_and_b32_e32 v4, 0xffff, v4
	v_lshlrev_b32_e32 v5, 16, v5
	v_or_b32_e32 v2, v3, v2
	v_or3_b32 v3, v5, v4, 0
	v_or3_b32 v2, 0, 0, v2
	ds_write_b64 v6, v[2:3]
.LBB13_4:
	s_or_b32 exec_lo, exec_lo, s2
	s_cmp_eq_u64 s[18:19], 0
	s_waitcnt lgkmcnt(0)
	s_barrier
	buffer_gl0_inv
	s_cbranch_scc1 .LBB13_6
; %bb.5:
	s_load_dword s2, s[4:5], 0xd0
	s_mov_b32 s3, 0
	s_waitcnt lgkmcnt(0)
	s_mul_i32 s2, s2, s33
	s_add_i32 s2, s2, s6
	s_lshl_b64 s[2:3], s[2:3], 2
	s_add_u32 s2, s18, s2
	s_addc_u32 s3, s19, s3
	s_load_dword s36, s[2:3], 0x0
.LBB13_6:
	v_mbcnt_lo_u32_b32 v59, -1, 0
	s_lshl_b32 s15, s34, 5
	s_waitcnt lgkmcnt(0)
	s_cmp_lt_i32 s15, s36
	s_cbranch_scc1 .LBB13_9
; %bb.7:
	v_mbcnt_lo_u32_b32 v2, -1, 0
	v_mov_b32_e32 v60, 32
	v_xor_b32_e32 v63, 16, v2
	v_xor_b32_e32 v62, 8, v2
	;; [unrolled: 1-line block ×5, first 2 shown]
	s_cbranch_execz .LBB13_10
; %bb.8:
	v_mov_b32_e32 v70, 0
	v_mov_b32_e32 v83, 0
	;; [unrolled: 1-line block ×4, first 2 shown]
	s_branch .LBB13_38
.LBB13_9:
                                        ; implicit-def: $vgpr2
                                        ; implicit-def: $vgpr60
                                        ; implicit-def: $vgpr63
                                        ; implicit-def: $vgpr62
                                        ; implicit-def: $vgpr80
                                        ; implicit-def: $vgpr81
                                        ; implicit-def: $vgpr82
.LBB13_10:
	s_clause 0x1
	s_load_dwordx4 s[28:31], s[4:5], 0x98
	s_load_dwordx2 s[2:3], s[4:5], 0x8c
	v_add_nc_u32_e32 v7, s6, v56
	s_sub_i32 s8, 0, s7
	v_lshrrev_b32_e32 v3, 2, v0
	s_mul_i32 s8, s8, s37
	s_abs_i32 s40, s14
	v_mul_hi_u32 v4, s24, v7
	s_mul_hi_u32 s18, s37, s8
	s_ashr_i32 s42, s1, 1
	s_add_i32 s37, s37, s18
	v_lshl_add_u32 v9, v1, 3, v3
	s_mul_hi_u32 s1, s40, s37
	s_ashr_i32 s37, s33, 31
	s_ashr_i32 s41, s14, 31
	v_add_nc_u32_e32 v3, v7, v4
	s_ashr_i32 s35, s35, 31
	s_load_dwordx2 s[8:9], s[4:5], 0xa8
	s_mul_i32 s43, s1, s7
	v_lshrrev_b32_e32 v2, 1, v0
	s_waitcnt lgkmcnt(0)
	s_ashr_i32 s18, s30, 2
	s_ashr_i32 s19, s2, 2
	s_mul_hi_u32 s2, s28, s33
	s_mul_i32 s30, s28, s37
	s_mul_i32 s29, s29, s33
	s_add_i32 s2, s2, s30
	s_mul_i32 s28, s28, s33
	v_lshrrev_b32_e32 v3, s25, v3
	s_add_i32 s2, s2, s29
	s_add_u32 s10, s10, s28
	s_addc_u32 s2, s11, s2
	s_sub_i32 s28, s40, s43
	s_xor_b32 s11, s41, s35
	s_add_i32 s29, s1, 1
	s_sub_i32 s30, s28, s7
	v_mul_lo_u32 v12, v3, s26
	s_cmp_ge_u32 s28, s7
	v_lshlrev_b32_e32 v10, 2, v0
	s_cselect_b32 s1, s29, s1
	s_cselect_b32 s28, s30, s28
	s_add_i32 s29, s1, 1
	s_cmp_ge_u32 s28, s7
	s_mul_hi_u32 s7, s8, s33
	s_cselect_b32 s1, s29, s1
	v_sub_nc_u32_e32 v12, v7, v12
	s_xor_b32 s1, s1, s11
	s_mul_i32 s30, s8, s37
	s_sub_i32 s1, s1, s11
	v_lshl_add_u32 v5, v1, 5, v0
	v_mad_u64_u32 v[41:42], null, v12, s42, v[0:1]
	v_lshrrev_b32_e32 v12, 3, v0
	s_mul_i32 s3, s1, s3
	v_lshl_add_u32 v8, v1, 4, v2
	s_ashr_i32 s11, s3, 31
	v_and_b32_e32 v14, 4, v10
	s_add_u32 s28, s10, s3
	s_mul_i32 s9, s9, s33
	s_addc_u32 s29, s2, s11
	s_add_i32 s2, s7, s30
	v_lshl_add_u32 v68, v1, 6, 0x1740
	v_lshl_add_u32 v1, v1, 2, v12
	s_mul_i32 s8, s8, s33
	s_mul_i32 s1, s1, s31
	s_add_i32 s2, s2, s9
	s_add_u32 s3, s12, s8
	v_cmp_gt_u32_e32 vcc_lo, 32, v5
	v_mul_lo_u32 v2, s19, v5
	v_lshlrev_b32_e32 v5, 7, v8
	v_lshlrev_b32_e32 v11, 2, v14
	v_and_b32_e32 v15, 12, v10
	v_mul_u32_u24_e32 v16, 0xe0, v8
	s_addc_u32 s9, s13, s2
	s_ashr_i32 s10, s1, 31
	s_add_u32 s24, s3, s1
	v_cmp_gt_u32_e64 s1, 32, v8
	v_mul_lo_u32 v4, s19, v8
	v_mul_lo_u32 v6, s19, v9
	v_cmp_gt_u32_e64 s3, 16, v8
	v_mul_lo_u32 v8, s18, v8
	v_and_b32_e32 v71, 28, v10
	v_mul_lo_u32 v10, s18, v9
	v_mul_lo_u32 v12, s18, v1
	v_lshlrev_b32_e32 v13, 2, v15
	v_or3_b32 v66, v5, v11, 64
	v_or_b32_e32 v11, v16, v11
	v_mul_u32_u24_e32 v16, 0xe0, v9
	v_cmp_gt_u32_e64 s2, 32, v9
	v_ashrrev_i32_e32 v3, 31, v2
	v_ashrrev_i32_e32 v5, 31, v4
	v_lshl_or_b32 v67, v9, 7, v13
	v_ashrrev_i32_e32 v7, 31, v6
	v_cmp_gt_u32_e64 s7, 16, v9
	v_add_nc_u32_e32 v72, 0xc0, v11
	v_ashrrev_i32_e32 v9, 31, v8
	v_add3_u32 v73, v16, v13, 0x80
	v_ashrrev_i32_e32 v11, 31, v10
	v_ashrrev_i32_e32 v13, 31, v12
	v_lshlrev_b32_e32 v64, 7, v0
	v_lshlrev_b32_e32 v17, 2, v71
	v_lshlrev_b64 v[42:43], 2, v[2:3]
	v_lshlrev_b64 v[44:45], 2, v[4:5]
	;; [unrolled: 1-line block ×6, first 2 shown]
	v_or_b32_e32 v65, 0x60, v64
	v_mov_b32_e32 v61, 0
	v_lshl_add_u32 v69, v0, 1, v68
	v_cmp_gt_u32_e64 s8, 16, v1
	v_mad_u32_u24 v74, 0xe0, v1, v17
	v_mov_b32_e32 v79, 0xfeffffff
	v_mov_b32_e32 v60, 32
	v_lshlrev_b32_e32 v75, 2, v14
	v_lshlrev_b32_e32 v76, 2, v15
	v_xor_b32_e32 v63, 16, v59
	v_xor_b32_e32 v62, 8, v59
	v_mov_b32_e32 v77, 0x10001
	v_mov_b32_e32 v70, 0
	v_mov_b32_e32 v78, 0
	s_addc_u32 s25, s9, s10
	s_add_u32 s12, s4, 0xd0
	s_addc_u32 s13, s5, 0
.LBB13_11:                              ; =>This Inner Loop Header: Depth=1
	s_mul_hi_i32 s11, s15, s19
	s_mul_i32 s10, s15, s19
	s_lshl_b64 s[10:11], s[10:11], 2
	s_add_u32 s10, s28, s10
	s_addc_u32 s11, s29, s11
	s_and_saveexec_b32 s30, vcc_lo
	s_cbranch_execnz .LBB13_29
; %bb.12:                               ;   in Loop: Header=BB13_11 Depth=1
	s_or_b32 exec_lo, exec_lo, s30
	s_and_saveexec_b32 s30, s1
	s_cbranch_execnz .LBB13_30
.LBB13_13:                              ;   in Loop: Header=BB13_11 Depth=1
	s_or_b32 exec_lo, exec_lo, s30
	s_and_saveexec_b32 s30, s2
	s_cbranch_execz .LBB13_15
.LBB13_14:                              ;   in Loop: Header=BB13_11 Depth=1
	v_add_co_u32 v1, s9, s10, v46
	v_add_co_ci_u32_e64 v2, null, s11, v47, s9
	v_add_co_u32 v1, s9, v1, v76
	v_add_co_ci_u32_e64 v2, null, 0, v2, s9
	global_load_dwordx4 v[1:4], v[1:2], off
	s_waitcnt vmcnt(0)
	ds_write_b128 v67, v[1:4]
.LBB13_15:                              ;   in Loop: Header=BB13_11 Depth=1
	s_or_b32 exec_lo, exec_lo, s30
	s_waitcnt lgkmcnt(0)
	s_barrier
	buffer_gl0_inv
	ds_read_b128 v[2:5], v64
	ds_read_b128 v[6:9], v57
	v_mov_b32_e32 v1, 0
	s_waitcnt lgkmcnt(0)
	;;#ASMSTART
	v_dot2_f32_f16 v1, v2, v6, v1
	;;#ASMEND
	;;#ASMSTART
	v_dot2_f32_f16 v1, v3, v7, v1
	;;#ASMEND
	;;#ASMSTART
	v_dot2_f32_f16 v1, v4, v8, v1
	;;#ASMEND
	;;#ASMSTART
	v_dot2_f32_f16 v1, v5, v9, v1
	;;#ASMEND
	ds_read_b128 v[2:5], v64 offset:16
	ds_read_b128 v[6:9], v57 offset:16
	s_waitcnt lgkmcnt(0)
	;;#ASMSTART
	v_dot2_f32_f16 v1, v2, v6, v1
	;;#ASMEND
	;;#ASMSTART
	v_dot2_f32_f16 v1, v3, v7, v1
	;;#ASMEND
	;;#ASMSTART
	v_dot2_f32_f16 v1, v4, v8, v1
	;;#ASMEND
	;;#ASMSTART
	v_dot2_f32_f16 v1, v5, v9, v1
	;;#ASMEND
	ds_read_b128 v[2:5], v64 offset:32
	ds_read_b128 v[6:9], v57 offset:32
	s_waitcnt lgkmcnt(0)
	;;#ASMSTART
	v_dot2_f32_f16 v1, v2, v6, v1
	;;#ASMEND
	;;#ASMSTART
	v_dot2_f32_f16 v1, v3, v7, v1
	;;#ASMEND
	;;#ASMSTART
	v_dot2_f32_f16 v1, v4, v8, v1
	;;#ASMEND
	;;#ASMSTART
	v_dot2_f32_f16 v1, v5, v9, v1
	;;#ASMEND
	ds_read_b128 v[2:5], v64 offset:48
	ds_read_b128 v[6:9], v57 offset:48
	s_waitcnt lgkmcnt(0)
	;;#ASMSTART
	v_dot2_f32_f16 v1, v2, v6, v1
	;;#ASMEND
	;;#ASMSTART
	v_dot2_f32_f16 v1, v3, v7, v1
	;;#ASMEND
	;;#ASMSTART
	v_dot2_f32_f16 v1, v4, v8, v1
	;;#ASMEND
	;;#ASMSTART
	v_dot2_f32_f16 v1, v5, v9, v1
	;;#ASMEND
	ds_read_b128 v[2:5], v64 offset:64
	ds_read_b128 v[6:9], v57 offset:64
	s_waitcnt lgkmcnt(0)
	;;#ASMSTART
	v_dot2_f32_f16 v1, v2, v6, v1
	;;#ASMEND
	;;#ASMSTART
	v_dot2_f32_f16 v1, v3, v7, v1
	;;#ASMEND
	;;#ASMSTART
	v_dot2_f32_f16 v1, v4, v8, v1
	;;#ASMEND
	;;#ASMSTART
	v_dot2_f32_f16 v1, v5, v9, v1
	;;#ASMEND
	ds_read_b128 v[2:5], v64 offset:80
	ds_read_b128 v[6:9], v57 offset:80
	s_waitcnt lgkmcnt(0)
	;;#ASMSTART
	v_dot2_f32_f16 v1, v2, v6, v1
	;;#ASMEND
	;;#ASMSTART
	v_dot2_f32_f16 v1, v3, v7, v1
	;;#ASMEND
	;;#ASMSTART
	v_dot2_f32_f16 v1, v4, v8, v1
	;;#ASMEND
	;;#ASMSTART
	v_dot2_f32_f16 v1, v5, v9, v1
	;;#ASMEND
	ds_read_b128 v[2:5], v64 offset:96
	ds_read_b128 v[6:9], v57 offset:96
	s_waitcnt lgkmcnt(0)
	;;#ASMSTART
	v_dot2_f32_f16 v1, v2, v6, v1
	;;#ASMEND
	;;#ASMSTART
	v_dot2_f32_f16 v1, v3, v7, v1
	;;#ASMEND
	;;#ASMSTART
	v_dot2_f32_f16 v1, v4, v8, v1
	;;#ASMEND
	;;#ASMSTART
	v_dot2_f32_f16 v1, v5, v9, v1
	;;#ASMEND
	s_barrier
	buffer_gl0_inv
	s_and_saveexec_b32 s30, vcc_lo
	s_cbranch_execnz .LBB13_31
; %bb.16:                               ;   in Loop: Header=BB13_11 Depth=1
	s_or_b32 exec_lo, exec_lo, s30
	s_and_saveexec_b32 s30, s1
	s_cbranch_execnz .LBB13_32
.LBB13_17:                              ;   in Loop: Header=BB13_11 Depth=1
	s_or_b32 exec_lo, exec_lo, s30
	s_and_saveexec_b32 s30, s2
	s_cbranch_execz .LBB13_19
.LBB13_18:                              ;   in Loop: Header=BB13_11 Depth=1
	v_add_co_u32 v2, s9, s10, v46
	v_add_co_ci_u32_e64 v3, null, s11, v47, s9
	v_add_co_u32 v2, s9, v2, v76
	v_add_co_ci_u32_e64 v3, null, 0, v3, s9
	global_load_dwordx4 v[2:5], v[2:3], off offset:112
	s_waitcnt vmcnt(0)
	ds_write_b128 v67, v[2:5]
.LBB13_19:                              ;   in Loop: Header=BB13_11 Depth=1
	s_or_b32 exec_lo, exec_lo, s30
	s_waitcnt lgkmcnt(0)
	s_barrier
	buffer_gl0_inv
	ds_read_b128 v[2:5], v64
	ds_read_b128 v[6:9], v57 offset:112
	v_add_nc_u32_e32 v10, s15, v41
	v_xor_b32_e32 v80, 4, v59
	v_xor_b32_e32 v81, 2, v59
	;; [unrolled: 1-line block ×3, first 2 shown]
	s_mul_hi_i32 s11, s15, s18
	v_ashrrev_i32_e32 v11, 31, v10
	s_mul_i32 s10, s15, s18
	s_waitcnt lgkmcnt(0)
	;;#ASMSTART
	v_dot2_f32_f16 v1, v2, v6, v1
	;;#ASMEND
	;;#ASMSTART
	v_dot2_f32_f16 v1, v3, v7, v1
	;;#ASMEND
	;;#ASMSTART
	v_dot2_f32_f16 v1, v4, v8, v1
	;;#ASMEND
	;;#ASMSTART
	v_dot2_f32_f16 v1, v5, v9, v1
	;;#ASMEND
	ds_read_b128 v[2:5], v64 offset:16
	ds_read_b128 v[6:9], v57 offset:128
	v_lshlrev_b64 v[10:11], 1, v[10:11]
	s_lshl_b64 s[10:11], s[10:11], 2
	s_waitcnt lgkmcnt(0)
	;;#ASMSTART
	v_dot2_f32_f16 v1, v2, v6, v1
	;;#ASMEND
	;;#ASMSTART
	v_dot2_f32_f16 v1, v3, v7, v1
	;;#ASMEND
	;; [unrolled: 3-line block ×4, first 2 shown]
	ds_read_b128 v[2:5], v64 offset:32
	ds_read_b128 v[6:9], v57 offset:144
	v_add_co_u32 v10, s9, s38, v10
	v_add_co_ci_u32_e64 v11, null, s39, v11, s9
	v_cmp_gt_i32_e64 s9, 32, v63
	s_add_u32 s10, s24, s10
	s_addc_u32 s11, s25, s11
	s_waitcnt lgkmcnt(0)
	;;#ASMSTART
	v_dot2_f32_f16 v1, v2, v6, v1
	;;#ASMEND
	;;#ASMSTART
	v_dot2_f32_f16 v1, v3, v7, v1
	;;#ASMEND
	;;#ASMSTART
	v_dot2_f32_f16 v1, v4, v8, v1
	;;#ASMEND
	;;#ASMSTART
	v_dot2_f32_f16 v1, v5, v9, v1
	;;#ASMEND
	ds_read_b128 v[2:5], v64 offset:48
	ds_read_b128 v[6:9], v57 offset:160
	s_waitcnt lgkmcnt(0)
	;;#ASMSTART
	v_dot2_f32_f16 v1, v2, v6, v1
	;;#ASMEND
	;;#ASMSTART
	v_dot2_f32_f16 v1, v3, v7, v1
	;;#ASMEND
	;;#ASMSTART
	v_dot2_f32_f16 v1, v4, v8, v1
	;;#ASMEND
	;;#ASMSTART
	v_dot2_f32_f16 v1, v5, v9, v1
	;;#ASMEND
	ds_read_b128 v[2:5], v64 offset:64
	ds_read_b128 v[6:9], v57 offset:176
	;; [unrolled: 15-line block ×4, first 2 shown]
	s_waitcnt lgkmcnt(0)
	;;#ASMSTART
	v_dot2_f32_f16 v1, v2, v6, v1
	;;#ASMEND
	;;#ASMSTART
	v_dot2_f32_f16 v1, v3, v7, v1
	;;#ASMEND
	;; [unrolled: 3-line block ×4, first 2 shown]
	global_load_ushort v2, v[10:11], off
	v_max_f32_e32 v3, v79, v79
	s_waitcnt vmcnt(0)
	s_barrier
	buffer_gl0_inv
	v_cvt_f32_f16_e32 v2, v2
	v_add_f32_e32 v1, v1, v2
	v_cndmask_b32_e64 v2, v59, v63, s9
	v_cmp_gt_i32_e64 s9, 32, v62
	v_add_f32_e32 v4, 0x40051340, v1
	v_lshlrev_b32_e32 v2, 2, v2
	v_max_f32_e32 v3, v3, v4
	v_cndmask_b32_e64 v4, v59, v62, s9
	v_cmp_gt_i32_e64 s9, 32, v80
	ds_bpermute_b32 v2, v2, v3
	v_lshlrev_b32_e32 v4, 2, v4
	s_waitcnt lgkmcnt(0)
	v_max_f32_e32 v2, v2, v2
	v_max_f32_e32 v2, v3, v2
	ds_bpermute_b32 v3, v4, v2
	v_cndmask_b32_e64 v4, v59, v80, s9
	v_cmp_gt_i32_e64 s9, 32, v81
	v_lshlrev_b32_e32 v4, 2, v4
	s_waitcnt lgkmcnt(0)
	v_max_f32_e32 v3, v3, v3
	v_max_f32_e32 v2, v2, v3
	ds_bpermute_b32 v3, v4, v2
	v_cndmask_b32_e64 v4, v59, v81, s9
	v_cmp_gt_i32_e64 s9, 32, v82
	v_lshlrev_b32_e32 v4, 2, v4
	s_waitcnt lgkmcnt(0)
	v_max_f32_e32 v3, v3, v3
	v_max_f32_e32 v2, v2, v3
	ds_bpermute_b32 v3, v4, v2
	v_cndmask_b32_e64 v4, v59, v82, s9
	v_lshlrev_b32_e32 v4, 2, v4
	s_waitcnt lgkmcnt(0)
	v_max_f32_e32 v3, v3, v3
	v_max_f32_e32 v2, v2, v3
	ds_bpermute_b32 v3, v4, v2
	s_waitcnt lgkmcnt(0)
	v_max_f32_e32 v3, v3, v3
	v_max_f32_e32 v54, v2, v3
	v_sub_f32_e32 v1, v1, v54
	v_mul_f32_e32 v2, 0x3fb8aa3b, v1
	v_cmp_ngt_f32_e64 s9, 0xc2ce8ed0, v1
	v_fma_f32 v3, 0x3fb8aa3b, v1, -v2
	v_rndne_f32_e32 v4, v2
	v_fmac_f32_e32 v3, 0x32a5705f, v1
	v_sub_f32_e32 v2, v2, v4
	v_add_f32_e32 v2, v2, v3
	v_cvt_i32_f32_e32 v3, v4
	v_exp_f32_e32 v2, v2
	v_ldexp_f32 v2, v2, v3
	v_cndmask_b32_e64 v2, 0, v2, s9
	v_cmp_nlt_f32_e64 s9, 0x42b17218, v1
	v_cndmask_b32_e64 v83, 0x7f800000, v2, s9
	v_cvt_f16_f32_e32 v1, v83
	ds_write_b16 v69, v1
	s_and_saveexec_b32 s30, s3
	s_cbranch_execnz .LBB13_33
; %bb.20:                               ;   in Loop: Header=BB13_11 Depth=1
	s_or_b32 exec_lo, exec_lo, s30
	s_and_saveexec_b32 s30, s7
	s_cbranch_execnz .LBB13_34
.LBB13_21:                              ;   in Loop: Header=BB13_11 Depth=1
	s_or_b32 exec_lo, exec_lo, s30
	v_lshlrev_b32_e32 v85, 2, v71
	s_and_saveexec_b32 s30, s8
	s_cbranch_execz .LBB13_23
.LBB13_22:                              ;   in Loop: Header=BB13_11 Depth=1
	v_add_co_u32 v1, s9, s10, v52
	v_add_co_ci_u32_e64 v2, null, s11, v53, s9
	v_add_co_u32 v1, s9, v1, v85
	v_add_co_ci_u32_e64 v2, null, 0, v2, s9
	global_load_dwordx4 v[1:4], v[1:2], off
	s_waitcnt vmcnt(0)
	ds_write_b128 v74, v[1:4]
.LBB13_23:                              ;   in Loop: Header=BB13_11 Depth=1
	s_or_b32 exec_lo, exec_lo, s30
	v_add_nc_u32_e32 v84, 0x800, v58
	s_waitcnt lgkmcnt(0)
	s_barrier
	buffer_gl0_inv
	ds_read2_b64 v[25:28], v58 offset1:28
	ds_read_b128 v[17:20], v68
	ds_read_b128 v[1:4], v68 offset:16
	ds_read2_b64 v[37:40], v58 offset0:56 offset1:84
	ds_read2_b64 v[33:36], v58 offset0:112 offset1:140
	;; [unrolled: 1-line block ×7, first 2 shown]
	v_sub_f32_e32 v79, v79, v54
	s_or_b32 s11, s15, 16
	s_waitcnt lgkmcnt(0)
	s_mul_hi_i32 s31, s11, s18
	s_mul_i32 s30, s11, s18
	v_cmp_ngt_f32_e64 s9, 0xc2ce8ed0, v79
	v_cmp_nlt_f32_e64 s10, 0x42b17218, v79
	s_lshl_b64 s[30:31], s[30:31], 2
	s_barrier
	s_add_u32 s30, s24, s30
	s_addc_u32 s31, s25, s31
	buffer_gl0_inv
	s_and_saveexec_b32 s35, s3
	s_cbranch_execnz .LBB13_35
; %bb.24:                               ;   in Loop: Header=BB13_11 Depth=1
	s_or_b32 exec_lo, exec_lo, s35
	s_and_saveexec_b32 s35, s7
	s_cbranch_execnz .LBB13_36
.LBB13_25:                              ;   in Loop: Header=BB13_11 Depth=1
	s_or_b32 exec_lo, exec_lo, s35
	s_and_saveexec_b32 s35, s8
	s_cbranch_execz .LBB13_27
.LBB13_26:                              ;   in Loop: Header=BB13_11 Depth=1
	v_add_co_u32 v86, s11, s30, v52
	v_add_co_ci_u32_e64 v87, null, s31, v53, s11
	v_add_co_u32 v85, s11, v86, v85
	v_add_co_ci_u32_e64 v86, null, 0, v87, s11
	global_load_dwordx4 v[85:88], v[85:86], off
	s_waitcnt vmcnt(0)
	ds_write_b128 v74, v[85:88]
.LBB13_27:                              ;   in Loop: Header=BB13_11 Depth=1
	s_or_b32 exec_lo, exec_lo, s35
	v_mul_f32_e32 v85, 0x3fb8aa3b, v79
	s_waitcnt lgkmcnt(0)
	s_barrier
	buffer_gl0_inv
	v_fma_f32 v86, 0x3fb8aa3b, v79, -v85
	v_rndne_f32_e32 v87, v85
	v_fmac_f32_e32 v86, 0x32a5705f, v79
	v_sub_f32_e32 v79, v85, v87
	v_cvt_i32_f32_e32 v85, v87
	v_add_f32_e32 v79, v79, v86
	v_exp_f32_e32 v79, v79
	v_ldexp_f32 v79, v79, v85
	v_mul_u32_u24_sdwa v85, v17, v77 dst_sel:DWORD dst_unused:UNUSED_PAD src0_sel:WORD_0 src1_sel:DWORD
	v_mul_u32_u24_sdwa v17, v17, v77 dst_sel:DWORD dst_unused:UNUSED_PAD src0_sel:WORD_1 src1_sel:DWORD
	v_cndmask_b32_e64 v79, 0, v79, s9
	v_pk_mul_f16 v25, v25, v85
	v_pk_mul_f16 v26, v26, v85
	v_cndmask_b32_e64 v79, 0x7f800000, v79, s10
	v_cvt_f16_f32_e32 v86, v79
	v_fmac_f32_e32 v83, v78, v79
	v_mul_u32_u24_sdwa v86, v86, v77 dst_sel:DWORD dst_unused:UNUSED_PAD src0_sel:WORD_0 src1_sel:DWORD
	v_pk_fma_f16 v25, v61, v86, v25
	v_pk_fma_f16 v26, v70, v86, v26
	v_mul_u32_u24_sdwa v61, v18, v77 dst_sel:DWORD dst_unused:UNUSED_PAD src0_sel:WORD_0 src1_sel:DWORD
	v_mul_u32_u24_sdwa v18, v18, v77 dst_sel:DWORD dst_unused:UNUSED_PAD src0_sel:WORD_1 src1_sel:DWORD
	v_pk_fma_f16 v25, v27, v17, v25
	v_pk_fma_f16 v17, v28, v17, v26
	v_mul_u32_u24_sdwa v26, v19, v77 dst_sel:DWORD dst_unused:UNUSED_PAD src0_sel:WORD_0 src1_sel:DWORD
	v_pk_fma_f16 v25, v37, v61, v25
	v_pk_fma_f16 v17, v38, v61, v17
	;; [unrolled: 1-line block ×4, first 2 shown]
	v_mul_u32_u24_sdwa v18, v19, v77 dst_sel:DWORD dst_unused:UNUSED_PAD src0_sel:WORD_1 src1_sel:DWORD
	v_pk_fma_f16 v19, v33, v26, v25
	v_pk_fma_f16 v17, v34, v26, v17
	v_mul_u32_u24_sdwa v25, v20, v77 dst_sel:DWORD dst_unused:UNUSED_PAD src0_sel:WORD_0 src1_sel:DWORD
	v_pk_fma_f16 v19, v35, v18, v19
	v_pk_fma_f16 v17, v36, v18, v17
	v_mul_u32_u24_sdwa v18, v20, v77 dst_sel:DWORD dst_unused:UNUSED_PAD src0_sel:WORD_1 src1_sel:DWORD
	v_mul_u32_u24_sdwa v20, v1, v77 dst_sel:DWORD dst_unused:UNUSED_PAD src0_sel:WORD_0 src1_sel:DWORD
	v_mul_u32_u24_sdwa v1, v1, v77 dst_sel:DWORD dst_unused:UNUSED_PAD src0_sel:WORD_1 src1_sel:DWORD
	v_pk_fma_f16 v19, v29, v25, v19
	v_pk_fma_f16 v17, v30, v25, v17
	;; [unrolled: 1-line block ×6, first 2 shown]
	v_mul_u32_u24_sdwa v19, v2, v77 dst_sel:DWORD dst_unused:UNUSED_PAD src0_sel:WORD_0 src1_sel:DWORD
	v_mul_u32_u24_sdwa v2, v2, v77 dst_sel:DWORD dst_unused:UNUSED_PAD src0_sel:WORD_1 src1_sel:DWORD
	v_mul_u32_u24_sdwa v21, v3, v77 dst_sel:DWORD dst_unused:UNUSED_PAD src0_sel:WORD_0 src1_sel:DWORD
	v_pk_fma_f16 v18, v23, v1, v18
	v_pk_fma_f16 v1, v24, v1, v17
	;; [unrolled: 1-line block ×4, first 2 shown]
	ds_read_b128 v[17:20], v68 offset:32
	v_pk_fma_f16 v22, v15, v2, v13
	v_pk_fma_f16 v1, v16, v2, v1
	v_mul_u32_u24_sdwa v2, v3, v77 dst_sel:DWORD dst_unused:UNUSED_PAD src0_sel:WORD_1 src1_sel:DWORD
	ds_read2_b64 v[13:16], v58 offset1:28
	v_pk_fma_f16 v3, v9, v21, v22
	v_pk_fma_f16 v1, v10, v21, v1
	v_mul_u32_u24_sdwa v9, v4, v77 dst_sel:DWORD dst_unused:UNUSED_PAD src0_sel:WORD_0 src1_sel:DWORD
	v_mul_u32_u24_sdwa v21, v4, v77 dst_sel:DWORD dst_unused:UNUSED_PAD src0_sel:WORD_1 src1_sel:DWORD
	v_pk_fma_f16 v10, v11, v2, v3
	v_pk_fma_f16 v11, v12, v2, v1
	ds_read2_b64 v[1:4], v58 offset0:56 offset1:84
	v_pk_fma_f16 v5, v5, v9, v10
	v_pk_fma_f16 v6, v6, v9, v11
	ds_read_b128 v[9:12], v68 offset:48
	s_waitcnt lgkmcnt(3)
	v_mul_u32_u24_sdwa v22, v17, v77 dst_sel:DWORD dst_unused:UNUSED_PAD src0_sel:WORD_0 src1_sel:DWORD
	v_mul_u32_u24_sdwa v17, v17, v77 dst_sel:DWORD dst_unused:UNUSED_PAD src0_sel:WORD_1 src1_sel:DWORD
	v_pk_fma_f16 v23, v7, v21, v5
	v_pk_fma_f16 v21, v8, v21, v6
	ds_read2_b64 v[5:8], v58 offset0:112 offset1:140
	s_waitcnt lgkmcnt(3)
	v_pk_fma_f16 v13, v13, v22, v23
	v_pk_fma_f16 v14, v14, v22, v21
	v_mul_u32_u24_sdwa v21, v18, v77 dst_sel:DWORD dst_unused:UNUSED_PAD src0_sel:WORD_0 src1_sel:DWORD
	v_mul_u32_u24_sdwa v18, v18, v77 dst_sel:DWORD dst_unused:UNUSED_PAD src0_sel:WORD_1 src1_sel:DWORD
	v_pk_fma_f16 v22, v15, v17, v13
	v_pk_fma_f16 v17, v16, v17, v14
	ds_read2_b64 v[13:16], v58 offset0:168 offset1:196
	s_waitcnt lgkmcnt(3)
	v_pk_fma_f16 v1, v1, v21, v22
	v_pk_fma_f16 v2, v2, v21, v17
	;; [unrolled: 8-line block ×3, first 2 shown]
	v_mul_u32_u24_sdwa v17, v20, v77 dst_sel:DWORD dst_unused:UNUSED_PAD src0_sel:WORD_0 src1_sel:DWORD
	v_mul_u32_u24_sdwa v20, v20, v77 dst_sel:DWORD dst_unused:UNUSED_PAD src0_sel:WORD_1 src1_sel:DWORD
	v_mul_u32_u24_sdwa v21, v10, v77 dst_sel:DWORD dst_unused:UNUSED_PAD src0_sel:WORD_0 src1_sel:DWORD
	v_pk_fma_f16 v18, v7, v19, v5
	v_pk_fma_f16 v19, v8, v19, v6
	ds_read2_b64 v[5:8], v84 offset0:24 offset1:52
	s_waitcnt lgkmcnt(2)
	v_pk_fma_f16 v13, v13, v17, v18
	v_pk_fma_f16 v14, v14, v17, v19
	v_mul_u32_u24_sdwa v17, v9, v77 dst_sel:DWORD dst_unused:UNUSED_PAD src0_sel:WORD_0 src1_sel:DWORD
	v_mul_u32_u24_sdwa v9, v9, v77 dst_sel:DWORD dst_unused:UNUSED_PAD src0_sel:WORD_1 src1_sel:DWORD
	v_pk_fma_f16 v18, v15, v20, v13
	v_pk_fma_f16 v19, v16, v20, v14
	ds_read2_b64 v[13:16], v84 offset0:80 offset1:108
	s_waitcnt lgkmcnt(2)
	v_pk_fma_f16 v1, v1, v17, v18
	v_pk_fma_f16 v2, v2, v17, v19
	ds_read2_b64 v[17:20], v84 offset0:136 offset1:164
	s_waitcnt lgkmcnt(0)
	s_barrier
	v_pk_fma_f16 v1, v3, v9, v1
	v_pk_fma_f16 v2, v4, v9, v2
	v_mul_u32_u24_sdwa v3, v10, v77 dst_sel:DWORD dst_unused:UNUSED_PAD src0_sel:WORD_1 src1_sel:DWORD
	buffer_gl0_inv
	s_load_dword s9, s[12:13], 0x4
	v_pk_fma_f16 v1, v5, v21, v1
	v_pk_fma_f16 v2, v6, v21, v2
	v_mul_u32_u24_sdwa v4, v11, v77 dst_sel:DWORD dst_unused:UNUSED_PAD src0_sel:WORD_0 src1_sel:DWORD
	v_pk_fma_f16 v1, v7, v3, v1
	v_pk_fma_f16 v2, v8, v3, v2
	v_mul_u32_u24_sdwa v3, v11, v77 dst_sel:DWORD dst_unused:UNUSED_PAD src0_sel:WORD_1 src1_sel:DWORD
	v_pk_fma_f16 v1, v13, v4, v1
	v_pk_fma_f16 v2, v14, v4, v2
	v_mul_u32_u24_sdwa v4, v12, v77 dst_sel:DWORD dst_unused:UNUSED_PAD src0_sel:WORD_0 src1_sel:DWORD
	v_pk_fma_f16 v1, v15, v3, v1
	v_pk_fma_f16 v2, v16, v3, v2
	v_mul_u32_u24_sdwa v3, v12, v77 dst_sel:DWORD dst_unused:UNUSED_PAD src0_sel:WORD_1 src1_sel:DWORD
	s_waitcnt lgkmcnt(0)
	s_lshl_b32 s9, s9, 5
	v_pk_fma_f16 v1, v17, v4, v1
	v_pk_fma_f16 v2, v18, v4, v2
	s_add_i32 s15, s9, s15
	s_cmp_ge_i32 s15, s36
	v_pk_fma_f16 v61, v19, v3, v1
	v_pk_fma_f16 v70, v20, v3, v2
	s_cbranch_scc1 .LBB13_37
; %bb.28:                               ;   in Loop: Header=BB13_11 Depth=1
	v_mov_b32_e32 v79, v54
	v_mov_b32_e32 v78, v83
	s_branch .LBB13_11
.LBB13_29:                              ;   in Loop: Header=BB13_11 Depth=1
	v_add_co_u32 v1, s9, s10, v42
	v_add_co_ci_u32_e64 v2, null, s11, v43, s9
	global_load_dwordx4 v[1:4], v[1:2], off offset:96
	s_waitcnt vmcnt(0)
	ds_write_b128 v65, v[1:4]
	s_or_b32 exec_lo, exec_lo, s30
	s_and_saveexec_b32 s30, s1
	s_cbranch_execz .LBB13_13
.LBB13_30:                              ;   in Loop: Header=BB13_11 Depth=1
	v_add_co_u32 v1, s9, s10, v44
	v_add_co_ci_u32_e64 v2, null, s11, v45, s9
	v_add_co_u32 v1, s9, v1, v75
	v_add_co_ci_u32_e64 v2, null, 0, v2, s9
	global_load_dwordx4 v[1:4], v[1:2], off offset:64
	s_waitcnt vmcnt(0)
	ds_write_b128 v66, v[1:4]
	s_or_b32 exec_lo, exec_lo, s30
	s_and_saveexec_b32 s30, s2
	s_cbranch_execnz .LBB13_14
	s_branch .LBB13_15
.LBB13_31:                              ;   in Loop: Header=BB13_11 Depth=1
	v_add_co_u32 v2, s9, s10, v42
	v_add_co_ci_u32_e64 v3, null, s11, v43, s9
	global_load_dwordx4 v[2:5], v[2:3], off offset:208
	s_waitcnt vmcnt(0)
	ds_write_b128 v65, v[2:5]
	s_or_b32 exec_lo, exec_lo, s30
	s_and_saveexec_b32 s30, s1
	s_cbranch_execz .LBB13_17
.LBB13_32:                              ;   in Loop: Header=BB13_11 Depth=1
	v_add_co_u32 v2, s9, s10, v44
	v_add_co_ci_u32_e64 v3, null, s11, v45, s9
	v_add_co_u32 v2, s9, v2, v75
	v_add_co_ci_u32_e64 v3, null, 0, v3, s9
	global_load_dwordx4 v[2:5], v[2:3], off offset:176
	s_waitcnt vmcnt(0)
	ds_write_b128 v66, v[2:5]
	s_or_b32 exec_lo, exec_lo, s30
	s_and_saveexec_b32 s30, s2
	s_cbranch_execnz .LBB13_18
	s_branch .LBB13_19
.LBB13_33:                              ;   in Loop: Header=BB13_11 Depth=1
	v_add_co_u32 v1, s9, s10, v48
	v_add_co_ci_u32_e64 v2, null, s11, v49, s9
	v_add_co_u32 v1, s9, v1, v75
	v_add_co_ci_u32_e64 v2, null, 0, v2, s9
	global_load_dwordx4 v[1:4], v[1:2], off offset:192
	s_waitcnt vmcnt(0)
	ds_write_b128 v72, v[1:4]
	s_or_b32 exec_lo, exec_lo, s30
	s_and_saveexec_b32 s30, s7
	s_cbranch_execz .LBB13_21
.LBB13_34:                              ;   in Loop: Header=BB13_11 Depth=1
	v_add_co_u32 v1, s9, s10, v50
	v_add_co_ci_u32_e64 v2, null, s11, v51, s9
	v_add_co_u32 v1, s9, v1, v76
	v_add_co_ci_u32_e64 v2, null, 0, v2, s9
	global_load_dwordx4 v[1:4], v[1:2], off offset:128
	s_waitcnt vmcnt(0)
	ds_write_b128 v73, v[1:4]
	s_or_b32 exec_lo, exec_lo, s30
	v_lshlrev_b32_e32 v85, 2, v71
	s_and_saveexec_b32 s30, s8
	s_cbranch_execnz .LBB13_22
	s_branch .LBB13_23
.LBB13_35:                              ;   in Loop: Header=BB13_11 Depth=1
	v_add_co_u32 v86, s11, s30, v48
	v_add_co_ci_u32_e64 v87, null, s31, v49, s11
	v_add_co_u32 v86, s11, v86, v75
	v_add_co_ci_u32_e64 v87, null, 0, v87, s11
	global_load_dwordx4 v[86:89], v[86:87], off offset:192
	s_waitcnt vmcnt(0)
	ds_write_b128 v72, v[86:89]
	s_or_b32 exec_lo, exec_lo, s35
	s_and_saveexec_b32 s35, s7
	s_cbranch_execz .LBB13_25
.LBB13_36:                              ;   in Loop: Header=BB13_11 Depth=1
	v_add_co_u32 v86, s11, s30, v50
	v_add_co_ci_u32_e64 v87, null, s31, v51, s11
	v_add_co_u32 v86, s11, v86, v76
	v_add_co_ci_u32_e64 v87, null, 0, v87, s11
	global_load_dwordx4 v[86:89], v[86:87], off offset:128
	s_waitcnt vmcnt(0)
	ds_write_b128 v73, v[86:89]
	s_or_b32 exec_lo, exec_lo, s35
	s_and_saveexec_b32 s35, s8
	s_cbranch_execnz .LBB13_26
	s_branch .LBB13_27
.LBB13_37:
	v_mov_b32_e32 v2, v59
.LBB13_38:
	v_cmp_lt_i32_e32 vcc_lo, v63, v60
	s_cmp_lg_u64 s[16:17], 0
	s_cselect_b32 s1, -1, 0
	s_cmp_eq_u32 s34, 0
	v_cndmask_b32_e32 v1, v2, v63, vcc_lo
	v_cmp_lt_i32_e32 vcc_lo, v62, v60
	s_cselect_b32 s2, -1, 0
	s_and_b32 s1, s2, s1
	v_lshlrev_b32_e32 v1, 2, v1
	v_cndmask_b32_e32 v3, v2, v62, vcc_lo
	v_cmp_lt_i32_e32 vcc_lo, v80, v60
	ds_bpermute_b32 v1, v1, v83
	v_lshlrev_b32_e32 v3, 2, v3
	v_cndmask_b32_e32 v4, v2, v80, vcc_lo
	v_cmp_lt_i32_e32 vcc_lo, v81, v60
	v_lshlrev_b32_e32 v4, 2, v4
	s_waitcnt lgkmcnt(0)
	v_add_f32_e32 v1, v83, v1
	ds_bpermute_b32 v3, v3, v1
	s_waitcnt lgkmcnt(0)
	v_add_f32_e32 v1, v1, v3
	ds_bpermute_b32 v3, v4, v1
	v_cndmask_b32_e32 v4, v2, v81, vcc_lo
	v_cmp_lt_i32_e32 vcc_lo, v82, v60
	v_lshlrev_b32_e32 v4, 2, v4
	v_cndmask_b32_e32 v2, v2, v82, vcc_lo
	s_and_b32 vcc_lo, exec_lo, s1
	v_lshlrev_b32_e32 v2, 2, v2
	s_waitcnt lgkmcnt(0)
	v_add_f32_e32 v1, v1, v3
	ds_bpermute_b32 v3, v4, v1
	s_waitcnt lgkmcnt(0)
	v_add_f32_e32 v3, v1, v3
	v_add_nc_u32_e32 v1, s14, v55
	ds_bpermute_b32 v2, v2, v3
	s_waitcnt lgkmcnt(0)
	v_add_f32_e32 v55, v3, v2
	s_cbranch_vccz .LBB13_40
; %bb.39:
	v_ashrrev_i32_e32 v2, 31, v1
	v_lshlrev_b64 v[2:3], 2, v[1:2]
	v_add_co_u32 v2, vcc_lo, s16, v2
	v_add_co_ci_u32_e64 v3, null, s17, v3, vcc_lo
	global_load_dword v2, v[2:3], off
	v_max_f32_e32 v3, v54, v54
	s_waitcnt vmcnt(0)
	v_max_f32_e32 v4, v2, v2
	v_max_f32_e32 v3, v3, v4
	v_sub_f32_e32 v4, v54, v3
	v_sub_f32_e32 v2, v2, v3
	v_mov_b32_e32 v54, v3
	v_mul_f32_e32 v5, 0x3fb8aa3b, v4
	v_mul_f32_e32 v6, 0x3fb8aa3b, v2
	v_cmp_ngt_f32_e32 vcc_lo, 0xc2ce8ed0, v4
	v_fma_f32 v7, 0x3fb8aa3b, v4, -v5
	v_rndne_f32_e32 v8, v5
	v_fma_f32 v9, 0x3fb8aa3b, v2, -v6
	v_rndne_f32_e32 v10, v6
	v_fmac_f32_e32 v7, 0x32a5705f, v4
	v_sub_f32_e32 v5, v5, v8
	v_fmac_f32_e32 v9, 0x32a5705f, v2
	v_sub_f32_e32 v6, v6, v10
	v_add_f32_e32 v5, v5, v7
	v_cvt_i32_f32_e32 v7, v8
	v_add_f32_e32 v6, v6, v9
	v_cvt_i32_f32_e32 v8, v10
	v_exp_f32_e32 v5, v5
	v_exp_f32_e32 v6, v6
	v_ldexp_f32 v5, v5, v7
	v_ldexp_f32 v6, v6, v8
	v_cndmask_b32_e32 v5, 0, v5, vcc_lo
	v_cmp_ngt_f32_e32 vcc_lo, 0xc2ce8ed0, v2
	v_cndmask_b32_e32 v6, 0, v6, vcc_lo
	v_cmp_nlt_f32_e32 vcc_lo, 0x42b17218, v4
	v_cndmask_b32_e32 v4, 0x7f800000, v5, vcc_lo
	v_cmp_nlt_f32_e32 vcc_lo, 0x42b17218, v2
	v_mov_b32_e32 v5, 0x10001
	v_cndmask_b32_e32 v2, 0x7f800000, v6, vcc_lo
	v_cvt_f16_f32_e32 v6, v4
	v_fmac_f32_e32 v2, v55, v4
	v_mul_u32_u24_sdwa v4, v6, v5 dst_sel:DWORD dst_unused:UNUSED_PAD src0_sel:WORD_0 src1_sel:DWORD
	v_mov_b32_e32 v55, v2
	v_pk_mul_f16 v61, v61, v4
	v_pk_mul_f16 v70, v70, v4
.LBB13_40:
	s_load_dword s1, s[4:5], 0xd4
	s_mul_i32 s33, s33, s26
	v_add3_u32 v2, s33, s6, v56
	v_mad_u64_u32 v[1:2], null, v2, s27, v[1:2]
	s_waitcnt lgkmcnt(0)
	v_mad_u64_u32 v[1:2], null, s1, v1, s[34:35]
	s_cmp_lg_u32 s1, 1
	s_cselect_b32 s1, -1, 0
	s_and_saveexec_b32 s2, s0
	s_cbranch_execz .LBB13_42
; %bb.41:
	v_div_scale_f32 v2, null, v55, v55, 1.0
	v_div_scale_f32 v5, vcc_lo, 1.0, v55, 1.0
	v_mul_lo_u32 v7, 0x70, v1
	v_rcp_f32_e32 v4, v2
	v_cvt_f32_f16_e32 v8, v70
	v_cvt_f32_f16_sdwa v9, v61 dst_sel:DWORD dst_unused:UNUSED_PAD src0_sel:WORD_1
	v_cvt_f32_f16_e32 v10, v61
	v_fma_f32 v3, -v2, v4, 1.0
	v_fmac_f32_e32 v4, v3, v4
	v_mul_f32_e32 v6, v5, v4
	v_fma_f32 v3, -v2, v6, v5
	v_fmac_f32_e32 v6, v3, v4
	v_mov_b32_e32 v3, 0
	v_fma_f32 v2, -v2, v6, v5
	v_cvt_f32_f16_sdwa v5, v70 dst_sel:DWORD dst_unused:UNUSED_PAD src0_sel:WORD_1
	v_div_fmas_f32 v4, v2, v4, v6
	v_lshl_add_u32 v2, v0, 2, v7
	v_div_fixup_f32 v4, v4, v55, 1.0
	v_lshlrev_b64 v[2:3], 2, v[2:3]
	v_cndmask_b32_e64 v11, v4, 1.0, s1
	v_add_co_u32 v6, vcc_lo, s20, v2
	v_add_co_ci_u32_e64 v7, null, s21, v3, vcc_lo
	v_mul_f32_e32 v5, v11, v5
	v_mul_f32_e32 v4, v11, v8
	;; [unrolled: 1-line block ×4, first 2 shown]
	global_store_dwordx4 v[6:7], v[2:5], off
.LBB13_42:
	s_or_b32 exec_lo, exec_lo, s2
	v_cmp_eq_u32_e32 vcc_lo, 0, v0
	s_and_b32 s0, vcc_lo, s1
	s_and_saveexec_b32 s1, s0
	s_cbranch_execz .LBB13_44
; %bb.43:
	v_ashrrev_i32_e32 v2, 31, v1
	v_lshlrev_b64 v[0:1], 3, v[1:2]
	v_add_co_u32 v0, vcc_lo, s22, v0
	v_add_co_ci_u32_e64 v1, null, s23, v1, vcc_lo
	global_store_dwordx2 v[0:1], v[54:55], off
.LBB13_44:
	s_endpgm
	.section	.rodata,"a",@progbits
	.p2align	6, 0x0
	.amdhsa_kernel _ZL15flash_attn_tileILi112ELi112ELi1ELi8ELb0EEvPKcS1_S1_S1_S1_PKiPfP15HIP_vector_typeIfLj2EEffffjfiS5_IjLj3EEiiiiiiiiiiiliiliiiiil
		.amdhsa_group_segment_fixed_size 6464
		.amdhsa_private_segment_fixed_size 0
		.amdhsa_kernarg_size 464
		.amdhsa_user_sgpr_count 6
		.amdhsa_user_sgpr_private_segment_buffer 1
		.amdhsa_user_sgpr_dispatch_ptr 0
		.amdhsa_user_sgpr_queue_ptr 0
		.amdhsa_user_sgpr_kernarg_segment_ptr 1
		.amdhsa_user_sgpr_dispatch_id 0
		.amdhsa_user_sgpr_flat_scratch_init 0
		.amdhsa_user_sgpr_private_segment_size 0
		.amdhsa_wavefront_size32 1
		.amdhsa_uses_dynamic_stack 0
		.amdhsa_system_sgpr_private_segment_wavefront_offset 0
		.amdhsa_system_sgpr_workgroup_id_x 1
		.amdhsa_system_sgpr_workgroup_id_y 1
		.amdhsa_system_sgpr_workgroup_id_z 1
		.amdhsa_system_sgpr_workgroup_info 0
		.amdhsa_system_vgpr_workitem_id 1
		.amdhsa_next_free_vgpr 90
		.amdhsa_next_free_sgpr 44
		.amdhsa_reserve_vcc 1
		.amdhsa_reserve_flat_scratch 0
		.amdhsa_float_round_mode_32 0
		.amdhsa_float_round_mode_16_64 0
		.amdhsa_float_denorm_mode_32 3
		.amdhsa_float_denorm_mode_16_64 3
		.amdhsa_dx10_clamp 1
		.amdhsa_ieee_mode 1
		.amdhsa_fp16_overflow 0
		.amdhsa_workgroup_processor_mode 1
		.amdhsa_memory_ordered 1
		.amdhsa_forward_progress 1
		.amdhsa_shared_vgpr_count 0
		.amdhsa_exception_fp_ieee_invalid_op 0
		.amdhsa_exception_fp_denorm_src 0
		.amdhsa_exception_fp_ieee_div_zero 0
		.amdhsa_exception_fp_ieee_overflow 0
		.amdhsa_exception_fp_ieee_underflow 0
		.amdhsa_exception_fp_ieee_inexact 0
		.amdhsa_exception_int_div_zero 0
	.end_amdhsa_kernel
	.section	.text._ZL15flash_attn_tileILi112ELi112ELi1ELi8ELb0EEvPKcS1_S1_S1_S1_PKiPfP15HIP_vector_typeIfLj2EEffffjfiS5_IjLj3EEiiiiiiiiiiiliiliiiiil,"axG",@progbits,_ZL15flash_attn_tileILi112ELi112ELi1ELi8ELb0EEvPKcS1_S1_S1_S1_PKiPfP15HIP_vector_typeIfLj2EEffffjfiS5_IjLj3EEiiiiiiiiiiiliiliiiiil,comdat
.Lfunc_end13:
	.size	_ZL15flash_attn_tileILi112ELi112ELi1ELi8ELb0EEvPKcS1_S1_S1_S1_PKiPfP15HIP_vector_typeIfLj2EEffffjfiS5_IjLj3EEiiiiiiiiiiiliiliiiiil, .Lfunc_end13-_ZL15flash_attn_tileILi112ELi112ELi1ELi8ELb0EEvPKcS1_S1_S1_S1_PKiPfP15HIP_vector_typeIfLj2EEffffjfiS5_IjLj3EEiiiiiiiiiiiliiliiiiil
                                        ; -- End function
	.set _ZL15flash_attn_tileILi112ELi112ELi1ELi8ELb0EEvPKcS1_S1_S1_S1_PKiPfP15HIP_vector_typeIfLj2EEffffjfiS5_IjLj3EEiiiiiiiiiiiliiliiiiil.num_vgpr, 90
	.set _ZL15flash_attn_tileILi112ELi112ELi1ELi8ELb0EEvPKcS1_S1_S1_S1_PKiPfP15HIP_vector_typeIfLj2EEffffjfiS5_IjLj3EEiiiiiiiiiiiliiliiiiil.num_agpr, 0
	.set _ZL15flash_attn_tileILi112ELi112ELi1ELi8ELb0EEvPKcS1_S1_S1_S1_PKiPfP15HIP_vector_typeIfLj2EEffffjfiS5_IjLj3EEiiiiiiiiiiiliiliiiiil.numbered_sgpr, 44
	.set _ZL15flash_attn_tileILi112ELi112ELi1ELi8ELb0EEvPKcS1_S1_S1_S1_PKiPfP15HIP_vector_typeIfLj2EEffffjfiS5_IjLj3EEiiiiiiiiiiiliiliiiiil.num_named_barrier, 0
	.set _ZL15flash_attn_tileILi112ELi112ELi1ELi8ELb0EEvPKcS1_S1_S1_S1_PKiPfP15HIP_vector_typeIfLj2EEffffjfiS5_IjLj3EEiiiiiiiiiiiliiliiiiil.private_seg_size, 0
	.set _ZL15flash_attn_tileILi112ELi112ELi1ELi8ELb0EEvPKcS1_S1_S1_S1_PKiPfP15HIP_vector_typeIfLj2EEffffjfiS5_IjLj3EEiiiiiiiiiiiliiliiiiil.uses_vcc, 1
	.set _ZL15flash_attn_tileILi112ELi112ELi1ELi8ELb0EEvPKcS1_S1_S1_S1_PKiPfP15HIP_vector_typeIfLj2EEffffjfiS5_IjLj3EEiiiiiiiiiiiliiliiiiil.uses_flat_scratch, 0
	.set _ZL15flash_attn_tileILi112ELi112ELi1ELi8ELb0EEvPKcS1_S1_S1_S1_PKiPfP15HIP_vector_typeIfLj2EEffffjfiS5_IjLj3EEiiiiiiiiiiiliiliiiiil.has_dyn_sized_stack, 0
	.set _ZL15flash_attn_tileILi112ELi112ELi1ELi8ELb0EEvPKcS1_S1_S1_S1_PKiPfP15HIP_vector_typeIfLj2EEffffjfiS5_IjLj3EEiiiiiiiiiiiliiliiiiil.has_recursion, 0
	.set _ZL15flash_attn_tileILi112ELi112ELi1ELi8ELb0EEvPKcS1_S1_S1_S1_PKiPfP15HIP_vector_typeIfLj2EEffffjfiS5_IjLj3EEiiiiiiiiiiiliiliiiiil.has_indirect_call, 0
	.section	.AMDGPU.csdata,"",@progbits
; Kernel info:
; codeLenInByte = 6364
; TotalNumSgprs: 46
; NumVgprs: 90
; ScratchSize: 0
; MemoryBound: 0
; FloatMode: 240
; IeeeMode: 1
; LDSByteSize: 6464 bytes/workgroup (compile time only)
; SGPRBlocks: 0
; VGPRBlocks: 11
; NumSGPRsForWavesPerEU: 46
; NumVGPRsForWavesPerEU: 90
; Occupancy: 10
; WaveLimiterHint : 1
; COMPUTE_PGM_RSRC2:SCRATCH_EN: 0
; COMPUTE_PGM_RSRC2:USER_SGPR: 6
; COMPUTE_PGM_RSRC2:TRAP_HANDLER: 0
; COMPUTE_PGM_RSRC2:TGID_X_EN: 1
; COMPUTE_PGM_RSRC2:TGID_Y_EN: 1
; COMPUTE_PGM_RSRC2:TGID_Z_EN: 1
; COMPUTE_PGM_RSRC2:TIDIG_COMP_CNT: 1
	.section	.text._ZL25flash_attn_mask_to_KV_maxILi1EEvPK7__half2Piiii,"axG",@progbits,_ZL25flash_attn_mask_to_KV_maxILi1EEvPK7__half2Piiii,comdat
	.globl	_ZL25flash_attn_mask_to_KV_maxILi1EEvPK7__half2Piiii ; -- Begin function _ZL25flash_attn_mask_to_KV_maxILi1EEvPK7__half2Piiii
	.p2align	8
	.type	_ZL25flash_attn_mask_to_KV_maxILi1EEvPK7__half2Piiii,@function
_ZL25flash_attn_mask_to_KV_maxILi1EEvPK7__half2Piiii: ; @_ZL25flash_attn_mask_to_KV_maxILi1EEvPK7__half2Piiii
; %bb.0:
	s_load_dwordx4 s[8:11], s[4:5], 0x0
	s_mov_b32 s0, exec_lo
	v_cmpx_gt_u32_e32 32, v0
; %bb.1:
	v_lshlrev_b32_e32 v1, 2, v0
	v_mov_b32_e32 v2, 1
	ds_write_b32 v1, v2
; %bb.2:
	s_or_b32 exec_lo, exec_lo, s0
	s_clause 0x1
	s_load_dwordx4 s[12:15], s[4:5], 0x10
	s_load_dword s1, s[4:5], 0x20
	v_and_b32_e32 v1, 31, v0
	v_lshrrev_b32_e32 v3, 3, v0
	v_mov_b32_e32 v2, 0
	v_mov_b32_e32 v4, 0x204
	s_waitcnt lgkmcnt(0)
	v_lshlrev_b32_e32 v5, 2, v1
	s_barrier
	buffer_gl0_inv
	s_mul_i32 s0, s14, s7
	s_mul_i32 s2, s13, s6
	s_add_i32 s2, s0, s2
	v_cmp_eq_u32_e64 s0, 0, v1
	s_ashr_i32 s3, s2, 31
	s_lshl_b64 s[4:5], s[2:3], 2
	s_add_u32 s3, s8, s4
	s_addc_u32 s4, s9, s5
	s_lshl_b32 s5, s12, 8
	s_branch .LBB14_4
	.p2align	6
.LBB14_3:                               ;   in Loop: Header=BB14_4 Depth=1
	s_or_b32 exec_lo, exec_lo, s9
	s_waitcnt lgkmcnt(0)
	s_barrier
	buffer_gl0_inv
	ds_read_b32 v1, v5
	s_waitcnt lgkmcnt(0)
	s_barrier
	buffer_gl0_inv
	v_cmp_ne_u32_e32 vcc_lo, 0, v1
	s_cmp_lg_u32 vcc_lo, exec_lo
	s_cselect_b32 s8, -1, 0
	s_and_b32 vcc_lo, exec_lo, s8
	s_cbranch_vccnz .LBB14_8
.LBB14_4:                               ; =>This Inner Loop Header: Depth=1
	s_mov_b32 s2, s5
	s_addk_i32 s5, 0xff00
	s_cmp_lt_i32 s5, 0
	s_cbranch_scc1 .LBB14_7
; %bb.5:                                ;   in Loop: Header=BB14_4 Depth=1
	s_lshr_b32 s9, s5, 1
	s_mov_b32 s8, exec_lo
	v_add_nc_u32_e32 v1, s9, v0
	v_lshlrev_b64 v[6:7], 2, v[1:2]
	v_add_co_u32 v6, vcc_lo, s3, v6
	v_add_co_ci_u32_e64 v7, null, s4, v7, vcc_lo
	global_load_dword v1, v[6:7], off
	s_waitcnt vmcnt(0)
	v_cmp_class_f16_e64 s9, v1, 0x204
	v_cmp_class_f16_sdwa s12, v1, v4 src0_sel:WORD_1 src1_sel:DWORD
	s_and_b32 s9, s9, s12
	v_cndmask_b32_e64 v1, 0, 1, s9
	v_cmp_ne_u32_e32 vcc_lo, 0, v1
	s_and_saveexec_b32 s9, s0
	s_cbranch_execz .LBB14_3
; %bb.6:                                ;   in Loop: Header=BB14_4 Depth=1
	s_cmp_eq_u32 vcc_lo, s8
	s_cselect_b32 s8, -1, 0
	v_cndmask_b32_e64 v1, 0, 1, s8
	ds_write_b32 v3, v1
	s_branch .LBB14_3
.LBB14_7:                               ;   in Loop: Header=BB14_4 Depth=1
	s_cbranch_execz .LBB14_4
.LBB14_8:
	s_mov_b32 s0, exec_lo
	v_cmpx_eq_u32_e32 0, v0
	s_cbranch_execz .LBB14_10
; %bb.9:
	s_mul_i32 s0, s1, s7
	v_mov_b32_e32 v0, 0
	s_add_i32 s0, s0, s6
	v_mov_b32_e32 v1, s2
	s_ashr_i32 s1, s0, 31
	s_lshl_b64 s[0:1], s[0:1], 2
	s_add_u32 s0, s10, s0
	s_addc_u32 s1, s11, s1
	global_store_dword v0, v1, s[0:1]
.LBB14_10:
	s_endpgm
	.section	.rodata,"a",@progbits
	.p2align	6, 0x0
	.amdhsa_kernel _ZL25flash_attn_mask_to_KV_maxILi1EEvPK7__half2Piiii
		.amdhsa_group_segment_fixed_size 128
		.amdhsa_private_segment_fixed_size 0
		.amdhsa_kernarg_size 288
		.amdhsa_user_sgpr_count 6
		.amdhsa_user_sgpr_private_segment_buffer 1
		.amdhsa_user_sgpr_dispatch_ptr 0
		.amdhsa_user_sgpr_queue_ptr 0
		.amdhsa_user_sgpr_kernarg_segment_ptr 1
		.amdhsa_user_sgpr_dispatch_id 0
		.amdhsa_user_sgpr_flat_scratch_init 0
		.amdhsa_user_sgpr_private_segment_size 0
		.amdhsa_wavefront_size32 1
		.amdhsa_uses_dynamic_stack 0
		.amdhsa_system_sgpr_private_segment_wavefront_offset 0
		.amdhsa_system_sgpr_workgroup_id_x 1
		.amdhsa_system_sgpr_workgroup_id_y 1
		.amdhsa_system_sgpr_workgroup_id_z 0
		.amdhsa_system_sgpr_workgroup_info 0
		.amdhsa_system_vgpr_workitem_id 0
		.amdhsa_next_free_vgpr 8
		.amdhsa_next_free_sgpr 16
		.amdhsa_reserve_vcc 1
		.amdhsa_reserve_flat_scratch 0
		.amdhsa_float_round_mode_32 0
		.amdhsa_float_round_mode_16_64 0
		.amdhsa_float_denorm_mode_32 3
		.amdhsa_float_denorm_mode_16_64 3
		.amdhsa_dx10_clamp 1
		.amdhsa_ieee_mode 1
		.amdhsa_fp16_overflow 0
		.amdhsa_workgroup_processor_mode 1
		.amdhsa_memory_ordered 1
		.amdhsa_forward_progress 1
		.amdhsa_shared_vgpr_count 0
		.amdhsa_exception_fp_ieee_invalid_op 0
		.amdhsa_exception_fp_denorm_src 0
		.amdhsa_exception_fp_ieee_div_zero 0
		.amdhsa_exception_fp_ieee_overflow 0
		.amdhsa_exception_fp_ieee_underflow 0
		.amdhsa_exception_fp_ieee_inexact 0
		.amdhsa_exception_int_div_zero 0
	.end_amdhsa_kernel
	.section	.text._ZL25flash_attn_mask_to_KV_maxILi1EEvPK7__half2Piiii,"axG",@progbits,_ZL25flash_attn_mask_to_KV_maxILi1EEvPK7__half2Piiii,comdat
.Lfunc_end14:
	.size	_ZL25flash_attn_mask_to_KV_maxILi1EEvPK7__half2Piiii, .Lfunc_end14-_ZL25flash_attn_mask_to_KV_maxILi1EEvPK7__half2Piiii
                                        ; -- End function
	.set _ZL25flash_attn_mask_to_KV_maxILi1EEvPK7__half2Piiii.num_vgpr, 8
	.set _ZL25flash_attn_mask_to_KV_maxILi1EEvPK7__half2Piiii.num_agpr, 0
	.set _ZL25flash_attn_mask_to_KV_maxILi1EEvPK7__half2Piiii.numbered_sgpr, 16
	.set _ZL25flash_attn_mask_to_KV_maxILi1EEvPK7__half2Piiii.num_named_barrier, 0
	.set _ZL25flash_attn_mask_to_KV_maxILi1EEvPK7__half2Piiii.private_seg_size, 0
	.set _ZL25flash_attn_mask_to_KV_maxILi1EEvPK7__half2Piiii.uses_vcc, 1
	.set _ZL25flash_attn_mask_to_KV_maxILi1EEvPK7__half2Piiii.uses_flat_scratch, 0
	.set _ZL25flash_attn_mask_to_KV_maxILi1EEvPK7__half2Piiii.has_dyn_sized_stack, 0
	.set _ZL25flash_attn_mask_to_KV_maxILi1EEvPK7__half2Piiii.has_recursion, 0
	.set _ZL25flash_attn_mask_to_KV_maxILi1EEvPK7__half2Piiii.has_indirect_call, 0
	.section	.AMDGPU.csdata,"",@progbits
; Kernel info:
; codeLenInByte = 452
; TotalNumSgprs: 18
; NumVgprs: 8
; ScratchSize: 0
; MemoryBound: 0
; FloatMode: 240
; IeeeMode: 1
; LDSByteSize: 128 bytes/workgroup (compile time only)
; SGPRBlocks: 0
; VGPRBlocks: 0
; NumSGPRsForWavesPerEU: 18
; NumVGPRsForWavesPerEU: 8
; Occupancy: 16
; WaveLimiterHint : 0
; COMPUTE_PGM_RSRC2:SCRATCH_EN: 0
; COMPUTE_PGM_RSRC2:USER_SGPR: 6
; COMPUTE_PGM_RSRC2:TRAP_HANDLER: 0
; COMPUTE_PGM_RSRC2:TGID_X_EN: 1
; COMPUTE_PGM_RSRC2:TGID_Y_EN: 1
; COMPUTE_PGM_RSRC2:TGID_Z_EN: 0
; COMPUTE_PGM_RSRC2:TIDIG_COMP_CNT: 0
	.section	.text._ZL33flash_attn_stream_k_fixup_uniformILi112ELi1ELi8EEvPfPK15HIP_vector_typeIfLj2EEiiiiiiS1_IjLj3EES5_S5_,"axG",@progbits,_ZL33flash_attn_stream_k_fixup_uniformILi112ELi1ELi8EEvPfPK15HIP_vector_typeIfLj2EEiiiiiiS1_IjLj3EES5_S5_,comdat
	.globl	_ZL33flash_attn_stream_k_fixup_uniformILi112ELi1ELi8EEvPfPK15HIP_vector_typeIfLj2EEiiiiiiS1_IjLj3EES5_S5_ ; -- Begin function _ZL33flash_attn_stream_k_fixup_uniformILi112ELi1ELi8EEvPfPK15HIP_vector_typeIfLj2EEiiiiiiS1_IjLj3EES5_S5_
	.p2align	8
	.type	_ZL33flash_attn_stream_k_fixup_uniformILi112ELi1ELi8EEvPfPK15HIP_vector_typeIfLj2EEiiiiiiS1_IjLj3EES5_S5_,@function
_ZL33flash_attn_stream_k_fixup_uniformILi112ELi1ELi8EEvPfPK15HIP_vector_typeIfLj2EEiiiiiiS1_IjLj3EES5_S5_: ; @_ZL33flash_attn_stream_k_fixup_uniformILi112ELi1ELi8EEvPfPK15HIP_vector_typeIfLj2EEiiiiiiS1_IjLj3EES5_S5_
; %bb.0:
	s_clause 0x1
	s_load_dwordx8 s[12:19], s[4:5], 0x1c
	s_load_dwordx4 s[20:23], s[4:5], 0x3c
	s_waitcnt lgkmcnt(0)
	s_mul_hi_u32 s0, s15, s6
	s_add_i32 s0, s6, s0
	s_lshr_b32 s2, s0, s16
	s_mul_i32 s0, s2, s17
	s_sub_i32 s9, s6, s0
	s_load_dwordx2 s[0:1], s[4:5], 0x10
	s_mul_hi_u32 s3, s9, s18
	s_add_i32 s3, s9, s3
	s_lshr_b32 s3, s3, s19
	s_mul_i32 s10, s3, s20
	s_sub_i32 s9, s9, s10
	s_mul_hi_u32 s10, s9, s21
	s_add_i32 s10, s9, s10
	s_lshr_b32 s10, s10, s22
	s_mul_i32 s11, s10, s23
	s_lshl_b32 s10, s10, 3
	s_sub_i32 s9, s9, s11
	s_add_i32 s9, s9, s7
	s_waitcnt lgkmcnt(0)
	s_cmp_lt_i32 s9, s0
	s_cselect_b32 s11, -1, 0
	s_add_i32 s10, s10, s8
	s_cmp_lt_i32 s10, s13
	s_cselect_b32 s15, -1, 0
	s_and_b32 s11, s11, s15
	s_andn2_b32 vcc_lo, exec_lo, s11
	s_cbranch_vccnz .LBB15_6
; %bb.1:
	s_mul_i32 s2, s2, s0
	s_mul_i32 s3, s3, s13
	s_add_i32 s0, s9, s2
	s_add_i32 s9, s10, s3
	s_mul_i32 s10, s0, s1
	s_load_dwordx4 s[0:3], s[4:5], 0x0
	s_add_i32 s9, s9, s10
	s_mul_i32 s4, s14, s6
	v_mad_u64_u32 v[1:2], null, 0x70, s9, v[0:1]
	s_add_i32 s10, s4, s14
	v_ashrrev_i32_e32 v2, 31, v1
	v_lshlrev_b64 v[1:2], 2, v[1:2]
	s_waitcnt lgkmcnt(0)
	v_add_co_u32 v1, vcc_lo, s0, v1
	v_add_co_ci_u32_e64 v2, null, s1, v2, vcc_lo
	s_add_i32 s0, s7, s10
	s_lshl_b32 s0, s0, 3
	global_load_dword v5, v[1:2], off
	s_add_i32 s0, s0, s8
	s_add_i32 s0, s0, -8
	s_ashr_i32 s1, s0, 31
	s_lshl_b64 s[0:1], s[0:1], 3
	s_add_u32 s0, s2, s0
	s_addc_u32 s1, s3, s1
	s_add_i32 s5, s10, -2
	s_load_dword s11, s[0:1], 0x4
	s_cmp_lt_i32 s5, s4
	s_cbranch_scc1 .LBB15_4
; %bb.2:
	s_load_dword s13, s[0:1], 0x0
	s_lshl_b32 s16, s12, 5
	s_waitcnt lgkmcnt(0)
	v_mov_b32_e32 v6, s11
	s_ashr_i32 s17, s16, 31
	s_lshl_b64 s[0:1], s[16:17], 2
	s_add_u32 s5, s2, s0
	s_addc_u32 s9, s3, s1
	s_add_i32 s6, s6, 1
	s_mul_i32 s1, s7, 0x380
	s_mul_i32 s0, s14, s6
	;; [unrolled: 1-line block ×3, first 2 shown]
	s_mulk_i32 s0, 0x380
	s_add_i32 s1, s6, s1
	s_add_i32 s6, s7, s12
	;; [unrolled: 1-line block ×4, first 2 shown]
	v_add3_u32 v3, s1, v0, 0xfffff900
	s_lshl_b32 s0, s6, 3
	v_mov_b32_e32 v0, s13
	s_add_i32 s0, s8, s0
	s_add_i32 s6, s10, -1
	s_add_i32 s0, s0, -16
.LBB15_3:                               ; =>This Inner Loop Header: Depth=1
	v_ashrrev_i32_e32 v4, 31, v3
	s_ashr_i32 s1, s0, 31
	s_lshl_b64 s[10:11], s[0:1], 3
	s_add_u32 s10, s2, s10
	v_lshlrev_b64 v[7:8], 2, v[3:4]
	s_addc_u32 s11, s3, s11
	v_add_nc_u32_e32 v3, 0xfffffc80, v3
	s_add_i32 s6, s6, -1
	s_add_i32 s0, s0, -8
	s_cmp_le_i32 s6, s4
	v_add_co_u32 v7, vcc_lo, s5, v7
	v_add_co_ci_u32_e64 v8, null, s9, v8, vcc_lo
	s_load_dwordx2 s[10:11], s[10:11], 0x0
	global_load_dword v4, v[7:8], off
	v_max_f32_e32 v7, v0, v0
	s_waitcnt lgkmcnt(0)
	v_max_f32_e64 v8, s10, s10
	v_max_f32_e32 v7, v7, v8
	v_sub_f32_e32 v8, s10, v7
	v_sub_f32_e32 v0, v0, v7
	v_mul_f32_e32 v9, 0x3fb8aa3b, v8
	v_mul_f32_e32 v12, 0x3fb8aa3b, v0
	v_cmp_ngt_f32_e32 vcc_lo, 0xc2ce8ed0, v8
	v_fma_f32 v10, 0x3fb8aa3b, v8, -v9
	v_rndne_f32_e32 v11, v9
	v_fma_f32 v13, 0x3fb8aa3b, v0, -v12
	v_rndne_f32_e32 v14, v12
	v_fmac_f32_e32 v10, 0x32a5705f, v8
	v_sub_f32_e32 v9, v9, v11
	v_fmac_f32_e32 v13, 0x32a5705f, v0
	v_cvt_i32_f32_e32 v11, v11
	v_add_f32_e32 v9, v9, v10
	v_sub_f32_e32 v10, v12, v14
	v_exp_f32_e32 v9, v9
	v_add_f32_e32 v10, v10, v13
	v_exp_f32_e32 v10, v10
	v_ldexp_f32 v9, v9, v11
	v_cvt_i32_f32_e32 v11, v14
	v_cndmask_b32_e32 v9, 0, v9, vcc_lo
	v_cmp_nlt_f32_e32 vcc_lo, 0x42b17218, v8
	v_ldexp_f32 v10, v10, v11
	v_mov_b32_e32 v11, v6
	v_cndmask_b32_e32 v9, 0x7f800000, v9, vcc_lo
	v_cmp_ngt_f32_e32 vcc_lo, 0xc2ce8ed0, v0
	v_cndmask_b32_e32 v10, 0, v10, vcc_lo
	v_cmp_le_f32_e32 vcc_lo, 0xc1a00000, v8
	v_cndmask_b32_e32 v8, 0, v9, vcc_lo
	v_cmp_nlt_f32_e32 vcc_lo, 0x42b17218, v0
	s_waitcnt vmcnt(1)
	v_mov_b32_e32 v9, v5
	v_cndmask_b32_e32 v5, 0x7f800000, v10, vcc_lo
	v_mul_f32_e32 v10, s11, v8
	v_cmp_le_f32_e32 vcc_lo, 0xc1a00000, v0
	v_mov_b32_e32 v0, v7
	v_mov_b32_e32 v6, v10
	v_cndmask_b32_e32 v12, 0, v5, vcc_lo
	v_fmac_f32_e32 v6, v11, v12
	s_waitcnt vmcnt(0)
	v_mul_f32_e32 v5, v4, v8
	v_fmac_f32_e32 v5, v9, v12
	s_cbranch_scc0 .LBB15_3
	s_branch .LBB15_5
.LBB15_4:
	s_waitcnt lgkmcnt(0)
	v_mov_b32_e32 v6, s11
.LBB15_5:
	s_waitcnt vmcnt(0)
	v_div_scale_f32 v0, null, v6, v6, v5
	v_rcp_f32_e32 v3, v0
	v_fma_f32 v4, -v0, v3, 1.0
	v_fmac_f32_e32 v3, v4, v3
	v_div_scale_f32 v4, vcc_lo, v5, v6, v5
	v_mul_f32_e32 v7, v4, v3
	v_fma_f32 v8, -v0, v7, v4
	v_fmac_f32_e32 v7, v8, v3
	v_fma_f32 v0, -v0, v7, v4
	v_div_fmas_f32 v0, v0, v3, v7
	v_div_fixup_f32 v0, v0, v6, v5
	global_store_dword v[1:2], v0, off
.LBB15_6:
	s_endpgm
	.section	.rodata,"a",@progbits
	.p2align	6, 0x0
	.amdhsa_kernel _ZL33flash_attn_stream_k_fixup_uniformILi112ELi1ELi8EEvPfPK15HIP_vector_typeIfLj2EEiiiiiiS1_IjLj3EES5_S5_
		.amdhsa_group_segment_fixed_size 0
		.amdhsa_private_segment_fixed_size 0
		.amdhsa_kernarg_size 76
		.amdhsa_user_sgpr_count 6
		.amdhsa_user_sgpr_private_segment_buffer 1
		.amdhsa_user_sgpr_dispatch_ptr 0
		.amdhsa_user_sgpr_queue_ptr 0
		.amdhsa_user_sgpr_kernarg_segment_ptr 1
		.amdhsa_user_sgpr_dispatch_id 0
		.amdhsa_user_sgpr_flat_scratch_init 0
		.amdhsa_user_sgpr_private_segment_size 0
		.amdhsa_wavefront_size32 1
		.amdhsa_uses_dynamic_stack 0
		.amdhsa_system_sgpr_private_segment_wavefront_offset 0
		.amdhsa_system_sgpr_workgroup_id_x 1
		.amdhsa_system_sgpr_workgroup_id_y 1
		.amdhsa_system_sgpr_workgroup_id_z 1
		.amdhsa_system_sgpr_workgroup_info 0
		.amdhsa_system_vgpr_workitem_id 0
		.amdhsa_next_free_vgpr 15
		.amdhsa_next_free_sgpr 24
		.amdhsa_reserve_vcc 1
		.amdhsa_reserve_flat_scratch 0
		.amdhsa_float_round_mode_32 0
		.amdhsa_float_round_mode_16_64 0
		.amdhsa_float_denorm_mode_32 3
		.amdhsa_float_denorm_mode_16_64 3
		.amdhsa_dx10_clamp 1
		.amdhsa_ieee_mode 1
		.amdhsa_fp16_overflow 0
		.amdhsa_workgroup_processor_mode 1
		.amdhsa_memory_ordered 1
		.amdhsa_forward_progress 1
		.amdhsa_shared_vgpr_count 0
		.amdhsa_exception_fp_ieee_invalid_op 0
		.amdhsa_exception_fp_denorm_src 0
		.amdhsa_exception_fp_ieee_div_zero 0
		.amdhsa_exception_fp_ieee_overflow 0
		.amdhsa_exception_fp_ieee_underflow 0
		.amdhsa_exception_fp_ieee_inexact 0
		.amdhsa_exception_int_div_zero 0
	.end_amdhsa_kernel
	.section	.text._ZL33flash_attn_stream_k_fixup_uniformILi112ELi1ELi8EEvPfPK15HIP_vector_typeIfLj2EEiiiiiiS1_IjLj3EES5_S5_,"axG",@progbits,_ZL33flash_attn_stream_k_fixup_uniformILi112ELi1ELi8EEvPfPK15HIP_vector_typeIfLj2EEiiiiiiS1_IjLj3EES5_S5_,comdat
.Lfunc_end15:
	.size	_ZL33flash_attn_stream_k_fixup_uniformILi112ELi1ELi8EEvPfPK15HIP_vector_typeIfLj2EEiiiiiiS1_IjLj3EES5_S5_, .Lfunc_end15-_ZL33flash_attn_stream_k_fixup_uniformILi112ELi1ELi8EEvPfPK15HIP_vector_typeIfLj2EEiiiiiiS1_IjLj3EES5_S5_
                                        ; -- End function
	.set _ZL33flash_attn_stream_k_fixup_uniformILi112ELi1ELi8EEvPfPK15HIP_vector_typeIfLj2EEiiiiiiS1_IjLj3EES5_S5_.num_vgpr, 15
	.set _ZL33flash_attn_stream_k_fixup_uniformILi112ELi1ELi8EEvPfPK15HIP_vector_typeIfLj2EEiiiiiiS1_IjLj3EES5_S5_.num_agpr, 0
	.set _ZL33flash_attn_stream_k_fixup_uniformILi112ELi1ELi8EEvPfPK15HIP_vector_typeIfLj2EEiiiiiiS1_IjLj3EES5_S5_.numbered_sgpr, 24
	.set _ZL33flash_attn_stream_k_fixup_uniformILi112ELi1ELi8EEvPfPK15HIP_vector_typeIfLj2EEiiiiiiS1_IjLj3EES5_S5_.num_named_barrier, 0
	.set _ZL33flash_attn_stream_k_fixup_uniformILi112ELi1ELi8EEvPfPK15HIP_vector_typeIfLj2EEiiiiiiS1_IjLj3EES5_S5_.private_seg_size, 0
	.set _ZL33flash_attn_stream_k_fixup_uniformILi112ELi1ELi8EEvPfPK15HIP_vector_typeIfLj2EEiiiiiiS1_IjLj3EES5_S5_.uses_vcc, 1
	.set _ZL33flash_attn_stream_k_fixup_uniformILi112ELi1ELi8EEvPfPK15HIP_vector_typeIfLj2EEiiiiiiS1_IjLj3EES5_S5_.uses_flat_scratch, 0
	.set _ZL33flash_attn_stream_k_fixup_uniformILi112ELi1ELi8EEvPfPK15HIP_vector_typeIfLj2EEiiiiiiS1_IjLj3EES5_S5_.has_dyn_sized_stack, 0
	.set _ZL33flash_attn_stream_k_fixup_uniformILi112ELi1ELi8EEvPfPK15HIP_vector_typeIfLj2EEiiiiiiS1_IjLj3EES5_S5_.has_recursion, 0
	.set _ZL33flash_attn_stream_k_fixup_uniformILi112ELi1ELi8EEvPfPK15HIP_vector_typeIfLj2EEiiiiiiS1_IjLj3EES5_S5_.has_indirect_call, 0
	.section	.AMDGPU.csdata,"",@progbits
; Kernel info:
; codeLenInByte = 836
; TotalNumSgprs: 26
; NumVgprs: 15
; ScratchSize: 0
; MemoryBound: 0
; FloatMode: 240
; IeeeMode: 1
; LDSByteSize: 0 bytes/workgroup (compile time only)
; SGPRBlocks: 0
; VGPRBlocks: 1
; NumSGPRsForWavesPerEU: 26
; NumVGPRsForWavesPerEU: 15
; Occupancy: 16
; WaveLimiterHint : 0
; COMPUTE_PGM_RSRC2:SCRATCH_EN: 0
; COMPUTE_PGM_RSRC2:USER_SGPR: 6
; COMPUTE_PGM_RSRC2:TRAP_HANDLER: 0
; COMPUTE_PGM_RSRC2:TGID_X_EN: 1
; COMPUTE_PGM_RSRC2:TGID_Y_EN: 1
; COMPUTE_PGM_RSRC2:TGID_Z_EN: 1
; COMPUTE_PGM_RSRC2:TIDIG_COMP_CNT: 0
	.section	.text._ZL33flash_attn_stream_k_fixup_generalILi112ELi1ELi8EEvPfPK15HIP_vector_typeIfLj2EEiiiiS1_IjLj3EES5_S5_S5_,"axG",@progbits,_ZL33flash_attn_stream_k_fixup_generalILi112ELi1ELi8EEvPfPK15HIP_vector_typeIfLj2EEiiiiS1_IjLj3EES5_S5_S5_,comdat
	.globl	_ZL33flash_attn_stream_k_fixup_generalILi112ELi1ELi8EEvPfPK15HIP_vector_typeIfLj2EEiiiiS1_IjLj3EES5_S5_S5_ ; -- Begin function _ZL33flash_attn_stream_k_fixup_generalILi112ELi1ELi8EEvPfPK15HIP_vector_typeIfLj2EEiiiiS1_IjLj3EES5_S5_S5_
	.p2align	8
	.type	_ZL33flash_attn_stream_k_fixup_generalILi112ELi1ELi8EEvPfPK15HIP_vector_typeIfLj2EEiiiiS1_IjLj3EES5_S5_S5_,@function
_ZL33flash_attn_stream_k_fixup_generalILi112ELi1ELi8EEvPfPK15HIP_vector_typeIfLj2EEiiiiS1_IjLj3EES5_S5_S5_: ; @_ZL33flash_attn_stream_k_fixup_generalILi112ELi1ELi8EEvPfPK15HIP_vector_typeIfLj2EEiiiiS1_IjLj3EES5_S5_S5_
; %bb.0:
	s_clause 0x1
	s_load_dwordx4 s[0:3], s[4:5], 0x10
	s_load_dword s9, s[4:5], 0x50
	s_mov_b32 s16, 0
	s_waitcnt lgkmcnt(0)
	s_mul_hi_i32 s17, s3, s6
	s_mul_i32 s18, s3, s6
	s_cmp_lg_u64 s[16:17], 0
	s_cbranch_scc0 .LBB16_21
; %bb.1:
	s_add_u32 s10, s9, 0
	s_addc_u32 s11, 0, 0
	s_xor_b64 s[10:11], s[10:11], 0
	v_cvt_f32_u32_e32 v1, s10
	v_cvt_f32_u32_e32 v2, s11
	s_sub_u32 s14, 0, s10
	s_subb_u32 s15, 0, s11
	v_fmamk_f32 v1, v2, 0x4f800000, v1
	v_rcp_f32_e32 v1, v1
	v_mul_f32_e32 v1, 0x5f7ffffc, v1
	v_mul_f32_e32 v2, 0x2f800000, v1
	v_trunc_f32_e32 v2, v2
	v_fmamk_f32 v1, v2, 0xcf800000, v1
	v_cvt_u32_f32_e32 v2, v2
	v_cvt_u32_f32_e32 v1, v1
	v_readfirstlane_b32 s12, v2
	v_readfirstlane_b32 s13, v1
	s_mul_i32 s19, s14, s12
	s_mul_hi_u32 s21, s14, s13
	s_mul_i32 s20, s15, s13
	s_add_i32 s19, s21, s19
	s_mul_i32 s22, s14, s13
	s_add_i32 s19, s19, s20
	s_mul_hi_u32 s21, s13, s22
	s_mul_i32 s24, s13, s19
	s_mul_hi_u32 s23, s12, s22
	s_mul_i32 s20, s12, s22
	s_mul_hi_u32 s22, s13, s19
	s_add_u32 s21, s21, s24
	s_addc_u32 s22, 0, s22
	s_mul_hi_u32 s25, s12, s19
	s_add_u32 s20, s21, s20
	s_mul_i32 s19, s12, s19
	s_addc_u32 s20, s22, s23
	s_addc_u32 s21, s25, 0
	s_add_u32 s19, s20, s19
	s_addc_u32 s20, 0, s21
	s_add_u32 s13, s13, s19
	s_cselect_b32 s19, -1, 0
	s_mul_hi_u32 s21, s14, s13
	s_cmp_lg_u32 s19, 0
	s_mul_i32 s19, s14, s13
	s_addc_u32 s12, s12, s20
	s_mul_i32 s15, s15, s13
	s_mul_i32 s14, s14, s12
	s_mul_hi_u32 s20, s13, s19
	s_add_i32 s14, s21, s14
	s_mul_hi_u32 s21, s12, s19
	s_add_i32 s14, s14, s15
	s_mul_i32 s15, s12, s19
	s_mul_i32 s23, s13, s14
	s_mul_hi_u32 s22, s13, s14
	s_add_u32 s20, s20, s23
	s_addc_u32 s22, 0, s22
	s_mul_hi_u32 s19, s12, s14
	s_add_u32 s15, s20, s15
	s_mul_i32 s14, s12, s14
	s_addc_u32 s15, s22, s21
	s_addc_u32 s19, s19, 0
	s_add_u32 s14, s15, s14
	s_addc_u32 s15, 0, s19
	s_add_u32 s19, s13, s14
	s_cselect_b32 s13, -1, 0
	s_cmp_lg_u32 s13, 0
	s_addc_u32 s20, s12, s15
	s_ashr_i32 s12, s17, 31
	s_add_u32 s14, s18, s12
	s_mov_b32 s13, s12
	s_addc_u32 s15, s17, s12
	s_xor_b64 s[14:15], s[14:15], s[12:13]
	s_mul_i32 s21, s14, s20
	s_mul_hi_u32 s22, s14, s19
	s_mul_hi_u32 s17, s14, s20
	;; [unrolled: 1-line block ×3, first 2 shown]
	s_mul_i32 s19, s15, s19
	s_add_u32 s21, s22, s21
	s_addc_u32 s17, 0, s17
	s_mul_hi_u32 s23, s15, s20
	s_add_u32 s19, s21, s19
	s_mul_i32 s20, s15, s20
	s_addc_u32 s17, s17, s24
	s_addc_u32 s19, s23, 0
	s_add_u32 s17, s17, s20
	s_addc_u32 s19, 0, s19
	s_mul_hi_u32 s20, s10, s17
	s_mul_i32 s21, s10, s19
	s_mul_i32 s22, s11, s17
	s_add_i32 s20, s20, s21
	s_mul_i32 s21, s10, s17
	s_add_i32 s20, s20, s22
	s_sub_i32 s22, s15, s20
	s_sub_u32 s14, s14, s21
	s_cselect_b32 s21, -1, 0
	s_cmp_lg_u32 s21, 0
	s_subb_u32 s22, s22, s11
	s_sub_u32 s23, s14, s10
	s_cselect_b32 s24, -1, 0
	s_cmp_lg_u32 s24, 0
	s_subb_u32 s22, s22, 0
	s_cmp_ge_u32 s22, s11
	s_cselect_b32 s24, -1, 0
	s_cmp_ge_u32 s23, s10
	s_cselect_b32 s23, -1, 0
	s_cmp_eq_u32 s22, s11
	s_cselect_b32 s22, s23, s24
	s_add_u32 s23, s17, 1
	s_addc_u32 s24, s19, 0
	s_add_u32 s25, s17, 2
	s_addc_u32 s26, s19, 0
	s_cmp_lg_u32 s22, 0
	s_cselect_b32 s22, s25, s23
	s_cselect_b32 s23, s26, s24
	s_cmp_lg_u32 s21, 0
	s_subb_u32 s15, s15, s20
	s_cmp_ge_u32 s15, s11
	s_cselect_b32 s20, -1, 0
	s_cmp_ge_u32 s14, s10
	s_cselect_b32 s10, -1, 0
	s_cmp_eq_u32 s15, s11
	s_cselect_b32 s10, s10, s20
	s_cmp_lg_u32 s10, 0
	s_cselect_b32 s11, s23, s19
	s_cselect_b32 s10, s22, s17
	s_xor_b64 s[12:13], s[12:13], 0
	s_xor_b64 s[10:11], s[10:11], s[12:13]
	s_sub_u32 s10, s10, s12
	s_load_dwordx4 s[12:15], s[4:5], 0x44
	s_andn2_b32 vcc_lo, exec_lo, s16
	s_cbranch_vccnz .LBB16_3
.LBB16_2:
	v_cvt_f32_u32_e32 v1, s9
	s_sub_i32 s11, 0, s9
	v_rcp_iflag_f32_e32 v1, v1
	v_mul_f32_e32 v1, 0x4f7ffffe, v1
	v_cvt_u32_f32_e32 v1, v1
	v_readfirstlane_b32 s10, v1
	s_mul_i32 s11, s11, s10
	s_mul_hi_u32 s11, s10, s11
	s_add_i32 s10, s10, s11
	s_mul_hi_u32 s10, s18, s10
	s_mul_i32 s11, s10, s9
	s_waitcnt lgkmcnt(0)
	s_add_i32 s15, s10, 1
	s_sub_i32 s11, s18, s11
	s_sub_i32 s16, s11, s9
	s_cmp_ge_u32 s11, s9
	s_cselect_b32 s10, s15, s10
	s_cselect_b32 s11, s16, s11
	s_add_i32 s15, s10, 1
	s_cmp_ge_u32 s11, s9
	s_cselect_b32 s10, s15, s10
.LBB16_3:
	s_add_i32 s11, s6, 1
	s_mov_b32 s16, 0
	s_mul_hi_i32 s17, s3, s11
	s_mul_i32 s11, s3, s11
	s_cmp_lg_u64 s[16:17], 0
	s_cbranch_scc0 .LBB16_22
; %bb.4:
	s_add_u32 s18, s9, 0
	s_addc_u32 s19, 0, 0
	s_xor_b64 s[18:19], s[18:19], 0
	v_cvt_f32_u32_e32 v1, s18
	v_cvt_f32_u32_e32 v2, s19
	s_sub_u32 s21, 0, s18
	s_subb_u32 s22, 0, s19
	v_fmamk_f32 v1, v2, 0x4f800000, v1
	v_rcp_f32_e32 v1, v1
	v_mul_f32_e32 v1, 0x5f7ffffc, v1
	v_mul_f32_e32 v2, 0x2f800000, v1
	v_trunc_f32_e32 v2, v2
	v_fmamk_f32 v1, v2, 0xcf800000, v1
	v_cvt_u32_f32_e32 v2, v2
	v_cvt_u32_f32_e32 v1, v1
	s_waitcnt lgkmcnt(0)
	v_readfirstlane_b32 s15, v2
	v_readfirstlane_b32 s20, v1
	s_mul_i32 s23, s21, s15
	s_mul_hi_u32 s25, s21, s20
	s_mul_i32 s24, s22, s20
	s_add_i32 s23, s25, s23
	s_mul_i32 s26, s21, s20
	s_add_i32 s23, s23, s24
	s_mul_hi_u32 s25, s20, s26
	s_mul_i32 s28, s20, s23
	s_mul_hi_u32 s27, s15, s26
	s_mul_i32 s24, s15, s26
	s_mul_hi_u32 s26, s20, s23
	s_add_u32 s25, s25, s28
	s_addc_u32 s26, 0, s26
	s_mul_hi_u32 s29, s15, s23
	s_add_u32 s24, s25, s24
	s_mul_i32 s23, s15, s23
	s_addc_u32 s24, s26, s27
	s_addc_u32 s25, s29, 0
	s_add_u32 s23, s24, s23
	s_addc_u32 s24, 0, s25
	s_add_u32 s20, s20, s23
	s_cselect_b32 s23, -1, 0
	s_mul_hi_u32 s25, s21, s20
	s_cmp_lg_u32 s23, 0
	s_mul_i32 s23, s21, s20
	s_addc_u32 s15, s15, s24
	s_mul_i32 s22, s22, s20
	s_mul_i32 s21, s21, s15
	s_mul_hi_u32 s24, s20, s23
	s_add_i32 s21, s25, s21
	s_mul_hi_u32 s25, s15, s23
	s_add_i32 s21, s21, s22
	s_mul_i32 s22, s15, s23
	s_mul_i32 s27, s20, s21
	s_mul_hi_u32 s26, s20, s21
	s_add_u32 s24, s24, s27
	s_addc_u32 s26, 0, s26
	s_mul_hi_u32 s23, s15, s21
	s_add_u32 s22, s24, s22
	s_mul_i32 s21, s15, s21
	s_addc_u32 s22, s26, s25
	s_addc_u32 s23, s23, 0
	s_add_u32 s21, s22, s21
	s_addc_u32 s22, 0, s23
	s_add_u32 s24, s20, s21
	s_cselect_b32 s20, -1, 0
	s_cmp_lg_u32 s20, 0
	s_addc_u32 s15, s15, s22
	s_ashr_i32 s20, s17, 31
	s_add_u32 s22, s11, s20
	s_mov_b32 s21, s20
	s_addc_u32 s23, s17, s20
	s_xor_b64 s[22:23], s[22:23], s[20:21]
	s_mul_i32 s25, s22, s15
	s_mul_hi_u32 s26, s22, s24
	s_mul_hi_u32 s17, s22, s15
	;; [unrolled: 1-line block ×3, first 2 shown]
	s_mul_i32 s24, s23, s24
	s_add_u32 s25, s26, s25
	s_addc_u32 s17, 0, s17
	s_mul_hi_u32 s27, s23, s15
	s_add_u32 s24, s25, s24
	s_mul_i32 s15, s23, s15
	s_addc_u32 s17, s17, s28
	s_addc_u32 s24, s27, 0
	s_add_u32 s15, s17, s15
	s_addc_u32 s17, 0, s24
	s_mul_hi_u32 s24, s18, s15
	s_mul_i32 s25, s18, s17
	s_mul_i32 s26, s19, s15
	s_add_i32 s24, s24, s25
	s_mul_i32 s25, s18, s15
	s_add_i32 s24, s24, s26
	s_sub_i32 s26, s23, s24
	s_sub_u32 s22, s22, s25
	s_cselect_b32 s25, -1, 0
	s_cmp_lg_u32 s25, 0
	s_subb_u32 s26, s26, s19
	s_sub_u32 s27, s22, s18
	s_cselect_b32 s28, -1, 0
	s_cmp_lg_u32 s28, 0
	s_subb_u32 s26, s26, 0
	s_cmp_ge_u32 s26, s19
	s_cselect_b32 s28, -1, 0
	s_cmp_ge_u32 s27, s18
	s_cselect_b32 s27, -1, 0
	s_cmp_eq_u32 s26, s19
	s_cselect_b32 s26, s27, s28
	s_add_u32 s27, s15, 1
	s_addc_u32 s28, s17, 0
	s_add_u32 s29, s15, 2
	s_addc_u32 s30, s17, 0
	s_cmp_lg_u32 s26, 0
	s_cselect_b32 s26, s29, s27
	s_cselect_b32 s27, s30, s28
	s_cmp_lg_u32 s25, 0
	s_subb_u32 s23, s23, s24
	s_cmp_ge_u32 s23, s19
	s_cselect_b32 s24, -1, 0
	s_cmp_ge_u32 s22, s18
	s_cselect_b32 s18, -1, 0
	s_cmp_eq_u32 s23, s19
	s_cselect_b32 s18, s18, s24
	s_cmp_lg_u32 s18, 0
	s_cselect_b32 s19, s27, s17
	s_cselect_b32 s18, s26, s15
	s_xor_b64 s[20:21], s[20:21], 0
	s_xor_b64 s[18:19], s[18:19], s[20:21]
	s_sub_u32 s18, s18, s20
	s_andn2_b32 vcc_lo, exec_lo, s16
	s_cbranch_vccnz .LBB16_6
.LBB16_5:
	v_cvt_f32_u32_e32 v1, s9
	s_sub_i32 s16, 0, s9
	v_rcp_iflag_f32_e32 v1, v1
	v_mul_f32_e32 v1, 0x4f7ffffe, v1
	v_cvt_u32_f32_e32 v1, v1
	s_waitcnt lgkmcnt(0)
	v_readfirstlane_b32 s15, v1
	s_mul_i32 s16, s16, s15
	s_mul_hi_u32 s16, s15, s16
	s_add_i32 s15, s15, s16
	s_mul_hi_u32 s15, s11, s15
	s_mul_i32 s16, s15, s9
	s_sub_i32 s11, s11, s16
	s_add_i32 s16, s15, 1
	s_sub_i32 s17, s11, s9
	s_cmp_ge_u32 s11, s9
	s_cselect_b32 s15, s16, s15
	s_cselect_b32 s11, s17, s11
	s_add_i32 s16, s15, 1
	s_cmp_ge_u32 s11, s9
	s_cselect_b32 s18, s16, s15
.LBB16_6:
	s_cmp_eq_u32 s10, s18
	s_waitcnt lgkmcnt(0)
	s_mul_hi_u32 s11, s10, s12
	s_cselect_b32 s15, -1, 0
	s_add_i32 s11, s11, s10
	s_lshr_b32 s11, s11, s13
	s_mul_i32 s16, s11, s14
	s_cmp_eq_u32 s16, s10
	s_mul_hi_u32 s16, s18, s12
	s_cselect_b32 s17, -1, 0
	s_add_i32 s16, s16, s18
	s_lshr_b32 s16, s16, s13
	s_cmp_eq_u32 s11, s16
	s_mul_i32 s16, s16, s14
	s_cselect_b32 s19, -1, 0
	s_cmp_lg_u32 s16, s18
	s_cselect_b32 s16, -1, 0
	s_or_b32 s15, s15, s17
	s_and_b32 s16, s19, s16
	s_or_b32 s15, s15, s16
	s_and_b32 vcc_lo, exec_lo, s15
	s_cbranch_vccnz .LBB16_24
; %bb.7:
	s_load_dwordx8 s[16:23], s[4:5], 0x20
	s_waitcnt lgkmcnt(0)
	s_mul_hi_u32 s15, s10, s16
	s_load_dword s16, s[4:5], 0x40
	s_add_i32 s15, s15, s10
	s_lshr_b32 s15, s15, s17
	s_mul_i32 s17, s15, s18
	s_sub_i32 s17, s10, s17
	s_mul_hi_u32 s18, s17, s19
	s_add_i32 s18, s17, s18
	s_lshr_b32 s20, s18, s20
	s_mul_i32 s18, s20, s21
	s_sub_i32 s17, s17, s18
	s_mul_hi_u32 s18, s17, s22
	s_add_i32 s18, s17, s18
	s_lshr_b32 s18, s18, s23
	s_waitcnt lgkmcnt(0)
	s_mul_i32 s16, s18, s16
	s_lshl_b32 s22, s18, 3
	s_sub_i32 s16, s17, s16
	s_mul_hi_u32 s17, s16, s12
	s_add_i32 s16, s16, s17
	s_lshr_b32 s21, s16, s13
	s_add_i32 s21, s21, s7
	s_cmp_lt_i32 s21, s0
	s_cselect_b32 s16, -1, 0
	s_add_i32 s22, s22, s8
	s_cmp_lt_i32 s22, s2
	s_cselect_b32 s17, -1, 0
	s_and_b32 s16, s16, s17
	s_andn2_b32 vcc_lo, exec_lo, s16
	s_cbranch_vccnz .LBB16_24
; %bb.8:
	s_load_dwordx4 s[16:19], s[4:5], 0x0
	s_mov_b32 s4, 0
	s_lshl_b32 s24, s9, 5
	s_mov_b32 s25, s4
	s_lshl_b32 s5, s7, 3
	s_lshl_b64 s[24:25], s[24:25], 2
	s_mul_i32 s0, s15, s0
	s_add_i32 s5, s5, s8
	s_mul_i32 s20, s20, s2
	v_cvt_f32_u32_e32 v3, s9
	v_rcp_iflag_f32_e32 v3, v3
	s_waitcnt lgkmcnt(0)
	s_add_u32 s2, s18, s24
	s_addc_u32 s15, s19, s25
	s_add_i32 s0, s21, s0
	s_add_i32 s20, s22, s20
	s_mul_i32 s0, s0, s1
	v_mul_f32_e32 v7, 0x4f7ffffe, v3
	s_add_i32 s20, s20, s0
	s_add_i32 s0, s7, s6
	v_mad_u64_u32 v[1:2], null, 0x70, s20, v[0:1]
	s_lshl_b32 s0, s0, 3
	s_add_i32 s0, s0, s8
	s_ashr_i32 s1, s0, 31
	v_ashrrev_i32_e32 v2, 31, v1
	s_lshl_b64 s[0:1], s[0:1], 3
	s_add_u32 s0, s18, s0
	s_addc_u32 s1, s19, s1
	v_lshlrev_b64 v[1:2], 2, v[1:2]
	s_load_dwordx2 s[0:1], s[0:1], 0x0
	v_add_co_u32 v1, vcc_lo, s16, v1
	v_add_co_ci_u32_e64 v2, null, s17, v2, vcc_lo
	s_add_i32 s17, s6, -1
	v_mad_u64_u32 v[3:4], null, 0x70, s5, v[0:1]
	global_load_dword v5, v[1:2], off
	v_cvt_u32_f32_e32 v0, v7
	s_add_i32 s16, s9, s7
	s_waitcnt lgkmcnt(0)
	v_mov_b32_e32 v4, s1
	v_mov_b32_e32 v6, s0
.LBB16_9:                               ; =>This Inner Loop Header: Depth=1
	s_mul_hi_i32 s5, s17, s3
	s_mul_i32 s6, s17, s3
	s_cmp_lg_u64 s[4:5], 0
	s_mov_b32 s7, -1
                                        ; implicit-def: $sgpr0_sgpr1
	s_cbranch_scc0 .LBB16_11
; %bb.10:                               ;   in Loop: Header=BB16_9 Depth=1
	s_add_u32 s0, s9, 0
	s_addc_u32 s1, 0, 0
	s_xor_b64 s[0:1], s[0:1], 0
	v_cvt_f32_u32_e32 v7, s0
	v_cvt_f32_u32_e32 v8, s1
	s_sub_u32 s21, 0, s0
	s_subb_u32 s22, 0, s1
	v_fmac_f32_e32 v7, 0x4f800000, v8
	v_rcp_f32_e32 v7, v7
	v_mul_f32_e32 v7, 0x5f7ffffc, v7
	v_mul_f32_e32 v8, 0x2f800000, v7
	v_trunc_f32_e32 v8, v8
	v_fmac_f32_e32 v7, 0xcf800000, v8
	v_cvt_u32_f32_e32 v8, v8
	v_cvt_u32_f32_e32 v7, v7
	v_readfirstlane_b32 s7, v8
	v_readfirstlane_b32 s20, v7
	s_mul_i32 s23, s21, s7
	s_mul_hi_u32 s25, s21, s20
	s_mul_i32 s24, s22, s20
	s_add_i32 s23, s25, s23
	s_mul_i32 s26, s21, s20
	s_add_i32 s23, s23, s24
	s_mul_hi_u32 s25, s20, s26
	s_mul_i32 s28, s20, s23
	s_mul_hi_u32 s27, s7, s26
	s_mul_i32 s24, s7, s26
	s_mul_hi_u32 s26, s20, s23
	s_add_u32 s25, s25, s28
	s_addc_u32 s26, 0, s26
	s_mul_hi_u32 s29, s7, s23
	s_add_u32 s24, s25, s24
	s_mul_i32 s23, s7, s23
	s_addc_u32 s24, s26, s27
	s_addc_u32 s25, s29, 0
	s_add_u32 s23, s24, s23
	s_addc_u32 s24, 0, s25
	s_add_u32 s20, s20, s23
	s_cselect_b32 s23, -1, 0
	s_mul_hi_u32 s25, s21, s20
	s_cmp_lg_u32 s23, 0
	s_mul_i32 s23, s21, s20
	s_addc_u32 s7, s7, s24
	s_mul_i32 s22, s22, s20
	s_mul_i32 s21, s21, s7
	s_mul_hi_u32 s24, s20, s23
	s_add_i32 s21, s25, s21
	s_mul_hi_u32 s25, s7, s23
	s_add_i32 s21, s21, s22
	s_mul_i32 s22, s7, s23
	s_mul_i32 s27, s20, s21
	s_mul_hi_u32 s26, s20, s21
	s_add_u32 s24, s24, s27
	s_addc_u32 s26, 0, s26
	s_mul_hi_u32 s23, s7, s21
	s_add_u32 s22, s24, s22
	s_mul_i32 s21, s7, s21
	s_addc_u32 s22, s26, s25
	s_addc_u32 s23, s23, 0
	s_add_u32 s21, s22, s21
	s_addc_u32 s22, 0, s23
	s_add_u32 s24, s20, s21
	s_cselect_b32 s20, -1, 0
	s_cmp_lg_u32 s20, 0
	s_addc_u32 s7, s7, s22
	s_ashr_i32 s20, s5, 31
	s_add_u32 s22, s6, s20
	s_mov_b32 s21, s20
	s_addc_u32 s23, s5, s20
	s_xor_b64 s[22:23], s[22:23], s[20:21]
	s_mul_i32 s25, s22, s7
	s_mul_hi_u32 s26, s22, s24
	s_mul_hi_u32 s5, s22, s7
	;; [unrolled: 1-line block ×3, first 2 shown]
	s_mul_i32 s24, s23, s24
	s_add_u32 s25, s26, s25
	s_addc_u32 s5, 0, s5
	s_mul_hi_u32 s27, s23, s7
	s_add_u32 s24, s25, s24
	s_mul_i32 s7, s23, s7
	s_addc_u32 s5, s5, s28
	s_addc_u32 s24, s27, 0
	s_add_u32 s5, s5, s7
	s_addc_u32 s7, 0, s24
	s_mul_hi_u32 s24, s0, s5
	s_mul_i32 s25, s0, s7
	s_mul_i32 s26, s1, s5
	s_add_i32 s24, s24, s25
	s_mul_i32 s25, s0, s5
	s_add_i32 s24, s24, s26
	s_sub_i32 s26, s23, s24
	s_sub_u32 s22, s22, s25
	s_cselect_b32 s25, -1, 0
	s_cmp_lg_u32 s25, 0
	s_subb_u32 s26, s26, s1
	s_sub_u32 s27, s22, s0
	s_cselect_b32 s28, -1, 0
	s_cmp_lg_u32 s28, 0
	s_subb_u32 s26, s26, 0
	s_cmp_ge_u32 s26, s1
	s_cselect_b32 s28, -1, 0
	s_cmp_ge_u32 s27, s0
	s_cselect_b32 s27, -1, 0
	s_cmp_eq_u32 s26, s1
	s_cselect_b32 s26, s27, s28
	s_add_u32 s27, s5, 1
	s_addc_u32 s28, s7, 0
	s_add_u32 s29, s5, 2
	s_addc_u32 s30, s7, 0
	s_cmp_lg_u32 s26, 0
	s_cselect_b32 s26, s29, s27
	s_cselect_b32 s27, s30, s28
	s_cmp_lg_u32 s25, 0
	s_subb_u32 s23, s23, s24
	s_cmp_ge_u32 s23, s1
	s_cselect_b32 s24, -1, 0
	s_cmp_ge_u32 s22, s0
	s_cselect_b32 s0, -1, 0
	s_cmp_eq_u32 s23, s1
	s_cselect_b32 s0, s0, s24
	s_cmp_lg_u32 s0, 0
	s_cselect_b32 s1, s27, s7
	s_cselect_b32 s0, s26, s5
	s_xor_b64 s[20:21], s[20:21], 0
	s_mov_b32 s7, 0
	s_xor_b64 s[0:1], s[0:1], s[20:21]
	s_sub_u32 s0, s0, s20
.LBB16_11:                              ;   in Loop: Header=BB16_9 Depth=1
	s_andn2_b32 vcc_lo, exec_lo, s7
	s_cbranch_vccnz .LBB16_13
; %bb.12:                               ;   in Loop: Header=BB16_9 Depth=1
	v_readfirstlane_b32 s0, v0
	s_sub_i32 s1, 0, s9
	s_mul_i32 s1, s1, s0
	s_mul_hi_u32 s1, s0, s1
	s_add_i32 s0, s0, s1
	s_mul_hi_u32 s0, s6, s0
	s_mul_i32 s1, s0, s9
	s_add_i32 s5, s0, 1
	s_sub_i32 s1, s6, s1
	s_sub_i32 s6, s1, s9
	s_cmp_ge_u32 s1, s9
	s_cselect_b32 s0, s5, s0
	s_cselect_b32 s1, s6, s1
	s_add_i32 s5, s0, 1
	s_cmp_ge_u32 s1, s9
	s_cselect_b32 s0, s5, s0
.LBB16_13:                              ;   in Loop: Header=BB16_9 Depth=1
	s_cmp_lg_u32 s10, s0
	s_mov_b32 s6, -1
                                        ; implicit-def: $sgpr5
                                        ; implicit-def: $vgpr8
                                        ; implicit-def: $vgpr7
                                        ; implicit-def: $vgpr9
                                        ; implicit-def: $sgpr1
                                        ; implicit-def: $sgpr20
	s_cbranch_scc0 .LBB16_18
; %bb.14:                               ;   in Loop: Header=BB16_9 Depth=1
	s_add_i32 s1, s16, s17
	s_mov_b32 s7, s4
	s_lshl_b32 s1, s1, 3
	s_mov_b32 s20, s10
	s_add_i32 s6, s1, s8
	s_mul_hi_u32 s1, s0, s12
	s_lshl_b64 s[6:7], s[6:7], 3
	s_add_u32 s6, s18, s6
	s_addc_u32 s7, s19, s7
	s_add_i32 s1, s1, s0
	s_lshr_b32 s1, s1, s13
	s_mul_i32 s5, s1, s14
	s_cmp_eq_u32 s5, s0
	s_cselect_b32 s5, -1, 0
	s_cmp_lt_u32 s1, s11
	s_cselect_b32 s1, -1, 0
	s_or_b32 s1, s1, s5
	s_mov_b32 s5, -1
	s_and_b32 vcc_lo, exec_lo, s1
	s_mov_b32 s1, s17
	s_cbranch_vccnz .LBB16_16
; %bb.15:                               ;   in Loop: Header=BB16_9 Depth=1
	s_add_i32 s1, s17, -1
	s_mov_b32 s5, 0
	s_mov_b32 s20, s0
.LBB16_16:                              ;   in Loop: Header=BB16_9 Depth=1
	v_mad_u64_u32 v[7:8], null, 0x380, s17, v[3:4]
	s_load_dwordx2 s[6:7], s[6:7], 0x0
	v_ashrrev_i32_e32 v8, 31, v7
	v_lshlrev_b64 v[7:8], 2, v[7:8]
	v_add_co_u32 v7, vcc_lo, s2, v7
	v_add_co_ci_u32_e64 v8, null, s15, v8, vcc_lo
	s_waitcnt lgkmcnt(0)
	v_max_f32_e64 v9, s6, s6
	global_load_dword v8, v[7:8], off
	v_max_f32_e32 v7, v6, v6
	v_max_f32_e32 v7, v7, v9
	v_sub_f32_e32 v9, s6, v7
	v_sub_f32_e32 v10, v6, v7
	v_mul_f32_e32 v11, 0x3fb8aa3b, v9
	v_mul_f32_e32 v12, 0x3fb8aa3b, v10
	v_cmp_ngt_f32_e32 vcc_lo, 0xc2ce8ed0, v9
	v_fma_f32 v13, 0x3fb8aa3b, v9, -v11
	v_rndne_f32_e32 v14, v11
	v_fma_f32 v15, 0x3fb8aa3b, v10, -v12
	v_rndne_f32_e32 v16, v12
	v_fmac_f32_e32 v13, 0x32a5705f, v9
	v_sub_f32_e32 v11, v11, v14
	v_fmac_f32_e32 v15, 0x32a5705f, v10
	v_sub_f32_e32 v12, v12, v16
	v_add_f32_e32 v11, v11, v13
	v_cvt_i32_f32_e32 v13, v14
	v_add_f32_e32 v12, v12, v15
	v_cvt_i32_f32_e32 v14, v16
	v_exp_f32_e32 v11, v11
	v_exp_f32_e32 v12, v12
	v_ldexp_f32 v11, v11, v13
	v_ldexp_f32 v12, v12, v14
	v_cndmask_b32_e32 v11, 0, v11, vcc_lo
	v_cmp_ngt_f32_e32 vcc_lo, 0xc2ce8ed0, v10
	v_cndmask_b32_e32 v12, 0, v12, vcc_lo
	v_cmp_nlt_f32_e32 vcc_lo, 0x42b17218, v9
	v_cndmask_b32_e32 v11, 0x7f800000, v11, vcc_lo
	v_cmp_nlt_f32_e32 vcc_lo, 0x42b17218, v10
	v_cndmask_b32_e32 v12, 0x7f800000, v12, vcc_lo
	v_cmp_le_f32_e32 vcc_lo, 0xc1a00000, v9
	v_cndmask_b32_e32 v9, 0, v11, vcc_lo
	v_cmp_le_f32_e32 vcc_lo, 0xc1a00000, v10
	v_cndmask_b32_e32 v10, 0, v12, vcc_lo
	s_waitcnt vmcnt(0)
	v_mul_f32_e32 v8, v8, v9
	v_mul_f32_e32 v9, s7, v9
	v_fmac_f32_e32 v8, v5, v10
	v_fmac_f32_e32 v9, v4, v10
	s_cbranch_execz .LBB16_19
.LBB16_17:                              ;   in Loop: Header=BB16_9 Depth=1
	s_andn2_b32 vcc_lo, exec_lo, s5
	s_cbranch_vccnz .LBB16_20
	s_branch .LBB16_23
.LBB16_18:                              ;   in Loop: Header=BB16_9 Depth=1
	s_andn2_b32 vcc_lo, exec_lo, s6
	s_cbranch_vccnz .LBB16_17
.LBB16_19:                              ;   in Loop: Header=BB16_9 Depth=1
	v_mov_b32_e32 v9, v4
	v_mov_b32_e32 v7, v6
	s_waitcnt vmcnt(0)
	v_mov_b32_e32 v8, v5
	s_add_i32 s1, s17, -1
	s_mov_b32 s20, s10
	s_cbranch_execz .LBB16_23
.LBB16_20:                              ;   in Loop: Header=BB16_9 Depth=1
	v_mov_b32_e32 v4, v9
	v_mov_b32_e32 v6, v7
	s_waitcnt vmcnt(0)
	v_mov_b32_e32 v5, v8
	s_mov_b32 s10, s20
	s_mov_b32 s17, s1
	s_branch .LBB16_9
.LBB16_21:
                                        ; implicit-def: $sgpr10_sgpr11
	s_load_dwordx4 s[12:15], s[4:5], 0x44
	s_branch .LBB16_2
.LBB16_22:
                                        ; implicit-def: $sgpr18_sgpr19
	s_branch .LBB16_5
.LBB16_23:
	v_div_scale_f32 v0, null, v9, v9, v8
	v_rcp_f32_e32 v3, v0
	v_fma_f32 v4, -v0, v3, 1.0
	v_fmac_f32_e32 v3, v4, v3
	v_div_scale_f32 v4, vcc_lo, v8, v9, v8
	s_waitcnt vmcnt(0)
	v_mul_f32_e32 v5, v4, v3
	v_fma_f32 v6, -v0, v5, v4
	v_fmac_f32_e32 v5, v6, v3
	v_fma_f32 v0, -v0, v5, v4
	v_div_fmas_f32 v0, v0, v3, v5
	v_div_fixup_f32 v0, v0, v9, v8
	global_store_dword v[1:2], v0, off
.LBB16_24:
	s_endpgm
	.section	.rodata,"a",@progbits
	.p2align	6, 0x0
	.amdhsa_kernel _ZL33flash_attn_stream_k_fixup_generalILi112ELi1ELi8EEvPfPK15HIP_vector_typeIfLj2EEiiiiS1_IjLj3EES5_S5_S5_
		.amdhsa_group_segment_fixed_size 0
		.amdhsa_private_segment_fixed_size 0
		.amdhsa_kernarg_size 336
		.amdhsa_user_sgpr_count 6
		.amdhsa_user_sgpr_private_segment_buffer 1
		.amdhsa_user_sgpr_dispatch_ptr 0
		.amdhsa_user_sgpr_queue_ptr 0
		.amdhsa_user_sgpr_kernarg_segment_ptr 1
		.amdhsa_user_sgpr_dispatch_id 0
		.amdhsa_user_sgpr_flat_scratch_init 0
		.amdhsa_user_sgpr_private_segment_size 0
		.amdhsa_wavefront_size32 1
		.amdhsa_uses_dynamic_stack 0
		.amdhsa_system_sgpr_private_segment_wavefront_offset 0
		.amdhsa_system_sgpr_workgroup_id_x 1
		.amdhsa_system_sgpr_workgroup_id_y 1
		.amdhsa_system_sgpr_workgroup_id_z 1
		.amdhsa_system_sgpr_workgroup_info 0
		.amdhsa_system_vgpr_workitem_id 0
		.amdhsa_next_free_vgpr 17
		.amdhsa_next_free_sgpr 31
		.amdhsa_reserve_vcc 1
		.amdhsa_reserve_flat_scratch 0
		.amdhsa_float_round_mode_32 0
		.amdhsa_float_round_mode_16_64 0
		.amdhsa_float_denorm_mode_32 3
		.amdhsa_float_denorm_mode_16_64 3
		.amdhsa_dx10_clamp 1
		.amdhsa_ieee_mode 1
		.amdhsa_fp16_overflow 0
		.amdhsa_workgroup_processor_mode 1
		.amdhsa_memory_ordered 1
		.amdhsa_forward_progress 1
		.amdhsa_shared_vgpr_count 0
		.amdhsa_exception_fp_ieee_invalid_op 0
		.amdhsa_exception_fp_denorm_src 0
		.amdhsa_exception_fp_ieee_div_zero 0
		.amdhsa_exception_fp_ieee_overflow 0
		.amdhsa_exception_fp_ieee_underflow 0
		.amdhsa_exception_fp_ieee_inexact 0
		.amdhsa_exception_int_div_zero 0
	.end_amdhsa_kernel
	.section	.text._ZL33flash_attn_stream_k_fixup_generalILi112ELi1ELi8EEvPfPK15HIP_vector_typeIfLj2EEiiiiS1_IjLj3EES5_S5_S5_,"axG",@progbits,_ZL33flash_attn_stream_k_fixup_generalILi112ELi1ELi8EEvPfPK15HIP_vector_typeIfLj2EEiiiiS1_IjLj3EES5_S5_S5_,comdat
.Lfunc_end16:
	.size	_ZL33flash_attn_stream_k_fixup_generalILi112ELi1ELi8EEvPfPK15HIP_vector_typeIfLj2EEiiiiS1_IjLj3EES5_S5_S5_, .Lfunc_end16-_ZL33flash_attn_stream_k_fixup_generalILi112ELi1ELi8EEvPfPK15HIP_vector_typeIfLj2EEiiiiS1_IjLj3EES5_S5_S5_
                                        ; -- End function
	.set _ZL33flash_attn_stream_k_fixup_generalILi112ELi1ELi8EEvPfPK15HIP_vector_typeIfLj2EEiiiiS1_IjLj3EES5_S5_S5_.num_vgpr, 17
	.set _ZL33flash_attn_stream_k_fixup_generalILi112ELi1ELi8EEvPfPK15HIP_vector_typeIfLj2EEiiiiS1_IjLj3EES5_S5_S5_.num_agpr, 0
	.set _ZL33flash_attn_stream_k_fixup_generalILi112ELi1ELi8EEvPfPK15HIP_vector_typeIfLj2EEiiiiS1_IjLj3EES5_S5_S5_.numbered_sgpr, 31
	.set _ZL33flash_attn_stream_k_fixup_generalILi112ELi1ELi8EEvPfPK15HIP_vector_typeIfLj2EEiiiiS1_IjLj3EES5_S5_S5_.num_named_barrier, 0
	.set _ZL33flash_attn_stream_k_fixup_generalILi112ELi1ELi8EEvPfPK15HIP_vector_typeIfLj2EEiiiiS1_IjLj3EES5_S5_S5_.private_seg_size, 0
	.set _ZL33flash_attn_stream_k_fixup_generalILi112ELi1ELi8EEvPfPK15HIP_vector_typeIfLj2EEiiiiS1_IjLj3EES5_S5_S5_.uses_vcc, 1
	.set _ZL33flash_attn_stream_k_fixup_generalILi112ELi1ELi8EEvPfPK15HIP_vector_typeIfLj2EEiiiiS1_IjLj3EES5_S5_S5_.uses_flat_scratch, 0
	.set _ZL33flash_attn_stream_k_fixup_generalILi112ELi1ELi8EEvPfPK15HIP_vector_typeIfLj2EEiiiiS1_IjLj3EES5_S5_S5_.has_dyn_sized_stack, 0
	.set _ZL33flash_attn_stream_k_fixup_generalILi112ELi1ELi8EEvPfPK15HIP_vector_typeIfLj2EEiiiiS1_IjLj3EES5_S5_S5_.has_recursion, 0
	.set _ZL33flash_attn_stream_k_fixup_generalILi112ELi1ELi8EEvPfPK15HIP_vector_typeIfLj2EEiiiiS1_IjLj3EES5_S5_S5_.has_indirect_call, 0
	.section	.AMDGPU.csdata,"",@progbits
; Kernel info:
; codeLenInByte = 2944
; TotalNumSgprs: 33
; NumVgprs: 17
; ScratchSize: 0
; MemoryBound: 0
; FloatMode: 240
; IeeeMode: 1
; LDSByteSize: 0 bytes/workgroup (compile time only)
; SGPRBlocks: 0
; VGPRBlocks: 2
; NumSGPRsForWavesPerEU: 33
; NumVGPRsForWavesPerEU: 17
; Occupancy: 16
; WaveLimiterHint : 0
; COMPUTE_PGM_RSRC2:SCRATCH_EN: 0
; COMPUTE_PGM_RSRC2:USER_SGPR: 6
; COMPUTE_PGM_RSRC2:TRAP_HANDLER: 0
; COMPUTE_PGM_RSRC2:TGID_X_EN: 1
; COMPUTE_PGM_RSRC2:TGID_Y_EN: 1
; COMPUTE_PGM_RSRC2:TGID_Z_EN: 1
; COMPUTE_PGM_RSRC2:TIDIG_COMP_CNT: 0
	.section	.text._ZL15flash_attn_tileILi112ELi112ELi16ELi4ELb0EEvPKcS1_S1_S1_S1_PKiPfP15HIP_vector_typeIfLj2EEffffjfiS5_IjLj3EEiiiiiiiiiiiliiliiiiil,"axG",@progbits,_ZL15flash_attn_tileILi112ELi112ELi16ELi4ELb0EEvPKcS1_S1_S1_S1_PKiPfP15HIP_vector_typeIfLj2EEffffjfiS5_IjLj3EEiiiiiiiiiiiliiliiiiil,comdat
	.globl	_ZL15flash_attn_tileILi112ELi112ELi16ELi4ELb0EEvPKcS1_S1_S1_S1_PKiPfP15HIP_vector_typeIfLj2EEffffjfiS5_IjLj3EEiiiiiiiiiiiliiliiiiil ; -- Begin function _ZL15flash_attn_tileILi112ELi112ELi16ELi4ELb0EEvPKcS1_S1_S1_S1_PKiPfP15HIP_vector_typeIfLj2EEffffjfiS5_IjLj3EEiiiiiiiiiiiliiliiiiil
	.p2align	8
	.type	_ZL15flash_attn_tileILi112ELi112ELi16ELi4ELb0EEvPKcS1_S1_S1_S1_PKiPfP15HIP_vector_typeIfLj2EEffffjfiS5_IjLj3EEiiiiiiiiiiiliiliiiiil,@function
_ZL15flash_attn_tileILi112ELi112ELi16ELi4ELb0EEvPKcS1_S1_S1_S1_PKiPfP15HIP_vector_typeIfLj2EEffffjfiS5_IjLj3EEiiiiiiiiiiiliiliiiiil: ; @_ZL15flash_attn_tileILi112ELi112ELi16ELi4ELb0EEvPKcS1_S1_S1_S1_PKiPfP15HIP_vector_typeIfLj2EEffffjfiS5_IjLj3EEiiiiiiiiiiiliiliiiiil
; %bb.0:
	s_clause 0x1
	s_load_dwordx4 s[24:27], s[4:5], 0x5c
	s_load_dwordx2 s[34:35], s[4:5], 0x80
	s_mov_b32 s28, s7
	s_mov_b64 s[52:53], 0
	s_waitcnt lgkmcnt(0)
	s_ashr_i32 s0, s27, 31
	s_lshr_b32 s0, s0, 30
	s_add_i32 s0, s27, s0
	s_ashr_i32 s0, s0, 2
	v_cvt_f32_u32_e32 v2, s0
	s_sub_i32 s2, 0, s0
	v_rcp_iflag_f32_e32 v2, v2
	v_mul_f32_e32 v2, 0x4f7ffffe, v2
	v_cvt_u32_f32_e32 v2, v2
	v_readfirstlane_b32 s1, v2
	s_mul_i32 s2, s2, s1
	s_mul_hi_u32 s2, s1, s2
	s_add_i32 s1, s1, s2
	s_mul_hi_u32 s1, s8, s1
	s_mul_i32 s2, s1, s0
	s_add_i32 s3, s1, 1
	s_sub_i32 s2, s8, s2
	s_sub_i32 s7, s2, s0
	s_cmp_ge_u32 s2, s0
	s_cselect_b32 s1, s3, s1
	s_cselect_b32 s2, s7, s2
	s_add_i32 s3, s1, 1
	s_cmp_ge_u32 s2, s0
	s_cselect_b32 s33, s3, s1
	s_abs_i32 s0, s35
	s_lshl_b32 s3, s8, 2
	v_cvt_f32_u32_e32 v2, s0
	s_sub_i32 s2, 0, s0
	s_abs_i32 s8, s27
	s_mul_i32 s7, s33, s27
	v_rcp_iflag_f32_e32 v2, v2
	s_sub_i32 s30, s3, s7
	v_mul_f32_e32 v2, 0x4f7ffffe, v2
	v_cvt_u32_f32_e32 v2, v2
	v_readfirstlane_b32 s1, v2
	s_mul_i32 s2, s2, s1
	s_mul_hi_u32 s2, s1, s2
	s_add_i32 s1, s1, s2
	s_xor_b32 s2, s27, s35
	s_mul_hi_u32 s1, s8, s1
	s_ashr_i32 s2, s2, 31
	s_mul_i32 s3, s1, s0
	s_add_i32 s7, s1, 1
	s_sub_i32 s3, s8, s3
	s_sub_i32 s8, s3, s0
	s_cmp_ge_u32 s3, s0
	s_cselect_b32 s1, s7, s1
	s_cselect_b32 s3, s8, s3
	s_add_i32 s7, s1, 1
	s_cmp_ge_u32 s3, s0
	s_cselect_b32 s0, s7, s1
	s_xor_b32 s0, s0, s2
	s_sub_i32 s12, s0, s2
	s_clause 0x1
	s_load_dwordx16 s[36:51], s[4:5], 0x0
	s_load_dwordx2 s[0:1], s[4:5], 0xb8
	s_abs_i32 s7, s12
	v_cvt_f32_u32_e32 v2, s7
	v_rcp_iflag_f32_e32 v2, v2
	v_mul_f32_e32 v2, 0x4f7ffffe, v2
	s_waitcnt lgkmcnt(0)
	s_cmp_eq_u64 s[42:43], 0
	v_cvt_u32_f32_e32 v2, v2
	v_readfirstlane_b32 s13, v2
	s_cbranch_scc1 .LBB17_2
; %bb.1:
	s_abs_i32 s0, s0
	s_abs_i32 s8, s33
	v_cvt_f32_u32_e32 v2, s0
	s_sub_i32 s3, 0, s0
	v_rcp_iflag_f32_e32 v2, v2
	v_mul_f32_e32 v2, 0x4f7ffffe, v2
	v_cvt_u32_f32_e32 v2, v2
	v_readfirstlane_b32 s2, v2
	s_mul_i32 s3, s3, s2
	s_mul_hi_u32 s3, s2, s3
	s_add_i32 s2, s2, s3
	s_mul_hi_u32 s9, s8, s2
	s_load_dwordx2 s[2:3], s[4:5], 0xc8
	s_mul_i32 s9, s9, s0
	s_sub_i32 s8, s8, s9
	s_ashr_i32 s9, s33, 31
	s_sub_i32 s10, s8, s0
	s_cmp_ge_u32 s8, s0
	s_cselect_b32 s8, s10, s8
	s_sub_i32 s10, s8, s0
	s_cmp_ge_u32 s8, s0
	s_cselect_b32 s0, s10, s8
	s_xor_b32 s0, s0, s9
	s_sub_i32 s0, s0, s9
	s_ashr_i32 s8, s0, 31
	s_waitcnt lgkmcnt(0)
	s_mul_hi_u32 s9, s2, s0
	s_mul_i32 s8, s2, s8
	s_mul_i32 s3, s3, s0
	s_add_i32 s8, s9, s8
	s_mul_i32 s0, s2, s0
	s_add_i32 s8, s8, s3
	s_add_u32 s52, s42, s0
	s_addc_u32 s53, s43, s8
.LBB17_2:
	s_clause 0x1
	s_load_dwordx4 s[16:19], s[4:5], 0x70
	s_load_dword s10, s[4:5], 0x40
	v_lshlrev_b32_e32 v106, 2, v0
	s_lshl_b32 s29, s6, 4
	v_cmp_gt_u32_e64 s0, 28, v0
	v_lshlrev_b32_e32 v125, 3, v0
	v_lshl_add_u32 v2, v1, 1, s29
	v_lshlrev_b32_e32 v4, 2, v106
	s_waitcnt lgkmcnt(0)
	s_mul_i32 s3, s33, s18
	s_mul_i32 s8, s30, s17
	s_ashr_i32 s9, s3, 31
	s_add_u32 s3, s36, s3
	s_addc_u32 s9, s37, s9
	s_ashr_i32 s14, s8, 31
	s_add_u32 s11, s3, s8
	s_mov_b32 s2, s17
	s_addc_u32 s14, s9, s14
	s_ashr_i32 s3, s17, 31
	s_ashr_i32 s17, s16, 31
	s_lshr_b64 s[8:9], s[2:3], 2
	s_lshr_b64 s[2:3], s[16:17], 2
	s_mul_i32 s15, s9, 12
	s_mul_hi_u32 s16, s8, 12
	s_mul_i32 s17, s8, 12
	s_and_saveexec_b32 s18, s0
	s_cbranch_execz .LBB17_4
; %bb.3:
	v_mul_hi_u32 v3, v2, s24
	s_lshl_b64 s[20:21], s[8:9], 2
	s_add_u32 s19, s11, s20
	s_addc_u32 s22, s14, s21
	s_lshl_b64 s[20:21], s[8:9], 3
	s_add_u32 s20, s11, s20
	v_add_nc_u32_e32 v3, v2, v3
	s_addc_u32 s21, s14, s21
	s_add_i32 s23, s16, s15
	s_add_u32 s31, s11, s17
	s_addc_u32 s23, s14, s23
	v_lshrrev_b32_e32 v3, s25, v3
	v_mul_lo_u32 v3, v3, s26
	v_sub_nc_u32_e32 v7, v2, v3
	v_mad_u64_u32 v[5:6], null, s2, v7, 0
	v_mov_b32_e32 v3, v6
	v_mad_u64_u32 v[6:7], null, s3, v7, v[3:4]
	v_lshlrev_b64 v[5:6], 2, v[5:6]
	v_add_co_u32 v3, vcc_lo, s11, v5
	v_add_co_ci_u32_e64 v7, null, s14, v6, vcc_lo
	v_add_co_u32 v8, vcc_lo, s19, v5
	v_add_co_ci_u32_e64 v10, null, s22, v6, vcc_lo
	;; [unrolled: 2-line block ×8, first 2 shown]
	s_clause 0x3
	global_load_dwordx4 v[5:8], v[5:6], off
	global_load_dwordx4 v[9:12], v[9:10], off
	;; [unrolled: 1-line block ×4, first 2 shown]
	v_mad_u32_u24 v3, 0x700, v1, v125
	s_waitcnt vmcnt(3)
	v_fma_mixlo_f16 v5, s10, v5, 0
	v_fma_mixlo_f16 v6, s10, v6, 0
	;; [unrolled: 1-line block ×4, first 2 shown]
	s_waitcnt vmcnt(2)
	v_fma_mixlo_f16 v9, s10, v9, 0
	v_fma_mixlo_f16 v10, s10, v10, 0
	v_fma_mixlo_f16 v11, s10, v11, 0
	v_fma_mixlo_f16 v12, s10, v12, 0
	s_waitcnt vmcnt(1)
	v_fma_mixlo_f16 v13, s10, v13, 0
	v_fma_mixlo_f16 v14, s10, v14, 0
	s_waitcnt vmcnt(0)
	v_fma_mixlo_f16 v17, s10, v17, 0
	v_fma_mixlo_f16 v18, s10, v18, 0
	v_lshlrev_b32_e32 v6, 16, v6
	v_and_b32_e32 v5, 0xffff, v5
	v_lshlrev_b32_e32 v8, 16, v8
	v_and_b32_e32 v7, 0xffff, v7
	v_lshlrev_b32_e32 v10, 16, v10
	v_and_b32_e32 v9, 0xffff, v9
	v_fma_mixlo_f16 v15, s10, v15, 0
	v_fma_mixlo_f16 v16, s10, v16, 0
	;; [unrolled: 1-line block ×4, first 2 shown]
	v_lshlrev_b32_e32 v12, 16, v12
	v_and_b32_e32 v11, 0xffff, v11
	v_lshlrev_b32_e32 v14, 16, v14
	v_and_b32_e32 v13, 0xffff, v13
	;; [unrolled: 2-line block ×3, first 2 shown]
	v_or_b32_e32 v5, v6, v5
	v_or3_b32 v6, v8, v7, 0
	v_or_b32_e32 v7, v10, v9
	v_lshlrev_b32_e32 v16, 16, v16
	v_and_b32_e32 v15, 0xffff, v15
	v_lshlrev_b32_e32 v20, 16, v20
	v_and_b32_e32 v19, 0xffff, v19
	v_or3_b32 v8, v12, v11, 0
	v_or_b32_e32 v9, v14, v13
	v_or_b32_e32 v11, v18, v17
	v_or3_b32 v5, 0, 0, v5
	v_or3_b32 v7, 0, 0, v7
	v_or3_b32 v10, v16, v15, 0
	v_or3_b32 v12, v20, v19, 0
	v_or3_b32 v9, 0, 0, v9
	v_or3_b32 v11, 0, 0, v11
	ds_write2_b64 v3, v[5:6], v[7:8] offset1:28
	ds_write2_b64 v3, v[9:10], v[11:12] offset0:56 offset1:84
.LBB17_4:
	s_or_b32 exec_lo, exec_lo, s18
	v_lshlrev_b32_e32 v3, 3, v1
	v_or_b32_e32 v5, 4, v3
	v_lshrrev_b32_e32 v122, 2, v5
	s_and_saveexec_b32 s18, s0
	s_cbranch_execnz .LBB17_14
; %bb.5:
	s_or_b32 exec_lo, exec_lo, s18
	v_or_b32_e32 v121, 5, v3
	s_and_saveexec_b32 s18, s0
	s_cbranch_execnz .LBB17_15
.LBB17_6:
	s_or_b32 exec_lo, exec_lo, s18
	v_or_b32_e32 v120, 6, v3
	s_and_saveexec_b32 s18, s0
	s_cbranch_execnz .LBB17_16
.LBB17_7:
	s_or_b32 exec_lo, exec_lo, s18
	v_or_b32_e32 v119, 7, v3
	s_and_saveexec_b32 s8, s0
	s_cbranch_execz .LBB17_9
.LBB17_8:
	v_lshrrev_b32_e32 v5, 2, v119
	s_add_i32 s16, s16, s15
	v_mad_u32_u24 v8, 0xe0, v119, v125
	v_add_nc_u32_e32 v5, s29, v5
	v_mul_hi_u32 v6, v5, s24
	v_add_nc_u32_e32 v6, v5, v6
	v_lshrrev_b32_e32 v6, s25, v6
	v_mul_lo_u32 v6, v6, s26
	v_sub_nc_u32_e32 v7, v5, v6
	v_mad_u64_u32 v[5:6], null, s2, v7, 0
	s_add_u32 s2, s11, s17
	v_mad_u64_u32 v[6:7], null, s3, v7, v[6:7]
	s_addc_u32 s3, s14, s16
	v_lshlrev_b64 v[5:6], 2, v[5:6]
	v_add_co_u32 v5, vcc_lo, s2, v5
	v_add_co_ci_u32_e64 v6, null, s3, v6, vcc_lo
	v_add_co_u32 v4, vcc_lo, v5, v4
	v_add_co_ci_u32_e64 v5, null, 0, v6, vcc_lo
	global_load_dwordx4 v[4:7], v[4:5], off
	s_waitcnt vmcnt(0)
	v_fma_mixlo_f16 v5, s10, v5, 0
	v_fma_mixlo_f16 v4, s10, v4, 0
	;; [unrolled: 1-line block ×4, first 2 shown]
	v_lshlrev_b32_e32 v5, 16, v5
	v_and_b32_e32 v4, 0xffff, v4
	v_and_b32_e32 v6, 0xffff, v6
	v_lshlrev_b32_e32 v7, 16, v7
	v_or_b32_e32 v4, v5, v4
	v_or3_b32 v5, v7, v6, 0
	v_or3_b32 v4, 0, 0, v4
	ds_write_b64 v8, v[4:5]
.LBB17_9:
	s_or_b32 exec_lo, exec_lo, s8
	s_cmp_eq_u64 s[46:47], 0
	s_waitcnt lgkmcnt(0)
	s_barrier
	buffer_gl0_inv
	s_cbranch_scc1 .LBB17_11
; %bb.10:
	s_load_dword s2, s[4:5], 0xd0
	s_mov_b32 s3, 0
	s_waitcnt lgkmcnt(0)
	s_mul_i32 s2, s2, s33
	s_add_i32 s2, s2, s6
	s_lshl_b64 s[2:3], s[2:3], 2
	s_add_u32 s2, s46, s2
	s_addc_u32 s3, s47, s3
	s_load_dword s34, s[2:3], 0x0
.LBB17_11:
	v_mbcnt_lo_u32_b32 v135, -1, 0
	s_lshl_b32 s31, s28, 5
	s_waitcnt lgkmcnt(0)
	s_cmp_lt_i32 s31, s34
	s_cbranch_scc1 .LBB17_17
; %bb.12:
	v_mbcnt_lo_u32_b32 v10, -1, 0
	v_mov_b32_e32 v134, 32
	v_xor_b32_e32 v166, 16, v10
	v_xor_b32_e32 v167, 8, v10
	;; [unrolled: 1-line block ×5, first 2 shown]
	s_cbranch_execz .LBB17_18
; %bb.13:
	v_mov_b32_e32 v143, 0
	v_mov_b32_e32 v171, 0
	;; [unrolled: 1-line block ×32, first 2 shown]
	s_branch .LBB17_46
.LBB17_14:
	v_add_nc_u32_e32 v6, s29, v122
	v_mad_u32_u24 v10, 0xe0, v5, v125
	v_mul_hi_u32 v7, v6, s24
	v_add_nc_u32_e32 v7, v6, v7
	v_lshrrev_b32_e32 v7, s25, v7
	v_mul_lo_u32 v7, v7, s26
	v_sub_nc_u32_e32 v8, v6, v7
	v_mad_u64_u32 v[6:7], null, s2, v8, 0
	v_mad_u64_u32 v[7:8], null, s3, v8, v[7:8]
	v_lshlrev_b64 v[6:7], 2, v[6:7]
	v_add_co_u32 v6, vcc_lo, s11, v6
	v_add_co_ci_u32_e64 v7, null, s14, v7, vcc_lo
	v_add_co_u32 v6, vcc_lo, v6, v4
	v_add_co_ci_u32_e64 v7, null, 0, v7, vcc_lo
	global_load_dwordx4 v[6:9], v[6:7], off
	s_waitcnt vmcnt(0)
	v_fma_mixlo_f16 v7, s10, v7, 0
	v_fma_mixlo_f16 v6, s10, v6, 0
	;; [unrolled: 1-line block ×4, first 2 shown]
	v_lshlrev_b32_e32 v7, 16, v7
	v_and_b32_e32 v6, 0xffff, v6
	v_and_b32_e32 v8, 0xffff, v8
	v_lshlrev_b32_e32 v9, 16, v9
	v_or_b32_e32 v7, v7, v6
	v_or3_b32 v6, v9, v8, 0
	v_or3_b32 v5, 0, 0, v7
	ds_write_b64 v10, v[5:6]
	s_or_b32 exec_lo, exec_lo, s18
	v_or_b32_e32 v121, 5, v3
	s_and_saveexec_b32 s18, s0
	s_cbranch_execz .LBB17_6
.LBB17_15:
	v_lshrrev_b32_e32 v5, 2, v121
	s_lshl_b64 s[20:21], s[8:9], 2
	v_mad_u32_u24 v9, 0xe0, v121, v125
	s_add_u32 s19, s11, s20
	s_addc_u32 s20, s14, s21
	v_add_nc_u32_e32 v5, s29, v5
	v_mul_hi_u32 v6, v5, s24
	v_add_nc_u32_e32 v6, v5, v6
	v_lshrrev_b32_e32 v6, s25, v6
	v_mul_lo_u32 v6, v6, s26
	v_sub_nc_u32_e32 v7, v5, v6
	v_mad_u64_u32 v[5:6], null, s2, v7, 0
	v_mad_u64_u32 v[6:7], null, s3, v7, v[6:7]
	v_lshlrev_b64 v[5:6], 2, v[5:6]
	v_add_co_u32 v5, vcc_lo, s19, v5
	v_add_co_ci_u32_e64 v6, null, s20, v6, vcc_lo
	v_add_co_u32 v5, vcc_lo, v5, v4
	v_add_co_ci_u32_e64 v6, null, 0, v6, vcc_lo
	global_load_dwordx4 v[5:8], v[5:6], off
	s_waitcnt vmcnt(0)
	v_fma_mixlo_f16 v6, s10, v6, 0
	v_fma_mixlo_f16 v5, s10, v5, 0
	;; [unrolled: 1-line block ×4, first 2 shown]
	v_lshlrev_b32_e32 v6, 16, v6
	v_and_b32_e32 v5, 0xffff, v5
	v_and_b32_e32 v7, 0xffff, v7
	v_lshlrev_b32_e32 v8, 16, v8
	v_or_b32_e32 v5, v6, v5
	v_or3_b32 v6, v8, v7, 0
	v_or3_b32 v5, 0, 0, v5
	ds_write_b64 v9, v[5:6]
	s_or_b32 exec_lo, exec_lo, s18
	v_or_b32_e32 v120, 6, v3
	s_and_saveexec_b32 s18, s0
	s_cbranch_execz .LBB17_7
.LBB17_16:
	v_lshrrev_b32_e32 v5, 2, v120
	s_lshl_b64 s[8:9], s[8:9], 3
	v_mad_u32_u24 v9, 0xe0, v120, v125
	s_add_u32 s8, s11, s8
	s_addc_u32 s9, s14, s9
	v_add_nc_u32_e32 v5, s29, v5
	v_mul_hi_u32 v6, v5, s24
	v_add_nc_u32_e32 v6, v5, v6
	v_lshrrev_b32_e32 v6, s25, v6
	v_mul_lo_u32 v6, v6, s26
	v_sub_nc_u32_e32 v7, v5, v6
	v_mad_u64_u32 v[5:6], null, s2, v7, 0
	v_mad_u64_u32 v[6:7], null, s3, v7, v[6:7]
	v_lshlrev_b64 v[5:6], 2, v[5:6]
	v_add_co_u32 v5, vcc_lo, s8, v5
	v_add_co_ci_u32_e64 v6, null, s9, v6, vcc_lo
	v_add_co_u32 v5, vcc_lo, v5, v4
	v_add_co_ci_u32_e64 v6, null, 0, v6, vcc_lo
	global_load_dwordx4 v[5:8], v[5:6], off
	s_waitcnt vmcnt(0)
	v_fma_mixlo_f16 v6, s10, v6, 0
	v_fma_mixlo_f16 v5, s10, v5, 0
	;; [unrolled: 1-line block ×4, first 2 shown]
	v_lshlrev_b32_e32 v6, 16, v6
	v_and_b32_e32 v5, 0xffff, v5
	v_and_b32_e32 v7, 0xffff, v7
	v_lshlrev_b32_e32 v8, 16, v8
	v_or_b32_e32 v5, v6, v5
	v_or3_b32 v6, v8, v7, 0
	v_or3_b32 v5, 0, 0, v5
	ds_write_b64 v9, v[5:6]
	s_or_b32 exec_lo, exec_lo, s18
	v_or_b32_e32 v119, 7, v3
	s_and_saveexec_b32 s8, s0
	s_cbranch_execnz .LBB17_8
	s_branch .LBB17_9
.LBB17_17:
                                        ; implicit-def: $vgpr10
                                        ; implicit-def: $vgpr134
                                        ; implicit-def: $vgpr166
                                        ; implicit-def: $vgpr167
                                        ; implicit-def: $vgpr168
                                        ; implicit-def: $vgpr169
                                        ; implicit-def: $vgpr170
.LBB17_18:
	s_clause 0x1
	s_load_dwordx4 s[8:11], s[4:5], 0x98
	s_load_dwordx2 s[2:3], s[4:5], 0x8c
	v_lshrrev_b32_e32 v5, 1, v0
	v_lshrrev_b32_e32 v6, 2, v0
	v_add_nc_u32_e32 v8, 1, v2
	s_sub_i32 s6, 0, s7
	s_abs_i32 s16, s30
	s_mul_i32 s6, s6, s13
	v_lshl_add_u32 v9, v1, 4, v5
	v_add_nc_u32_e32 v10, v6, v3
	v_mul_hi_u32 v5, s24, v2
	v_mul_hi_u32 v6, s24, v8
	s_mul_hi_u32 s6, s13, s6
	v_lshl_add_u32 v4, v1, 5, v0
	s_add_i32 s13, s13, s6
	s_ashr_i32 s6, s1, 1
	s_mul_hi_u32 s1, s16, s13
	s_ashr_i32 s13, s33, 31
	v_lshlrev_b32_e32 v3, 7, v0
	v_add_nc_u32_e32 v5, v2, v5
	s_waitcnt lgkmcnt(0)
	s_ashr_i32 s35, s10, 2
	s_ashr_i32 s42, s2, 2
	s_mul_hi_u32 s2, s8, s33
	s_mul_i32 s10, s8, s13
	v_add_nc_u32_e32 v6, v8, v6
	s_mul_i32 s9, s9, s33
	s_add_i32 s2, s2, s10
	s_mul_i32 s8, s8, s33
	s_ashr_i32 s17, s30, 31
	s_ashr_i32 s12, s12, 31
	s_load_dwordx2 s[14:15], s[4:5], 0xa8
	s_mul_i32 s18, s1, s7
	s_add_i32 s2, s2, s9
	s_add_u32 s8, s38, s8
	v_cmp_gt_u32_e32 vcc_lo, 32, v4
	v_add_nc_u32_e32 v140, 0x3800, v3
	v_add_nc_u32_e32 v142, 0x3860, v3
	v_mul_lo_u32 v3, s42, v4
	v_lshrrev_b32_e32 v4, s25, v5
	v_lshrrev_b32_e32 v6, s25, v6
	s_addc_u32 s2, s39, s2
	s_sub_i32 s10, s16, s18
	s_xor_b32 s9, s17, s12
	s_add_i32 s12, s1, 1
	s_sub_i32 s16, s10, s7
	s_cmp_ge_u32 s10, s7
	v_mul_lo_u32 v12, v4, s26
	v_mul_lo_u32 v13, v6, s26
	s_cselect_b32 s1, s12, s1
	s_cselect_b32 s10, s16, s10
	s_add_i32 s12, s1, 1
	v_and_b32_e32 v17, 4, v106
	v_and_b32_e32 v18, 12, v106
	s_cmp_ge_u32 s10, s7
	v_sub_nc_u32_e32 v2, v2, v12
	s_cselect_b32 s1, s12, s1
	v_lshlrev_b32_e32 v11, 2, v17
	s_xor_b32 s1, s1, s9
	v_lshlrev_b32_e32 v14, 2, v18
	v_sub_nc_u32_e32 v12, v8, v13
	v_lshrrev_b32_e32 v13, 3, v0
	s_sub_i32 s1, s1, s9
	v_lshl_or_b32 v7, v9, 7, v11
	s_mul_i32 s3, s1, s3
	v_lshl_or_b32 v15, v10, 7, v14
	v_mul_lo_u32 v147, v12, s6
	v_lshl_add_u32 v12, v1, 2, v13
	v_mul_u32_u24_e32 v13, 0xe0, v9
	s_waitcnt lgkmcnt(0)
	s_mul_hi_u32 s7, s14, s33
	s_mul_i32 s10, s14, s13
	s_ashr_i32 s13, s3, 31
	s_add_u32 s38, s8, s3
	s_mul_i32 s9, s15, s33
	s_addc_u32 s39, s2, s13
	s_add_i32 s2, s7, s10
	s_mul_i32 s12, s14, s33
	s_mul_i32 s1, s1, s11
	s_add_i32 s2, s2, s9
	v_mul_lo_u32 v5, s42, v9
	v_add_nc_u32_e32 v144, 0x3840, v7
	v_mul_lo_u32 v7, s42, v10
	v_add_nc_u32_e32 v145, 0x3800, v15
	v_or_b32_e32 v16, v13, v11
	v_mul_lo_u32 v11, s35, v9
	v_mul_lo_u32 v13, s35, v10
	v_mul_lo_u32 v15, s35, v12
	s_add_u32 s3, s40, s12
	s_addc_u32 s8, s41, s2
	s_ashr_i32 s9, s1, 31
	s_add_u32 s40, s3, s1
	v_cmp_gt_u32_e64 s1, 32, v9
	v_cmp_gt_u32_e64 s3, 16, v9
	v_mul_u32_u24_e32 v9, 0xe0, v10
	v_and_b32_e32 v150, 28, v106
	v_cmp_gt_u32_e64 s2, 32, v10
	v_ashrrev_i32_e32 v4, 31, v3
	v_ashrrev_i32_e32 v6, 31, v5
	;; [unrolled: 1-line block ×3, first 2 shown]
	v_mul_lo_u32 v146, v2, s6
	v_cmp_gt_u32_e64 s6, 16, v10
	v_cmp_gt_u32_e64 s7, 16, v12
	v_mul_u32_u24_e32 v10, 0xe0, v12
	v_add_nc_u32_e32 v151, 0x38c0, v16
	v_ashrrev_i32_e32 v12, 31, v11
	v_add3_u32 v152, v9, v14, 0x3880
	v_ashrrev_i32_e32 v14, 31, v13
	v_ashrrev_i32_e32 v16, 31, v15
	v_lshlrev_b32_e32 v2, 4, v0
	v_lshl_add_u32 v149, v1, 9, 0x4840
	v_lshlrev_b32_e32 v19, 2, v150
	v_lshlrev_b64 v[107:108], 2, v[3:4]
	v_lshlrev_b64 v[109:110], 2, v[5:6]
	;; [unrolled: 1-line block ×6, first 2 shown]
	v_mul_u32_u24_e32 v141, 0x700, v1
	v_mov_b32_e32 v123, 0
	v_add3_u32 v153, v10, v19, 0x3800
	v_mov_b32_e32 v10, 0xfeffffff
	v_mov_b32_e32 v134, 32
	v_add_nc_u32_e32 v154, v149, v2
	v_lshlrev_b32_e32 v155, 2, v17
	v_lshlrev_b32_e32 v156, 2, v18
	v_mov_b32_e32 v157, 0x10001
	v_mov_b32_e32 v124, 0
	;; [unrolled: 1-line block ×31, first 2 shown]
	s_addc_u32 s41, s8, s9
	s_add_u32 s36, s4, 0xd0
	s_addc_u32 s37, s5, 0
.LBB17_19:                              ; =>This Inner Loop Header: Depth=1
	s_mul_hi_i32 s9, s31, s42
	s_mul_i32 s8, s31, s42
	s_lshl_b64 s[10:11], s[8:9], 2
	s_add_u32 s9, s38, s10
	s_addc_u32 s10, s39, s11
	s_and_saveexec_b32 s11, vcc_lo
	s_cbranch_execnz .LBB17_37
; %bb.20:                               ;   in Loop: Header=BB17_19 Depth=1
	s_or_b32 exec_lo, exec_lo, s11
	s_and_saveexec_b32 s11, s1
	s_cbranch_execnz .LBB17_38
.LBB17_21:                              ;   in Loop: Header=BB17_19 Depth=1
	s_or_b32 exec_lo, exec_lo, s11
	s_and_saveexec_b32 s11, s2
	s_cbranch_execz .LBB17_23
.LBB17_22:                              ;   in Loop: Header=BB17_19 Depth=1
	v_add_co_u32 v2, s8, s9, v111
	v_add_co_ci_u32_e64 v3, null, s10, v112, s8
	v_add_co_u32 v2, s8, v2, v156
	v_add_co_ci_u32_e64 v3, null, 0, v3, s8
	global_load_dwordx4 v[2:5], v[2:3], off
	s_waitcnt vmcnt(0)
	ds_write_b128 v145, v[2:5]
.LBB17_23:                              ;   in Loop: Header=BB17_19 Depth=1
	s_or_b32 exec_lo, exec_lo, s11
	s_waitcnt lgkmcnt(0)
	s_barrier
	buffer_gl0_inv
	ds_read_b128 v[18:21], v140
	ds_read_b128 v[22:25], v141
	ds_read_b128 v[26:29], v141 offset:224
	ds_read_b128 v[30:33], v141 offset:448
	ds_read_b128 v[34:37], v141 offset:672
	ds_read_b128 v[38:41], v141 offset:896
	ds_read_b128 v[42:45], v141 offset:1120
	ds_read_b128 v[46:49], v141 offset:1344
	ds_read_b128 v[50:53], v141 offset:1568
	v_mov_b32_e32 v2, 0
	v_mov_b32_e32 v3, 0
	;; [unrolled: 1-line block ×8, first 2 shown]
	s_waitcnt lgkmcnt(7)
	;;#ASMSTART
	v_dot2_f32_f16 v2, v18, v22, v2
	;;#ASMEND
	;;#ASMSTART
	v_dot2_f32_f16 v2, v19, v23, v2
	;;#ASMEND
	;;#ASMSTART
	v_dot2_f32_f16 v2, v20, v24, v2
	;;#ASMEND
	;;#ASMSTART
	v_dot2_f32_f16 v2, v21, v25, v2
	;;#ASMEND
	s_waitcnt lgkmcnt(6)
	;;#ASMSTART
	v_dot2_f32_f16 v3, v18, v26, v3
	;;#ASMEND
	;;#ASMSTART
	v_dot2_f32_f16 v3, v19, v27, v3
	;;#ASMEND
	;;#ASMSTART
	v_dot2_f32_f16 v3, v20, v28, v3
	;;#ASMEND
	;;#ASMSTART
	v_dot2_f32_f16 v3, v21, v29, v3
	;;#ASMEND
	;; [unrolled: 13-line block ×8, first 2 shown]
	ds_read_b128 v[18:21], v140 offset:16
	ds_read_b128 v[22:25], v141 offset:16
	ds_read_b128 v[26:29], v141 offset:240
	ds_read_b128 v[30:33], v141 offset:464
	ds_read_b128 v[34:37], v141 offset:688
	ds_read_b128 v[38:41], v141 offset:912
	ds_read_b128 v[42:45], v141 offset:1136
	ds_read_b128 v[46:49], v141 offset:1360
	ds_read_b128 v[50:53], v141 offset:1584
	s_waitcnt lgkmcnt(7)
	;;#ASMSTART
	v_dot2_f32_f16 v2, v18, v22, v2
	;;#ASMEND
	;;#ASMSTART
	v_dot2_f32_f16 v2, v19, v23, v2
	;;#ASMEND
	;;#ASMSTART
	v_dot2_f32_f16 v2, v20, v24, v2
	;;#ASMEND
	;;#ASMSTART
	v_dot2_f32_f16 v2, v21, v25, v2
	;;#ASMEND
	s_waitcnt lgkmcnt(6)
	;;#ASMSTART
	v_dot2_f32_f16 v3, v18, v26, v3
	;;#ASMEND
	;;#ASMSTART
	v_dot2_f32_f16 v3, v19, v27, v3
	;;#ASMEND
	;;#ASMSTART
	v_dot2_f32_f16 v3, v20, v28, v3
	;;#ASMEND
	;;#ASMSTART
	v_dot2_f32_f16 v3, v21, v29, v3
	;;#ASMEND
	;; [unrolled: 13-line block ×8, first 2 shown]
	ds_read_b128 v[18:21], v140 offset:32
	ds_read_b128 v[22:25], v141 offset:32
	;; [unrolled: 1-line block ×9, first 2 shown]
	s_waitcnt lgkmcnt(7)
	;;#ASMSTART
	v_dot2_f32_f16 v2, v18, v22, v2
	;;#ASMEND
	;;#ASMSTART
	v_dot2_f32_f16 v2, v19, v23, v2
	;;#ASMEND
	;;#ASMSTART
	v_dot2_f32_f16 v2, v20, v24, v2
	;;#ASMEND
	;;#ASMSTART
	v_dot2_f32_f16 v2, v21, v25, v2
	;;#ASMEND
	s_waitcnt lgkmcnt(6)
	;;#ASMSTART
	v_dot2_f32_f16 v3, v18, v26, v3
	;;#ASMEND
	;;#ASMSTART
	v_dot2_f32_f16 v3, v19, v27, v3
	;;#ASMEND
	;;#ASMSTART
	v_dot2_f32_f16 v3, v20, v28, v3
	;;#ASMEND
	;;#ASMSTART
	v_dot2_f32_f16 v3, v21, v29, v3
	;;#ASMEND
	;; [unrolled: 13-line block ×8, first 2 shown]
	ds_read_b128 v[18:21], v140 offset:48
	ds_read_b128 v[22:25], v141 offset:48
	;; [unrolled: 1-line block ×9, first 2 shown]
	s_waitcnt lgkmcnt(7)
	;;#ASMSTART
	v_dot2_f32_f16 v2, v18, v22, v2
	;;#ASMEND
	;;#ASMSTART
	v_dot2_f32_f16 v2, v19, v23, v2
	;;#ASMEND
	;;#ASMSTART
	v_dot2_f32_f16 v2, v20, v24, v2
	;;#ASMEND
	;;#ASMSTART
	v_dot2_f32_f16 v2, v21, v25, v2
	;;#ASMEND
	s_waitcnt lgkmcnt(6)
	;;#ASMSTART
	v_dot2_f32_f16 v3, v18, v26, v3
	;;#ASMEND
	;;#ASMSTART
	v_dot2_f32_f16 v3, v19, v27, v3
	;;#ASMEND
	;;#ASMSTART
	v_dot2_f32_f16 v3, v20, v28, v3
	;;#ASMEND
	;;#ASMSTART
	v_dot2_f32_f16 v3, v21, v29, v3
	;;#ASMEND
	;; [unrolled: 13-line block ×8, first 2 shown]
	ds_read_b128 v[18:21], v140 offset:64
	ds_read_b128 v[22:25], v141 offset:64
	ds_read_b128 v[26:29], v141 offset:288
	ds_read_b128 v[30:33], v141 offset:512
	ds_read_b128 v[34:37], v141 offset:736
	ds_read_b128 v[38:41], v141 offset:960
	ds_read_b128 v[42:45], v141 offset:1184
	ds_read_b128 v[46:49], v141 offset:1408
	ds_read_b128 v[50:53], v141 offset:1632
	s_waitcnt lgkmcnt(7)
	;;#ASMSTART
	v_dot2_f32_f16 v2, v18, v22, v2
	;;#ASMEND
	;;#ASMSTART
	v_dot2_f32_f16 v2, v19, v23, v2
	;;#ASMEND
	;;#ASMSTART
	v_dot2_f32_f16 v2, v20, v24, v2
	;;#ASMEND
	;;#ASMSTART
	v_dot2_f32_f16 v2, v21, v25, v2
	;;#ASMEND
	s_waitcnt lgkmcnt(6)
	;;#ASMSTART
	v_dot2_f32_f16 v3, v18, v26, v3
	;;#ASMEND
	;;#ASMSTART
	v_dot2_f32_f16 v3, v19, v27, v3
	;;#ASMEND
	;;#ASMSTART
	v_dot2_f32_f16 v3, v20, v28, v3
	;;#ASMEND
	;;#ASMSTART
	v_dot2_f32_f16 v3, v21, v29, v3
	;;#ASMEND
	;; [unrolled: 13-line block ×8, first 2 shown]
	ds_read_b128 v[18:21], v140 offset:80
	ds_read_b128 v[22:25], v141 offset:80
	;; [unrolled: 1-line block ×9, first 2 shown]
	s_waitcnt lgkmcnt(7)
	;;#ASMSTART
	v_dot2_f32_f16 v2, v18, v22, v2
	;;#ASMEND
	;;#ASMSTART
	v_dot2_f32_f16 v2, v19, v23, v2
	;;#ASMEND
	;;#ASMSTART
	v_dot2_f32_f16 v2, v20, v24, v2
	;;#ASMEND
	;;#ASMSTART
	v_dot2_f32_f16 v2, v21, v25, v2
	;;#ASMEND
	s_waitcnt lgkmcnt(6)
	;;#ASMSTART
	v_dot2_f32_f16 v3, v18, v26, v3
	;;#ASMEND
	;;#ASMSTART
	v_dot2_f32_f16 v3, v19, v27, v3
	;;#ASMEND
	;;#ASMSTART
	v_dot2_f32_f16 v3, v20, v28, v3
	;;#ASMEND
	;;#ASMSTART
	v_dot2_f32_f16 v3, v21, v29, v3
	;;#ASMEND
	s_waitcnt lgkmcnt(5)
	;;#ASMSTART
	v_dot2_f32_f16 v4, v18, v30, v4
	;;#ASMEND
	;;#ASMSTART
	v_dot2_f32_f16 v4, v19, v31, v4
	;;#ASMEND
	;;#ASMSTART
	v_dot2_f32_f16 v4, v20, v32, v4
	;;#ASMEND
	;;#ASMSTART
	v_dot2_f32_f16 v4, v21, v33, v4
	;;#ASMEND
	s_waitcnt lgkmcnt(4)
	;;#ASMSTART
	v_dot2_f32_f16 v5, v18, v34, v5
	;;#ASMEND
	;;#ASMSTART
	v_dot2_f32_f16 v5, v19, v35, v5
	;;#ASMEND
	;;#ASMSTART
	v_dot2_f32_f16 v5, v20, v36, v5
	;;#ASMEND
	;;#ASMSTART
	v_dot2_f32_f16 v5, v21, v37, v5
	;;#ASMEND
	s_waitcnt lgkmcnt(3)
	;;#ASMSTART
	v_dot2_f32_f16 v6, v18, v38, v6
	;;#ASMEND
	;;#ASMSTART
	v_dot2_f32_f16 v6, v19, v39, v6
	;;#ASMEND
	;;#ASMSTART
	v_dot2_f32_f16 v6, v20, v40, v6
	;;#ASMEND
	;;#ASMSTART
	v_dot2_f32_f16 v6, v21, v41, v6
	;;#ASMEND
	s_waitcnt lgkmcnt(2)
	;;#ASMSTART
	v_dot2_f32_f16 v7, v18, v42, v7
	;;#ASMEND
	;;#ASMSTART
	v_dot2_f32_f16 v7, v19, v43, v7
	;;#ASMEND
	;;#ASMSTART
	v_dot2_f32_f16 v7, v20, v44, v7
	;;#ASMEND
	;;#ASMSTART
	v_dot2_f32_f16 v7, v21, v45, v7
	;;#ASMEND
	s_waitcnt lgkmcnt(1)
	;;#ASMSTART
	v_dot2_f32_f16 v8, v18, v46, v8
	;;#ASMEND
	;;#ASMSTART
	v_dot2_f32_f16 v8, v19, v47, v8
	;;#ASMEND
	;;#ASMSTART
	v_dot2_f32_f16 v8, v20, v48, v8
	;;#ASMEND
	;;#ASMSTART
	v_dot2_f32_f16 v8, v21, v49, v8
	;;#ASMEND
	s_waitcnt lgkmcnt(0)
	;;#ASMSTART
	v_dot2_f32_f16 v9, v18, v50, v9
	;;#ASMEND
	;;#ASMSTART
	v_dot2_f32_f16 v9, v19, v51, v9
	;;#ASMEND
	;;#ASMSTART
	v_dot2_f32_f16 v9, v20, v52, v9
	;;#ASMEND
	;;#ASMSTART
	v_dot2_f32_f16 v9, v21, v53, v9
	;;#ASMEND
	ds_read_b128 v[18:21], v140 offset:96
	ds_read_b128 v[22:25], v141 offset:96
	;; [unrolled: 1-line block ×9, first 2 shown]
	s_waitcnt lgkmcnt(7)
	;;#ASMSTART
	v_dot2_f32_f16 v2, v18, v22, v2
	;;#ASMEND
	;;#ASMSTART
	v_dot2_f32_f16 v2, v19, v23, v2
	;;#ASMEND
	;;#ASMSTART
	v_dot2_f32_f16 v2, v20, v24, v2
	;;#ASMEND
	;;#ASMSTART
	v_dot2_f32_f16 v2, v21, v25, v2
	;;#ASMEND
	s_waitcnt lgkmcnt(6)
	;;#ASMSTART
	v_dot2_f32_f16 v3, v18, v26, v3
	;;#ASMEND
	;;#ASMSTART
	v_dot2_f32_f16 v3, v19, v27, v3
	;;#ASMEND
	;;#ASMSTART
	v_dot2_f32_f16 v3, v20, v28, v3
	;;#ASMEND
	;;#ASMSTART
	v_dot2_f32_f16 v3, v21, v29, v3
	;;#ASMEND
	;; [unrolled: 13-line block ×8, first 2 shown]
	s_barrier
	buffer_gl0_inv
	s_and_saveexec_b32 s11, vcc_lo
	s_cbranch_execnz .LBB17_39
; %bb.24:                               ;   in Loop: Header=BB17_19 Depth=1
	s_or_b32 exec_lo, exec_lo, s11
	s_and_saveexec_b32 s11, s1
	s_cbranch_execnz .LBB17_40
.LBB17_25:                              ;   in Loop: Header=BB17_19 Depth=1
	s_or_b32 exec_lo, exec_lo, s11
	s_and_saveexec_b32 s11, s2
	s_cbranch_execz .LBB17_27
.LBB17_26:                              ;   in Loop: Header=BB17_19 Depth=1
	v_add_co_u32 v18, s8, s9, v111
	v_add_co_ci_u32_e64 v19, null, s10, v112, s8
	v_add_co_u32 v18, s8, v18, v156
	v_add_co_ci_u32_e64 v19, null, 0, v19, s8
	global_load_dwordx4 v[18:21], v[18:19], off offset:112
	s_waitcnt vmcnt(0)
	ds_write_b128 v145, v[18:21]
.LBB17_27:                              ;   in Loop: Header=BB17_19 Depth=1
	s_or_b32 exec_lo, exec_lo, s11
	s_waitcnt lgkmcnt(0)
	s_barrier
	buffer_gl0_inv
	ds_read_b128 v[18:21], v140
	ds_read_b128 v[22:25], v141 offset:112
	ds_read_b128 v[26:29], v141 offset:336
	;; [unrolled: 1-line block ×8, first 2 shown]
	v_xor_b32_e32 v166, 16, v135
	v_xor_b32_e32 v167, 8, v135
	;; [unrolled: 1-line block ×5, first 2 shown]
	s_mul_hi_i32 s25, s31, s35
	s_mul_i32 s24, s31, s35
	s_waitcnt lgkmcnt(7)
	;;#ASMSTART
	v_dot2_f32_f16 v2, v18, v22, v2
	;;#ASMEND
	;;#ASMSTART
	v_dot2_f32_f16 v2, v19, v23, v2
	;;#ASMEND
	;;#ASMSTART
	v_dot2_f32_f16 v2, v20, v24, v2
	;;#ASMEND
	;;#ASMSTART
	v_dot2_f32_f16 v2, v21, v25, v2
	;;#ASMEND
	s_waitcnt lgkmcnt(6)
	;;#ASMSTART
	v_dot2_f32_f16 v3, v18, v26, v3
	;;#ASMEND
	;;#ASMSTART
	v_dot2_f32_f16 v3, v19, v27, v3
	;;#ASMEND
	;;#ASMSTART
	v_dot2_f32_f16 v3, v20, v28, v3
	;;#ASMEND
	;;#ASMSTART
	v_dot2_f32_f16 v3, v21, v29, v3
	;;#ASMEND
	;; [unrolled: 13-line block ×8, first 2 shown]
	ds_read_b128 v[18:21], v140 offset:16
	ds_read_b128 v[22:25], v141 offset:128
	;; [unrolled: 1-line block ×9, first 2 shown]
	s_lshl_b64 s[46:47], s[24:25], 2
	s_waitcnt lgkmcnt(7)
	;;#ASMSTART
	v_dot2_f32_f16 v2, v18, v22, v2
	;;#ASMEND
	;;#ASMSTART
	v_dot2_f32_f16 v2, v19, v23, v2
	;;#ASMEND
	;;#ASMSTART
	v_dot2_f32_f16 v2, v20, v24, v2
	;;#ASMEND
	;;#ASMSTART
	v_dot2_f32_f16 v2, v21, v25, v2
	;;#ASMEND
	s_waitcnt lgkmcnt(6)
	;;#ASMSTART
	v_dot2_f32_f16 v3, v18, v26, v3
	;;#ASMEND
	;;#ASMSTART
	v_dot2_f32_f16 v3, v19, v27, v3
	;;#ASMEND
	;;#ASMSTART
	v_dot2_f32_f16 v3, v20, v28, v3
	;;#ASMEND
	;;#ASMSTART
	v_dot2_f32_f16 v3, v21, v29, v3
	;;#ASMEND
	;; [unrolled: 13-line block ×8, first 2 shown]
	ds_read_b128 v[18:21], v140 offset:32
	ds_read_b128 v[22:25], v141 offset:144
	;; [unrolled: 1-line block ×9, first 2 shown]
	s_waitcnt lgkmcnt(7)
	;;#ASMSTART
	v_dot2_f32_f16 v2, v18, v22, v2
	;;#ASMEND
	;;#ASMSTART
	v_dot2_f32_f16 v2, v19, v23, v2
	;;#ASMEND
	;;#ASMSTART
	v_dot2_f32_f16 v2, v20, v24, v2
	;;#ASMEND
	;;#ASMSTART
	v_dot2_f32_f16 v2, v21, v25, v2
	;;#ASMEND
	s_waitcnt lgkmcnt(6)
	;;#ASMSTART
	v_dot2_f32_f16 v3, v18, v26, v3
	;;#ASMEND
	;;#ASMSTART
	v_dot2_f32_f16 v3, v19, v27, v3
	;;#ASMEND
	;;#ASMSTART
	v_dot2_f32_f16 v3, v20, v28, v3
	;;#ASMEND
	;;#ASMSTART
	v_dot2_f32_f16 v3, v21, v29, v3
	;;#ASMEND
	;; [unrolled: 13-line block ×8, first 2 shown]
	ds_read_b128 v[18:21], v140 offset:48
	ds_read_b128 v[22:25], v141 offset:160
	;; [unrolled: 1-line block ×9, first 2 shown]
	s_waitcnt lgkmcnt(7)
	;;#ASMSTART
	v_dot2_f32_f16 v2, v18, v22, v2
	;;#ASMEND
	;;#ASMSTART
	v_dot2_f32_f16 v2, v19, v23, v2
	;;#ASMEND
	;;#ASMSTART
	v_dot2_f32_f16 v2, v20, v24, v2
	;;#ASMEND
	;;#ASMSTART
	v_dot2_f32_f16 v2, v21, v25, v2
	;;#ASMEND
	s_waitcnt lgkmcnt(6)
	;;#ASMSTART
	v_dot2_f32_f16 v3, v18, v26, v3
	;;#ASMEND
	;;#ASMSTART
	v_dot2_f32_f16 v3, v19, v27, v3
	;;#ASMEND
	;;#ASMSTART
	v_dot2_f32_f16 v3, v20, v28, v3
	;;#ASMEND
	;;#ASMSTART
	v_dot2_f32_f16 v3, v21, v29, v3
	;;#ASMEND
	s_waitcnt lgkmcnt(5)
	;;#ASMSTART
	v_dot2_f32_f16 v4, v18, v30, v4
	;;#ASMEND
	;;#ASMSTART
	v_dot2_f32_f16 v4, v19, v31, v4
	;;#ASMEND
	;;#ASMSTART
	v_dot2_f32_f16 v4, v20, v32, v4
	;;#ASMEND
	;;#ASMSTART
	v_dot2_f32_f16 v4, v21, v33, v4
	;;#ASMEND
	s_waitcnt lgkmcnt(4)
	;;#ASMSTART
	v_dot2_f32_f16 v5, v18, v34, v5
	;;#ASMEND
	;;#ASMSTART
	v_dot2_f32_f16 v5, v19, v35, v5
	;;#ASMEND
	;;#ASMSTART
	v_dot2_f32_f16 v5, v20, v36, v5
	;;#ASMEND
	;;#ASMSTART
	v_dot2_f32_f16 v5, v21, v37, v5
	;;#ASMEND
	s_waitcnt lgkmcnt(3)
	;;#ASMSTART
	v_dot2_f32_f16 v6, v18, v38, v6
	;;#ASMEND
	;;#ASMSTART
	v_dot2_f32_f16 v6, v19, v39, v6
	;;#ASMEND
	;;#ASMSTART
	v_dot2_f32_f16 v6, v20, v40, v6
	;;#ASMEND
	;;#ASMSTART
	v_dot2_f32_f16 v6, v21, v41, v6
	;;#ASMEND
	s_waitcnt lgkmcnt(2)
	;;#ASMSTART
	v_dot2_f32_f16 v7, v18, v42, v7
	;;#ASMEND
	;;#ASMSTART
	v_dot2_f32_f16 v7, v19, v43, v7
	;;#ASMEND
	;;#ASMSTART
	v_dot2_f32_f16 v7, v20, v44, v7
	;;#ASMEND
	;;#ASMSTART
	v_dot2_f32_f16 v7, v21, v45, v7
	;;#ASMEND
	s_waitcnt lgkmcnt(1)
	;;#ASMSTART
	v_dot2_f32_f16 v8, v18, v46, v8
	;;#ASMEND
	;;#ASMSTART
	v_dot2_f32_f16 v8, v19, v47, v8
	;;#ASMEND
	;;#ASMSTART
	v_dot2_f32_f16 v8, v20, v48, v8
	;;#ASMEND
	;;#ASMSTART
	v_dot2_f32_f16 v8, v21, v49, v8
	;;#ASMEND
	s_waitcnt lgkmcnt(0)
	;;#ASMSTART
	v_dot2_f32_f16 v9, v18, v50, v9
	;;#ASMEND
	;;#ASMSTART
	v_dot2_f32_f16 v9, v19, v51, v9
	;;#ASMEND
	;;#ASMSTART
	v_dot2_f32_f16 v9, v20, v52, v9
	;;#ASMEND
	;;#ASMSTART
	v_dot2_f32_f16 v9, v21, v53, v9
	;;#ASMEND
	ds_read_b128 v[18:21], v140 offset:64
	ds_read_b128 v[22:25], v141 offset:176
	;; [unrolled: 1-line block ×9, first 2 shown]
	s_waitcnt lgkmcnt(7)
	;;#ASMSTART
	v_dot2_f32_f16 v2, v18, v22, v2
	;;#ASMEND
	;;#ASMSTART
	v_dot2_f32_f16 v2, v19, v23, v2
	;;#ASMEND
	;;#ASMSTART
	v_dot2_f32_f16 v2, v20, v24, v2
	;;#ASMEND
	;;#ASMSTART
	v_dot2_f32_f16 v2, v21, v25, v2
	;;#ASMEND
	s_waitcnt lgkmcnt(6)
	;;#ASMSTART
	v_dot2_f32_f16 v3, v18, v26, v3
	;;#ASMEND
	;;#ASMSTART
	v_dot2_f32_f16 v3, v19, v27, v3
	;;#ASMEND
	;;#ASMSTART
	v_dot2_f32_f16 v3, v20, v28, v3
	;;#ASMEND
	;;#ASMSTART
	v_dot2_f32_f16 v3, v21, v29, v3
	;;#ASMEND
	;; [unrolled: 13-line block ×8, first 2 shown]
	ds_read_b128 v[18:21], v140 offset:80
	ds_read_b128 v[22:25], v141 offset:192
	;; [unrolled: 1-line block ×4, first 2 shown]
	v_add_nc_u32_e32 v34, s31, v0
	s_add_u32 s25, s40, s46
	s_addc_u32 s43, s41, s47
	v_add_nc_u32_e32 v54, v34, v146
	v_add_nc_u32_e32 v56, v34, v147
	ds_read_b128 v[34:37], v141 offset:864
	ds_read_b128 v[38:41], v141 offset:1088
	ds_read_b128 v[42:45], v141 offset:1312
	ds_read_b128 v[46:49], v141 offset:1536
	ds_read_b128 v[50:53], v141 offset:1760
	s_waitcnt lgkmcnt(7)
	;;#ASMSTART
	v_dot2_f32_f16 v2, v18, v22, v2
	;;#ASMEND
	;;#ASMSTART
	v_dot2_f32_f16 v2, v19, v23, v2
	;;#ASMEND
	;;#ASMSTART
	v_dot2_f32_f16 v2, v20, v24, v2
	;;#ASMEND
	;;#ASMSTART
	v_dot2_f32_f16 v2, v21, v25, v2
	;;#ASMEND
	s_waitcnt lgkmcnt(6)
	;;#ASMSTART
	v_dot2_f32_f16 v3, v18, v26, v3
	;;#ASMEND
	;;#ASMSTART
	v_dot2_f32_f16 v3, v19, v27, v3
	;;#ASMEND
	;;#ASMSTART
	v_dot2_f32_f16 v3, v20, v28, v3
	;;#ASMEND
	;;#ASMSTART
	v_dot2_f32_f16 v3, v21, v29, v3
	;;#ASMEND
	;; [unrolled: 13-line block ×7, first 2 shown]
	s_waitcnt lgkmcnt(0)
	;;#ASMSTART
	v_dot2_f32_f16 v9, v18, v50, v9
	;;#ASMEND
	;;#ASMSTART
	v_dot2_f32_f16 v9, v19, v51, v9
	;;#ASMEND
	;; [unrolled: 3-line block ×3, first 2 shown]
	v_ashrrev_i32_e32 v55, 31, v54
	;;#ASMSTART
	v_dot2_f32_f16 v9, v21, v53, v9
	;;#ASMEND
	ds_read_b128 v[18:21], v140 offset:96
	ds_read_b128 v[22:25], v141 offset:208
	v_ashrrev_i32_e32 v57, 31, v56
	ds_read_b128 v[26:29], v141 offset:432
	ds_read_b128 v[30:33], v141 offset:656
	v_lshlrev_b64 v[34:35], 1, v[54:55]
	v_lshlrev_b64 v[38:39], 1, v[56:57]
	v_add_co_u32 v54, s8, s52, v34
	v_add_co_ci_u32_e64 v55, null, s53, v35, s8
	v_add_co_u32 v56, s8, s52, v38
	ds_read_b128 v[34:37], v141 offset:880
	v_add_co_ci_u32_e64 v57, null, s53, v39, s8
	ds_read_b128 v[38:41], v141 offset:1104
	ds_read_b128 v[42:45], v141 offset:1328
	;; [unrolled: 1-line block ×4, first 2 shown]
	s_waitcnt lgkmcnt(7)
	;;#ASMSTART
	v_dot2_f32_f16 v2, v18, v22, v2
	;;#ASMEND
	;;#ASMSTART
	v_dot2_f32_f16 v2, v19, v23, v2
	;;#ASMEND
	;;#ASMSTART
	v_dot2_f32_f16 v2, v20, v24, v2
	;;#ASMEND
	;;#ASMSTART
	v_dot2_f32_f16 v2, v21, v25, v2
	;;#ASMEND
	s_waitcnt lgkmcnt(6)
	;;#ASMSTART
	v_dot2_f32_f16 v3, v18, v26, v3
	;;#ASMEND
	;;#ASMSTART
	v_dot2_f32_f16 v3, v19, v27, v3
	;;#ASMEND
	;;#ASMSTART
	v_dot2_f32_f16 v3, v20, v28, v3
	;;#ASMEND
	;;#ASMSTART
	v_dot2_f32_f16 v3, v21, v29, v3
	;;#ASMEND
	;; [unrolled: 13-line block ×8, first 2 shown]
	s_clause 0x1
	global_load_ushort v18, v[54:55], off
	global_load_ushort v19, v[56:57], off
	v_cmp_gt_i32_e64 s8, 32, v166
	v_max_f32_e32 v20, v10, v10
	v_max_f32_e32 v21, v11, v11
	;; [unrolled: 1-line block ×4, first 2 shown]
	v_cndmask_b32_e64 v25, v135, v166, s8
	v_max_f32_e32 v24, v14, v14
	v_max_f32_e32 v26, v15, v15
	;; [unrolled: 1-line block ×4, first 2 shown]
	v_lshlrev_b32_e32 v25, 2, v25
	v_cmp_gt_i32_e64 s8, 32, v167
	s_waitcnt vmcnt(0)
	s_barrier
	buffer_gl0_inv
	v_cvt_f32_f16_e32 v18, v18
	v_cvt_f32_f16_e32 v19, v19
	v_add_f32_e32 v29, v2, v18
	v_add_f32_e32 v30, v3, v18
	;; [unrolled: 1-line block ×11, first 2 shown]
	v_max_f32_e32 v2, v20, v2
	v_add_f32_e32 v4, 0x40051340, v31
	v_add_f32_e32 v6, 0x40051340, v32
	v_add_f32_e32 v7, 0x40051340, v33
	v_add_f32_e32 v8, 0x40051340, v34
	v_add_f32_e32 v9, 0x40051340, v19
	v_max_f32_e32 v3, v21, v3
	v_max_f32_e32 v5, v23, v5
	ds_bpermute_b32 v20, v25, v2
	v_max_f32_e32 v4, v22, v4
	v_max_f32_e32 v6, v24, v6
	;; [unrolled: 1-line block ×5, first 2 shown]
	ds_bpermute_b32 v21, v25, v3
	ds_bpermute_b32 v23, v25, v5
	;; [unrolled: 1-line block ×7, first 2 shown]
	v_cndmask_b32_e64 v28, v135, v167, s8
	v_cmp_gt_i32_e64 s8, 32, v168
	v_lshlrev_b32_e32 v28, 2, v28
	s_waitcnt lgkmcnt(7)
	v_max_f32_e32 v20, v20, v20
	v_max_f32_e32 v2, v2, v20
	s_waitcnt lgkmcnt(6)
	v_max_f32_e32 v21, v21, v21
	s_waitcnt lgkmcnt(5)
	;; [unrolled: 2-line block ×4, first 2 shown]
	v_max_f32_e32 v24, v24, v24
	ds_bpermute_b32 v20, v28, v2
	v_max_f32_e32 v3, v3, v21
	s_waitcnt lgkmcnt(1)
	v_max_f32_e32 v25, v25, v25
	v_max_f32_e32 v5, v5, v23
	;; [unrolled: 1-line block ×4, first 2 shown]
	ds_bpermute_b32 v21, v28, v3
	v_max_f32_e32 v9, v9, v25
	ds_bpermute_b32 v23, v28, v5
	v_max_f32_e32 v26, v26, v26
	v_max_f32_e32 v8, v8, v27
	ds_bpermute_b32 v22, v28, v4
	ds_bpermute_b32 v27, v28, v9
	v_max_f32_e32 v6, v6, v24
	v_max_f32_e32 v7, v7, v26
	ds_bpermute_b32 v26, v28, v8
	ds_bpermute_b32 v24, v28, v6
	;; [unrolled: 1-line block ×3, first 2 shown]
	v_cndmask_b32_e64 v28, v135, v168, s8
	s_waitcnt lgkmcnt(7)
	v_max_f32_e32 v20, v20, v20
	v_cmp_gt_i32_e64 s8, 32, v169
	v_lshlrev_b32_e32 v28, 2, v28
	s_waitcnt lgkmcnt(6)
	v_max_f32_e32 v21, v21, v21
	v_max_f32_e32 v2, v2, v20
	s_waitcnt lgkmcnt(5)
	v_max_f32_e32 v23, v23, v23
	s_waitcnt lgkmcnt(4)
	;; [unrolled: 2-line block ×3, first 2 shown]
	v_max_f32_e32 v27, v27, v27
	v_max_f32_e32 v3, v3, v21
	;; [unrolled: 1-line block ×3, first 2 shown]
	ds_bpermute_b32 v20, v28, v2
	s_waitcnt lgkmcnt(3)
	v_max_f32_e32 v26, v26, v26
	v_max_f32_e32 v4, v4, v22
	;; [unrolled: 1-line block ×3, first 2 shown]
	ds_bpermute_b32 v21, v28, v3
	ds_bpermute_b32 v23, v28, v5
	s_waitcnt lgkmcnt(4)
	v_max_f32_e32 v24, v24, v24
	s_waitcnt lgkmcnt(3)
	v_max_f32_e32 v25, v25, v25
	v_max_f32_e32 v8, v8, v26
	ds_bpermute_b32 v22, v28, v4
	ds_bpermute_b32 v27, v28, v9
	v_max_f32_e32 v6, v6, v24
	v_max_f32_e32 v7, v7, v25
	ds_bpermute_b32 v26, v28, v8
	ds_bpermute_b32 v24, v28, v6
	;; [unrolled: 1-line block ×3, first 2 shown]
	v_cndmask_b32_e64 v28, v135, v169, s8
	v_cmp_gt_i32_e64 s8, 32, v170
	s_waitcnt lgkmcnt(7)
	v_max_f32_e32 v20, v20, v20
	v_lshlrev_b32_e32 v28, 2, v28
	s_waitcnt lgkmcnt(6)
	v_max_f32_e32 v21, v21, v21
	s_waitcnt lgkmcnt(5)
	v_max_f32_e32 v23, v23, v23
	v_max_f32_e32 v2, v2, v20
	s_waitcnt lgkmcnt(4)
	v_max_f32_e32 v22, v22, v22
	s_waitcnt lgkmcnt(3)
	v_max_f32_e32 v27, v27, v27
	v_max_f32_e32 v3, v3, v21
	;; [unrolled: 1-line block ×3, first 2 shown]
	ds_bpermute_b32 v20, v28, v2
	s_waitcnt lgkmcnt(3)
	v_max_f32_e32 v26, v26, v26
	v_max_f32_e32 v4, v4, v22
	;; [unrolled: 1-line block ×3, first 2 shown]
	ds_bpermute_b32 v21, v28, v3
	ds_bpermute_b32 v23, v28, v5
	s_waitcnt lgkmcnt(4)
	v_max_f32_e32 v24, v24, v24
	s_waitcnt lgkmcnt(3)
	v_max_f32_e32 v25, v25, v25
	v_max_f32_e32 v8, v8, v26
	ds_bpermute_b32 v22, v28, v4
	ds_bpermute_b32 v27, v28, v9
	v_max_f32_e32 v6, v6, v24
	v_max_f32_e32 v7, v7, v25
	ds_bpermute_b32 v26, v28, v8
	ds_bpermute_b32 v24, v28, v6
	;; [unrolled: 1-line block ×3, first 2 shown]
	v_cndmask_b32_e64 v28, v135, v170, s8
	s_waitcnt lgkmcnt(7)
	v_max_f32_e32 v20, v20, v20
	v_lshlrev_b32_e32 v28, 2, v28
	s_waitcnt lgkmcnt(6)
	v_max_f32_e32 v21, v21, v21
	s_waitcnt lgkmcnt(5)
	v_max_f32_e32 v23, v23, v23
	v_max_f32_e32 v2, v2, v20
	s_waitcnt lgkmcnt(4)
	v_max_f32_e32 v22, v22, v22
	s_waitcnt lgkmcnt(3)
	v_max_f32_e32 v27, v27, v27
	v_max_f32_e32 v3, v3, v21
	;; [unrolled: 1-line block ×3, first 2 shown]
	ds_bpermute_b32 v20, v28, v2
	s_waitcnt lgkmcnt(3)
	v_max_f32_e32 v26, v26, v26
	v_max_f32_e32 v4, v4, v22
	;; [unrolled: 1-line block ×3, first 2 shown]
	ds_bpermute_b32 v21, v28, v3
	ds_bpermute_b32 v23, v28, v5
	s_waitcnt lgkmcnt(4)
	v_max_f32_e32 v24, v24, v24
	v_max_f32_e32 v8, v8, v26
	ds_bpermute_b32 v22, v28, v4
	ds_bpermute_b32 v27, v28, v9
	s_waitcnt lgkmcnt(5)
	v_max_f32_e32 v25, v25, v25
	v_max_f32_e32 v6, v6, v24
	ds_bpermute_b32 v26, v28, v8
	v_max_f32_e32 v7, v7, v25
	ds_bpermute_b32 v24, v28, v6
	s_waitcnt lgkmcnt(6)
	v_max_f32_e32 v20, v20, v20
	ds_bpermute_b32 v25, v28, v7
	s_waitcnt lgkmcnt(6)
	v_max_f32_e32 v21, v21, v21
	s_waitcnt lgkmcnt(5)
	v_max_f32_e32 v23, v23, v23
	v_max_f32_e32 v2, v2, v20
	s_waitcnt lgkmcnt(4)
	v_max_f32_e32 v22, v22, v22
	s_waitcnt lgkmcnt(3)
	v_max_f32_e32 v27, v27, v27
	v_max_f32_e32 v3, v3, v21
	;; [unrolled: 1-line block ×3, first 2 shown]
	v_sub_f32_e32 v186, v10, v2
	v_sub_f32_e32 v10, v29, v2
	s_waitcnt lgkmcnt(2)
	v_max_f32_e32 v26, v26, v26
	v_max_f32_e32 v4, v4, v22
	;; [unrolled: 1-line block ×3, first 2 shown]
	v_sub_f32_e32 v187, v11, v3
	v_sub_f32_e32 v11, v30, v3
	;; [unrolled: 1-line block ×4, first 2 shown]
	v_mul_f32_e32 v18, 0x3fb8aa3b, v10
	s_waitcnt lgkmcnt(1)
	v_max_f32_e32 v24, v24, v24
	v_max_f32_e32 v8, v8, v26
	v_sub_f32_e32 v188, v12, v4
	v_sub_f32_e32 v12, v31, v4
	;; [unrolled: 1-line block ×4, first 2 shown]
	v_mul_f32_e32 v19, 0x3fb8aa3b, v11
	v_fma_f32 v26, 0x3fb8aa3b, v10, -v18
	v_rndne_f32_e32 v27, v18
	s_waitcnt lgkmcnt(0)
	v_max_f32_e32 v25, v25, v25
	v_max_f32_e32 v6, v6, v24
	v_mul_f32_e32 v20, 0x3fb8aa3b, v12
	v_fma_f32 v28, 0x3fb8aa3b, v11, -v19
	v_rndne_f32_e32 v29, v19
	v_fmac_f32_e32 v26, 0x32a5705f, v10
	v_sub_f32_e32 v18, v18, v27
	v_max_f32_e32 v7, v7, v25
	v_sub_f32_e32 v184, v14, v6
	v_sub_f32_e32 v14, v32, v6
	v_mul_f32_e32 v21, 0x3fb8aa3b, v13
	v_fma_f32 v30, 0x3fb8aa3b, v12, -v20
	v_rndne_f32_e32 v31, v20
	v_fmac_f32_e32 v28, 0x32a5705f, v11
	v_sub_f32_e32 v19, v19, v29
	v_add_f32_e32 v18, v18, v26
	v_sub_f32_e32 v183, v15, v7
	v_sub_f32_e32 v15, v33, v7
	v_mul_f32_e32 v22, 0x3fb8aa3b, v14
	v_fma_f32 v32, 0x3fb8aa3b, v13, -v21
	v_rndne_f32_e32 v33, v21
	v_fmac_f32_e32 v30, 0x32a5705f, v12
	v_sub_f32_e32 v20, v20, v31
	v_add_f32_e32 v19, v19, v28
	v_exp_f32_e32 v18, v18
	v_sub_f32_e32 v181, v16, v8
	v_sub_f32_e32 v16, v34, v8
	v_mul_f32_e32 v23, 0x3fb8aa3b, v15
	v_fma_f32 v34, 0x3fb8aa3b, v14, -v22
	v_rndne_f32_e32 v35, v22
	v_cvt_i32_f32_e32 v27, v27
	v_fmac_f32_e32 v32, 0x32a5705f, v13
	v_sub_f32_e32 v21, v21, v33
	v_add_f32_e32 v20, v20, v30
	v_exp_f32_e32 v19, v19
	v_mul_f32_e32 v24, 0x3fb8aa3b, v16
	v_fma_f32 v36, 0x3fb8aa3b, v15, -v23
	v_rndne_f32_e32 v37, v23
	v_cvt_i32_f32_e32 v29, v29
	v_fmac_f32_e32 v34, 0x32a5705f, v14
	v_sub_f32_e32 v22, v22, v35
	v_add_f32_e32 v21, v21, v32
	v_exp_f32_e32 v20, v20
	v_ldexp_f32 v18, v18, v27
	v_cmp_ngt_f32_e64 s23, 0xc2ce8ed0, v10
	v_mul_f32_e32 v25, 0x3fb8aa3b, v17
	v_fma_f32 v38, 0x3fb8aa3b, v16, -v24
	v_rndne_f32_e32 v39, v24
	v_cvt_i32_f32_e32 v31, v31
	v_fmac_f32_e32 v36, 0x32a5705f, v15
	v_sub_f32_e32 v23, v23, v37
	v_add_f32_e32 v22, v22, v34
	v_exp_f32_e32 v21, v21
	v_ldexp_f32 v19, v19, v29
	v_cndmask_b32_e64 v18, 0, v18, s23
	v_cmp_ngt_f32_e64 s23, 0xc2ce8ed0, v11
	v_fma_f32 v40, 0x3fb8aa3b, v17, -v25
	v_rndne_f32_e32 v41, v25
	v_cvt_i32_f32_e32 v33, v33
	v_fmac_f32_e32 v38, 0x32a5705f, v16
	v_sub_f32_e32 v24, v24, v39
	v_add_f32_e32 v23, v23, v36
	v_exp_f32_e32 v22, v22
	v_ldexp_f32 v20, v20, v31
	v_cndmask_b32_e64 v19, 0, v19, s23
	v_cmp_ngt_f32_e64 s23, 0xc2ce8ed0, v12
	v_cvt_i32_f32_e32 v35, v35
	v_fmac_f32_e32 v40, 0x32a5705f, v17
	v_sub_f32_e32 v25, v25, v41
	v_add_f32_e32 v24, v24, v38
	v_exp_f32_e32 v23, v23
	v_ldexp_f32 v21, v21, v33
	v_cndmask_b32_e64 v20, 0, v20, s23
	v_cmp_ngt_f32_e64 s23, 0xc2ce8ed0, v13
	v_cvt_i32_f32_e32 v37, v37
	v_add_f32_e32 v25, v25, v40
	v_exp_f32_e32 v24, v24
	v_ldexp_f32 v22, v22, v35
	v_cndmask_b32_e64 v21, 0, v21, s23
	v_cmp_ngt_f32_e64 s23, 0xc2ce8ed0, v14
	v_exp_f32_e32 v25, v25
	v_cvt_i32_f32_e32 v26, v39
	v_ldexp_f32 v23, v23, v37
	v_cvt_i32_f32_e32 v28, v41
	v_cndmask_b32_e64 v22, 0, v22, s23
	v_cmp_ngt_f32_e64 s23, 0xc2ce8ed0, v15
	v_ldexp_f32 v24, v24, v26
	v_cmp_ngt_f32_e64 s19, 0xc2ce8ed0, v186
	v_cmp_nlt_f32_e64 s17, 0x42b17218, v186
	v_cmp_ngt_f32_e64 s21, 0xc2ce8ed0, v187
	v_cndmask_b32_e64 v23, 0, v23, s23
	v_cmp_ngt_f32_e64 s23, 0xc2ce8ed0, v16
	v_ldexp_f32 v25, v25, v28
	v_cmp_nlt_f32_e64 s18, 0x42b17218, v187
	v_cmp_ngt_f32_e64 s22, 0xc2ce8ed0, v188
	v_cmp_nlt_f32_e64 s20, 0x42b17218, v188
	v_cndmask_b32_e64 v24, 0, v24, s23
	v_cmp_ngt_f32_e64 s23, 0xc2ce8ed0, v17
	v_cmp_ngt_f32_e64 s11, 0xc2ce8ed0, v185
	v_cmp_nlt_f32_e64 s8, 0x42b17218, v185
	v_cmp_ngt_f32_e64 s14, 0xc2ce8ed0, v184
	v_cmp_nlt_f32_e64 s10, 0x42b17218, v184
	v_cndmask_b32_e64 v25, 0, v25, s23
	v_cmp_nlt_f32_e64 s23, 0x42b17218, v10
	v_cmp_ngt_f32_e64 s16, 0xc2ce8ed0, v183
	v_cmp_nlt_f32_e64 s12, 0x42b17218, v183
	v_cmp_ngt_f32_e64 s13, 0xc2ce8ed0, v181
	v_cmp_nlt_f32_e64 s9, 0x42b17218, v181
	v_cndmask_b32_e64 v178, 0x7f800000, v18, s23
	v_cmp_nlt_f32_e64 s23, 0x42b17218, v11
	v_cmp_ngt_f32_e64 s15, 0xc2ce8ed0, v182
	v_cvt_f16_f32_e32 v10, v178
	v_cndmask_b32_e64 v177, 0x7f800000, v19, s23
	v_cmp_nlt_f32_e64 s23, 0x42b17218, v12
	v_cndmask_b32_e64 v176, 0x7f800000, v20, s23
	v_cmp_nlt_f32_e64 s23, 0x42b17218, v13
	v_cvt_f16_f32_e32 v11, v176
	v_cndmask_b32_e64 v175, 0x7f800000, v21, s23
	v_cmp_nlt_f32_e64 s23, 0x42b17218, v14
	v_cndmask_b32_e64 v174, 0x7f800000, v22, s23
	v_cmp_nlt_f32_e64 s23, 0x42b17218, v15
	v_cvt_f16_f32_e32 v12, v174
	v_cndmask_b32_e64 v173, 0x7f800000, v23, s23
	v_cmp_nlt_f32_e64 s23, 0x42b17218, v16
	v_cvt_f16_f32_e32 v16, v175
	v_cvt_f16_f32_e32 v15, v173
	v_cndmask_b32_e64 v172, 0x7f800000, v24, s23
	v_cmp_nlt_f32_e64 s23, 0x42b17218, v17
	v_cvt_f16_f32_e32 v17, v177
	v_pack_b32_f16 v11, v11, v16
	v_pack_b32_f16 v12, v12, v15
	v_cvt_f16_f32_e32 v13, v172
	v_cndmask_b32_e64 v171, 0x7f800000, v25, s23
	v_cmp_nlt_f32_e64 s23, 0x42b17218, v182
	v_pack_b32_f16 v10, v10, v17
	v_cvt_f16_f32_e32 v14, v171
	v_pack_b32_f16 v13, v13, v14
	ds_write_b128 v154, v[10:13]
	s_and_saveexec_b32 s46, s3
	s_cbranch_execnz .LBB17_41
; %bb.28:                               ;   in Loop: Header=BB17_19 Depth=1
	s_or_b32 exec_lo, exec_lo, s46
	s_and_saveexec_b32 s46, s6
	s_cbranch_execnz .LBB17_42
.LBB17_29:                              ;   in Loop: Header=BB17_19 Depth=1
	s_or_b32 exec_lo, exec_lo, s46
	v_lshlrev_b32_e32 v189, 2, v150
	s_and_saveexec_b32 s46, s7
	s_cbranch_execz .LBB17_31
.LBB17_30:                              ;   in Loop: Header=BB17_19 Depth=1
	v_add_co_u32 v10, s24, s25, v117
	v_add_co_ci_u32_e64 v11, null, s43, v118, s24
	v_add_co_u32 v10, s24, v10, v189
	v_add_co_ci_u32_e64 v11, null, 0, v11, s24
	global_load_dwordx4 v[10:13], v[10:11], off
	s_waitcnt vmcnt(0)
	ds_write_b128 v153, v[10:13]
.LBB17_31:                              ;   in Loop: Header=BB17_19 Depth=1
	s_or_b32 exec_lo, exec_lo, s46
	v_add_nc_u32_e32 v180, 0x3800, v125
	s_waitcnt lgkmcnt(0)
	s_barrier
	buffer_gl0_inv
	v_add_nc_u32_e32 v179, 0x4000, v125
	ds_read2_b64 v[38:41], v180 offset1:28
	ds_read_b128 v[102:105], v149
	ds_read_b128 v[98:101], v149 offset:16
	ds_read_b128 v[94:97], v149 offset:32
	;; [unrolled: 1-line block ×3, first 2 shown]
	ds_read2_b64 v[34:37], v180 offset0:56 offset1:84
	ds_read2_b64 v[30:33], v180 offset0:112 offset1:140
	ds_read_b128 v[86:89], v149 offset:64
	ds_read_b128 v[78:81], v149 offset:80
	ds_read2_b64 v[26:29], v180 offset0:168 offset1:196
	ds_read_b128 v[82:85], v149 offset:96
	ds_read_b128 v[74:77], v149 offset:112
	;; [unrolled: 3-line block ×6, first 2 shown]
	s_or_b32 s24, s31, 16
	s_waitcnt lgkmcnt(0)
	s_mul_hi_i32 s25, s24, s35
	s_mul_i32 s24, s24, s35
	s_barrier
	s_lshl_b64 s[46:47], s[24:25], 2
	buffer_gl0_inv
	s_add_u32 s25, s40, s46
	s_addc_u32 s43, s41, s47
	s_and_saveexec_b32 s46, s3
	s_cbranch_execnz .LBB17_43
; %bb.32:                               ;   in Loop: Header=BB17_19 Depth=1
	s_or_b32 exec_lo, exec_lo, s46
	s_and_saveexec_b32 s46, s6
	s_cbranch_execnz .LBB17_44
.LBB17_33:                              ;   in Loop: Header=BB17_19 Depth=1
	s_or_b32 exec_lo, exec_lo, s46
	s_and_saveexec_b32 s46, s7
	s_cbranch_execz .LBB17_35
.LBB17_34:                              ;   in Loop: Header=BB17_19 Depth=1
	v_add_co_u32 v190, s24, s25, v117
	v_add_co_ci_u32_e64 v191, null, s43, v118, s24
	v_add_co_u32 v189, s24, v190, v189
	v_add_co_ci_u32_e64 v190, null, 0, v191, s24
	global_load_dwordx4 v[189:192], v[189:190], off
	s_waitcnt vmcnt(0)
	ds_write_b128 v153, v[189:192]
.LBB17_35:                              ;   in Loop: Header=BB17_19 Depth=1
	s_or_b32 exec_lo, exec_lo, s46
	v_mul_f32_e32 v189, 0x3fb8aa3b, v186
	v_mul_f32_e32 v190, 0x3fb8aa3b, v187
	;; [unrolled: 1-line block ×3, first 2 shown]
	v_mul_u32_u24_sdwa v198, v87, v157 dst_sel:DWORD dst_unused:UNUSED_PAD src0_sel:WORD_0 src1_sel:DWORD
	v_mul_u32_u24_sdwa v87, v87, v157 dst_sel:DWORD dst_unused:UNUSED_PAD src0_sel:WORD_1 src1_sel:DWORD
	v_fma_f32 v192, 0x3fb8aa3b, v186, -v189
	v_rndne_f32_e32 v193, v189
	v_fma_f32 v194, 0x3fb8aa3b, v187, -v190
	v_rndne_f32_e32 v195, v190
	;; [unrolled: 2-line block ×3, first 2 shown]
	v_fmac_f32_e32 v192, 0x32a5705f, v186
	v_sub_f32_e32 v186, v189, v193
	v_fmac_f32_e32 v194, 0x32a5705f, v187
	v_sub_f32_e32 v187, v190, v195
	;; [unrolled: 2-line block ×3, first 2 shown]
	v_add_f32_e32 v186, v186, v192
	v_cvt_i32_f32_e32 v191, v193
	v_add_f32_e32 v187, v187, v194
	v_cvt_i32_f32_e32 v192, v195
	v_add_f32_e32 v188, v188, v196
	v_exp_f32_e32 v186, v186
	v_cvt_i32_f32_e32 v193, v197
	v_exp_f32_e32 v187, v187
	v_mul_f32_e32 v189, 0x3fb8aa3b, v185
	v_exp_f32_e32 v188, v188
	v_mul_f32_e32 v190, 0x3fb8aa3b, v184
	v_mul_f32_e32 v194, 0x3fb8aa3b, v183
	v_mul_u32_u24_sdwa v196, v93, v157 dst_sel:DWORD dst_unused:UNUSED_PAD src0_sel:WORD_0 src1_sel:DWORD
	v_fma_f32 v195, 0x3fb8aa3b, v185, -v189
	v_mul_u32_u24_sdwa v93, v93, v157 dst_sel:DWORD dst_unused:UNUSED_PAD src0_sel:WORD_1 src1_sel:DWORD
	v_ldexp_f32 v186, v186, v191
	v_rndne_f32_e32 v191, v189
	v_ldexp_f32 v187, v187, v192
	v_fma_f32 v192, 0x3fb8aa3b, v184, -v190
	v_ldexp_f32 v188, v188, v193
	v_cndmask_b32_e64 v186, 0, v186, s19
	v_rndne_f32_e32 v193, v190
	v_cndmask_b32_e64 v187, 0, v187, s21
	v_fmac_f32_e32 v195, 0x32a5705f, v185
	v_cndmask_b32_e64 v188, 0, v188, s22
	v_cndmask_b32_e64 v185, 0x7f800000, v186, s17
	v_fmac_f32_e32 v192, 0x32a5705f, v184
	v_cndmask_b32_e64 v186, 0x7f800000, v187, s18
	v_rndne_f32_e32 v184, v194
	v_cndmask_b32_e64 v187, 0x7f800000, v188, s20
	v_sub_f32_e32 v188, v189, v191
	v_fmac_f32_e32 v178, v163, v185
	v_fmac_f32_e32 v177, v164, v186
	v_sub_f32_e32 v163, v190, v193
	v_fmac_f32_e32 v176, v165, v187
	v_add_f32_e32 v164, v188, v195
	v_fma_f32 v165, 0x3fb8aa3b, v183, -v194
	v_mul_f32_e32 v188, 0x3fb8aa3b, v181
	v_mul_f32_e32 v189, 0x3fb8aa3b, v182
	v_add_f32_e32 v163, v163, v192
	v_exp_f32_e32 v164, v164
	v_fmac_f32_e32 v165, 0x32a5705f, v183
	v_sub_f32_e32 v183, v194, v184
	v_fma_f32 v190, 0x3fb8aa3b, v181, -v188
	v_rndne_f32_e32 v192, v188
	v_fma_f32 v194, 0x3fb8aa3b, v182, -v189
	v_rndne_f32_e32 v195, v189
	v_add_f32_e32 v165, v183, v165
	v_fmac_f32_e32 v190, 0x32a5705f, v181
	v_sub_f32_e32 v181, v188, v192
	v_fmac_f32_e32 v194, 0x32a5705f, v182
	v_sub_f32_e32 v182, v189, v195
	v_exp_f32_e32 v163, v163
	v_exp_f32_e32 v165, v165
	v_add_f32_e32 v181, v181, v190
	v_cvt_i32_f32_e32 v183, v191
	v_add_f32_e32 v182, v182, v194
	v_cvt_i32_f32_e32 v188, v193
	v_cvt_i32_f32_e32 v184, v184
	v_exp_f32_e32 v181, v181
	v_ldexp_f32 v164, v164, v183
	v_exp_f32_e32 v182, v182
	v_ldexp_f32 v163, v163, v188
	v_ldexp_f32 v165, v165, v184
	v_cvt_i32_f32_e32 v183, v192
	v_cvt_i32_f32_e32 v184, v195
	v_cndmask_b32_e64 v164, 0, v164, s11
	v_cndmask_b32_e64 v163, 0, v163, s14
	;; [unrolled: 1-line block ×3, first 2 shown]
	v_ldexp_f32 v181, v181, v183
	v_mul_u32_u24_sdwa v183, v104, v157 dst_sel:DWORD dst_unused:UNUSED_PAD src0_sel:WORD_0 src1_sel:DWORD
	v_ldexp_f32 v182, v182, v184
	v_cndmask_b32_e64 v164, 0x7f800000, v164, s8
	v_cndmask_b32_e64 v163, 0x7f800000, v163, s10
	;; [unrolled: 1-line block ×5, first 2 shown]
	v_fmac_f32_e32 v175, v160, v164
	v_fmac_f32_e32 v174, v161, v163
	;; [unrolled: 1-line block ×3, first 2 shown]
	v_cndmask_b32_e64 v160, 0x7f800000, v181, s9
	v_cndmask_b32_e64 v161, 0x7f800000, v182, s23
	v_cvt_f16_f32_e32 v162, v185
	v_cvt_f16_f32_e32 v181, v186
	;; [unrolled: 1-line block ×3, first 2 shown]
	v_fmac_f32_e32 v172, v158, v160
	v_fmac_f32_e32 v171, v159, v161
	v_mul_u32_u24_sdwa v158, v162, v157 dst_sel:DWORD dst_unused:UNUSED_PAD src0_sel:WORD_0 src1_sel:DWORD
	v_cvt_f16_f32_e32 v164, v164
	v_cvt_f16_f32_e32 v163, v163
	;; [unrolled: 1-line block ×5, first 2 shown]
	v_mul_u32_u24_sdwa v159, v181, v157 dst_sel:DWORD dst_unused:UNUSED_PAD src0_sel:WORD_0 src1_sel:DWORD
	v_mul_u32_u24_sdwa v162, v182, v157 dst_sel:DWORD dst_unused:UNUSED_PAD src0_sel:WORD_0 src1_sel:DWORD
	;; [unrolled: 1-line block ×8, first 2 shown]
	v_pk_mul_f16 v143, v143, v158
	v_mul_u32_u24_sdwa v102, v102, v157 dst_sel:DWORD dst_unused:UNUSED_PAD src0_sel:WORD_1 src1_sel:DWORD
	v_mul_u32_u24_sdwa v182, v103, v157 dst_sel:DWORD dst_unused:UNUSED_PAD src0_sel:WORD_0 src1_sel:DWORD
	v_mul_u32_u24_sdwa v103, v103, v157 dst_sel:DWORD dst_unused:UNUSED_PAD src0_sel:WORD_1 src1_sel:DWORD
	v_mul_u32_u24_sdwa v104, v104, v157 dst_sel:DWORD dst_unused:UNUSED_PAD src0_sel:WORD_1 src1_sel:DWORD
	v_mul_u32_u24_sdwa v184, v105, v157 dst_sel:DWORD dst_unused:UNUSED_PAD src0_sel:WORD_0 src1_sel:DWORD
	v_mul_u32_u24_sdwa v105, v105, v157 dst_sel:DWORD dst_unused:UNUSED_PAD src0_sel:WORD_1 src1_sel:DWORD
	v_mul_u32_u24_sdwa v185, v98, v157 dst_sel:DWORD dst_unused:UNUSED_PAD src0_sel:WORD_0 src1_sel:DWORD
	v_pk_mul_f16 v148, v148, v158
	v_pk_mul_f16 v138, v138, v159
	;; [unrolled: 1-line block ×15, first 2 shown]
	v_pk_fma_f16 v143, v38, v181, v143
	v_mul_u32_u24_sdwa v98, v98, v157 dst_sel:DWORD dst_unused:UNUSED_PAD src0_sel:WORD_1 src1_sel:DWORD
	v_mul_u32_u24_sdwa v186, v99, v157 dst_sel:DWORD dst_unused:UNUSED_PAD src0_sel:WORD_0 src1_sel:DWORD
	v_mul_u32_u24_sdwa v99, v99, v157 dst_sel:DWORD dst_unused:UNUSED_PAD src0_sel:WORD_1 src1_sel:DWORD
	v_mul_u32_u24_sdwa v187, v100, v157 dst_sel:DWORD dst_unused:UNUSED_PAD src0_sel:WORD_0 src1_sel:DWORD
	;; [unrolled: 2-line block ×4, first 2 shown]
	v_pk_fma_f16 v138, v38, v102, v138
	v_pk_fma_f16 v136, v38, v182, v136
	;; [unrolled: 1-line block ×16, first 2 shown]
	v_mul_u32_u24_sdwa v94, v94, v157 dst_sel:DWORD dst_unused:UNUSED_PAD src0_sel:WORD_1 src1_sel:DWORD
	v_mul_u32_u24_sdwa v190, v95, v157 dst_sel:DWORD dst_unused:UNUSED_PAD src0_sel:WORD_0 src1_sel:DWORD
	v_mul_u32_u24_sdwa v95, v95, v157 dst_sel:DWORD dst_unused:UNUSED_PAD src0_sel:WORD_1 src1_sel:DWORD
	v_mul_u32_u24_sdwa v191, v96, v157 dst_sel:DWORD dst_unused:UNUSED_PAD src0_sel:WORD_0 src1_sel:DWORD
	v_mul_u32_u24_sdwa v96, v96, v157 dst_sel:DWORD dst_unused:UNUSED_PAD src0_sel:WORD_1 src1_sel:DWORD
	v_mul_u32_u24_sdwa v192, v97, v157 dst_sel:DWORD dst_unused:UNUSED_PAD src0_sel:WORD_0 src1_sel:DWORD
	v_mul_u32_u24_sdwa v97, v97, v157 dst_sel:DWORD dst_unused:UNUSED_PAD src0_sel:WORD_1 src1_sel:DWORD
	v_mul_u32_u24_sdwa v193, v90, v157 dst_sel:DWORD dst_unused:UNUSED_PAD src0_sel:WORD_0 src1_sel:DWORD
	v_pk_fma_f16 v123, v40, v98, v138
	v_pk_fma_f16 v129, v40, v186, v136
	v_pk_fma_f16 v132, v40, v99, v132
	v_pk_fma_f16 v130, v40, v187, v130
	v_pk_fma_f16 v128, v40, v100, v128
	v_pk_fma_f16 v126, v40, v188, v126
	v_pk_fma_f16 v38, v40, v101, v38
	v_pk_fma_f16 v40, v41, v185, v124
	v_pk_fma_f16 v98, v41, v98, v102
	v_pk_fma_f16 v102, v41, v186, v137
	v_pk_fma_f16 v99, v41, v99, v103
	v_pk_fma_f16 v103, v41, v187, v131
	v_pk_fma_f16 v100, v41, v100, v104
	v_pk_fma_f16 v104, v41, v188, v127
	v_pk_fma_f16 v39, v41, v101, v39
	v_pk_fma_f16 v41, v34, v189, v105
	v_mul_u32_u24_sdwa v90, v90, v157 dst_sel:DWORD dst_unused:UNUSED_PAD src0_sel:WORD_1 src1_sel:DWORD
	v_mul_u32_u24_sdwa v194, v91, v157 dst_sel:DWORD dst_unused:UNUSED_PAD src0_sel:WORD_0 src1_sel:DWORD
	v_mul_u32_u24_sdwa v91, v91, v157 dst_sel:DWORD dst_unused:UNUSED_PAD src0_sel:WORD_1 src1_sel:DWORD
	v_mul_u32_u24_sdwa v195, v92, v157 dst_sel:DWORD dst_unused:UNUSED_PAD src0_sel:WORD_0 src1_sel:DWORD
	v_mul_u32_u24_sdwa v92, v92, v157 dst_sel:DWORD dst_unused:UNUSED_PAD src0_sel:WORD_1 src1_sel:DWORD
	v_mul_u32_u24_sdwa v197, v86, v157 dst_sel:DWORD dst_unused:UNUSED_PAD src0_sel:WORD_0 src1_sel:DWORD
	v_pk_fma_f16 v101, v34, v94, v123
	v_pk_fma_f16 v105, v34, v190, v129
	v_pk_fma_f16 v123, v34, v95, v132
	v_pk_fma_f16 v124, v34, v191, v130
	v_pk_fma_f16 v127, v34, v96, v128
	v_pk_fma_f16 v126, v34, v192, v126
	v_pk_fma_f16 v34, v34, v97, v38
	v_pk_fma_f16 v38, v35, v189, v40
	v_pk_fma_f16 v40, v35, v94, v98
	v_pk_fma_f16 v94, v35, v190, v102
	v_pk_fma_f16 v95, v35, v95, v99
	v_pk_fma_f16 v98, v35, v191, v103
	v_pk_fma_f16 v96, v35, v96, v100
	v_pk_fma_f16 v99, v35, v192, v104
	v_pk_fma_f16 v35, v35, v97, v39
	v_pk_fma_f16 v39, v36, v193, v41
	v_mul_u32_u24_sdwa v86, v86, v157 dst_sel:DWORD dst_unused:UNUSED_PAD src0_sel:WORD_1 src1_sel:DWORD
	v_mul_u32_u24_sdwa v199, v88, v157 dst_sel:DWORD dst_unused:UNUSED_PAD src0_sel:WORD_0 src1_sel:DWORD
	v_mul_u32_u24_sdwa v88, v88, v157 dst_sel:DWORD dst_unused:UNUSED_PAD src0_sel:WORD_1 src1_sel:DWORD
	v_mul_u32_u24_sdwa v200, v89, v157 dst_sel:DWORD dst_unused:UNUSED_PAD src0_sel:WORD_0 src1_sel:DWORD
	v_mul_u32_u24_sdwa v89, v89, v157 dst_sel:DWORD dst_unused:UNUSED_PAD src0_sel:WORD_1 src1_sel:DWORD
	v_mul_u32_u24_sdwa v201, v78, v157 dst_sel:DWORD dst_unused:UNUSED_PAD src0_sel:WORD_0 src1_sel:DWORD
	;; [unrolled: 22-line block ×3, first 2 shown]
	v_mul_u32_u24_sdwa v81, v81, v157 dst_sel:DWORD dst_unused:UNUSED_PAD src0_sel:WORD_1 src1_sel:DWORD
	v_mul_u32_u24_sdwa v205, v82, v157 dst_sel:DWORD dst_unused:UNUSED_PAD src0_sel:WORD_0 src1_sel:DWORD
	v_pk_fma_f16 v39, v30, v86, v41
	v_pk_fma_f16 v41, v30, v198, v97
	v_pk_fma_f16 v93, v30, v87, v100
	v_pk_fma_f16 v95, v30, v199, v101
	v_pk_fma_f16 v96, v30, v88, v102
	v_pk_fma_f16 v97, v30, v200, v103
	v_pk_fma_f16 v30, v30, v89, v34
	v_pk_fma_f16 v34, v31, v197, v36
	v_pk_fma_f16 v36, v31, v86, v38
	v_pk_fma_f16 v38, v31, v198, v40
	v_pk_fma_f16 v40, v31, v87, v90
	v_pk_fma_f16 v86, v31, v199, v91
	v_pk_fma_f16 v87, v31, v88, v92
	v_pk_fma_f16 v88, v31, v200, v94
	v_pk_fma_f16 v31, v31, v89, v35
	v_pk_fma_f16 v35, v32, v201, v37
	v_mul_u32_u24_sdwa v82, v82, v157 dst_sel:DWORD dst_unused:UNUSED_PAD src0_sel:WORD_1 src1_sel:DWORD
	v_mul_u32_u24_sdwa v206, v83, v157 dst_sel:DWORD dst_unused:UNUSED_PAD src0_sel:WORD_0 src1_sel:DWORD
	v_mul_u32_u24_sdwa v83, v83, v157 dst_sel:DWORD dst_unused:UNUSED_PAD src0_sel:WORD_1 src1_sel:DWORD
	v_mul_u32_u24_sdwa v207, v84, v157 dst_sel:DWORD dst_unused:UNUSED_PAD src0_sel:WORD_0 src1_sel:DWORD
	v_mul_u32_u24_sdwa v84, v84, v157 dst_sel:DWORD dst_unused:UNUSED_PAD src0_sel:WORD_1 src1_sel:DWORD
	v_mul_u32_u24_sdwa v208, v85, v157 dst_sel:DWORD dst_unused:UNUSED_PAD src0_sel:WORD_0 src1_sel:DWORD
	v_mul_u32_u24_sdwa v85, v85, v157 dst_sel:DWORD dst_unused:UNUSED_PAD src0_sel:WORD_1 src1_sel:DWORD
	v_mul_u32_u24_sdwa v209, v74, v157 dst_sel:DWORD dst_unused:UNUSED_PAD src0_sel:WORD_0 src1_sel:DWORD
	v_pk_fma_f16 v37, v32, v78, v39
	v_pk_fma_f16 v39, v32, v202, v41
	v_pk_fma_f16 v41, v32, v79, v93
	v_pk_fma_f16 v89, v32, v203, v95
	v_pk_fma_f16 v90, v32, v80, v96
	v_pk_fma_f16 v91, v32, v204, v97
	v_pk_fma_f16 v30, v32, v81, v30
	v_pk_fma_f16 v32, v33, v201, v34
	v_pk_fma_f16 v34, v33, v78, v36
	v_pk_fma_f16 v36, v33, v202, v38
	v_pk_fma_f16 v38, v33, v79, v40
	v_pk_fma_f16 v40, v33, v203, v86
	v_pk_fma_f16 v78, v33, v80, v87
	v_pk_fma_f16 v79, v33, v204, v88
	v_pk_fma_f16 v31, v33, v81, v31
	v_pk_fma_f16 v33, v26, v205, v35
	v_mul_u32_u24_sdwa v74, v74, v157 dst_sel:DWORD dst_unused:UNUSED_PAD src0_sel:WORD_1 src1_sel:DWORD
	v_mul_u32_u24_sdwa v210, v75, v157 dst_sel:DWORD dst_unused:UNUSED_PAD src0_sel:WORD_0 src1_sel:DWORD
	v_mul_u32_u24_sdwa v75, v75, v157 dst_sel:DWORD dst_unused:UNUSED_PAD src0_sel:WORD_1 src1_sel:DWORD
	v_mul_u32_u24_sdwa v211, v76, v157 dst_sel:DWORD dst_unused:UNUSED_PAD src0_sel:WORD_0 src1_sel:DWORD
	v_mul_u32_u24_sdwa v76, v76, v157 dst_sel:DWORD dst_unused:UNUSED_PAD src0_sel:WORD_1 src1_sel:DWORD
	v_mul_u32_u24_sdwa v212, v77, v157 dst_sel:DWORD dst_unused:UNUSED_PAD src0_sel:WORD_0 src1_sel:DWORD
	;; [unrolled: 24-line block ×9, first 2 shown]
	v_mul_u32_u24_sdwa v49, v49, v157 dst_sel:DWORD dst_unused:UNUSED_PAD src0_sel:WORD_1 src1_sel:DWORD
	v_mul_u32_u24_sdwa v241, v42, v157 dst_sel:DWORD dst_unused:UNUSED_PAD src0_sel:WORD_0 src1_sel:DWORD
	v_pk_fma_f16 v21, v16, v50, v23
	v_pk_fma_f16 v23, v16, v234, v25
	;; [unrolled: 1-line block ×16, first 2 shown]
	v_mul_u32_u24_sdwa v42, v42, v157 dst_sel:DWORD dst_unused:UNUSED_PAD src0_sel:WORD_1 src1_sel:DWORD
	v_mul_u32_u24_sdwa v242, v43, v157 dst_sel:DWORD dst_unused:UNUSED_PAD src0_sel:WORD_0 src1_sel:DWORD
	v_pk_fma_f16 v19, v10, v46, v21
	v_pk_fma_f16 v21, v10, v238, v23
	;; [unrolled: 1-line block ×16, first 2 shown]
	s_waitcnt lgkmcnt(0)
	s_barrier
	buffer_gl0_inv
	ds_read_b128 v[14:17], v149 offset:256
	v_mul_u32_u24_sdwa v43, v43, v157 dst_sel:DWORD dst_unused:UNUSED_PAD src0_sel:WORD_1 src1_sel:DWORD
	v_mul_u32_u24_sdwa v243, v44, v157 dst_sel:DWORD dst_unused:UNUSED_PAD src0_sel:WORD_0 src1_sel:DWORD
	v_mul_u32_u24_sdwa v44, v44, v157 dst_sel:DWORD dst_unused:UNUSED_PAD src0_sel:WORD_1 src1_sel:DWORD
	v_mul_u32_u24_sdwa v244, v45, v157 dst_sel:DWORD dst_unused:UNUSED_PAD src0_sel:WORD_0 src1_sel:DWORD
	v_mul_u32_u24_sdwa v45, v45, v157 dst_sel:DWORD dst_unused:UNUSED_PAD src0_sel:WORD_1 src1_sel:DWORD
	v_pk_fma_f16 v34, v12, v42, v19
	v_pk_fma_f16 v35, v12, v242, v21
	ds_read2_b64 v[18:21], v180 offset1:28
	v_pk_fma_f16 v36, v12, v43, v23
	v_pk_fma_f16 v37, v12, v243, v25
	;; [unrolled: 1-line block ×13, first 2 shown]
	ds_read_b128 v[10:13], v149 offset:272
	ds_read_b128 v[22:25], v149 offset:288
	;; [unrolled: 1-line block ×3, first 2 shown]
	s_waitcnt lgkmcnt(4)
	v_mul_u32_u24_sdwa v46, v14, v157 dst_sel:DWORD dst_unused:UNUSED_PAD src0_sel:WORD_0 src1_sel:DWORD
	v_mul_u32_u24_sdwa v14, v14, v157 dst_sel:DWORD dst_unused:UNUSED_PAD src0_sel:WORD_1 src1_sel:DWORD
	v_mul_u32_u24_sdwa v47, v15, v157 dst_sel:DWORD dst_unused:UNUSED_PAD src0_sel:WORD_0 src1_sel:DWORD
	v_mul_u32_u24_sdwa v15, v15, v157 dst_sel:DWORD dst_unused:UNUSED_PAD src0_sel:WORD_1 src1_sel:DWORD
	;; [unrolled: 2-line block ×4, first 2 shown]
	s_waitcnt lgkmcnt(3)
	v_pk_fma_f16 v33, v18, v46, v33
	v_pk_fma_f16 v34, v18, v14, v34
	;; [unrolled: 1-line block ×16, first 2 shown]
	s_waitcnt lgkmcnt(2)
	v_mul_u32_u24_sdwa v19, v10, v157 dst_sel:DWORD dst_unused:UNUSED_PAD src0_sel:WORD_0 src1_sel:DWORD
	v_mul_u32_u24_sdwa v41, v10, v157 dst_sel:DWORD dst_unused:UNUSED_PAD src0_sel:WORD_1 src1_sel:DWORD
	v_mul_u32_u24_sdwa v42, v11, v157 dst_sel:DWORD dst_unused:UNUSED_PAD src0_sel:WORD_0 src1_sel:DWORD
	v_mul_u32_u24_sdwa v43, v11, v157 dst_sel:DWORD dst_unused:UNUSED_PAD src0_sel:WORD_1 src1_sel:DWORD
	;; [unrolled: 2-line block ×4, first 2 shown]
	ds_read2_b64 v[10:13], v180 offset0:56 offset1:84
	v_pk_fma_f16 v33, v20, v19, v33
	v_pk_fma_f16 v34, v20, v41, v34
	;; [unrolled: 1-line block ×16, first 2 shown]
	s_waitcnt lgkmcnt(2)
	v_mul_u32_u24_sdwa v21, v22, v157 dst_sel:DWORD dst_unused:UNUSED_PAD src0_sel:WORD_0 src1_sel:DWORD
	v_mul_u32_u24_sdwa v22, v22, v157 dst_sel:DWORD dst_unused:UNUSED_PAD src0_sel:WORD_1 src1_sel:DWORD
	v_mul_u32_u24_sdwa v32, v23, v157 dst_sel:DWORD dst_unused:UNUSED_PAD src0_sel:WORD_0 src1_sel:DWORD
	v_mul_u32_u24_sdwa v23, v23, v157 dst_sel:DWORD dst_unused:UNUSED_PAD src0_sel:WORD_1 src1_sel:DWORD
	;; [unrolled: 2-line block ×4, first 2 shown]
	s_waitcnt lgkmcnt(0)
	v_pk_fma_f16 v33, v10, v21, v33
	v_pk_fma_f16 v34, v10, v22, v34
	;; [unrolled: 1-line block ×16, first 2 shown]
	v_mul_u32_u24_sdwa v25, v26, v157 dst_sel:DWORD dst_unused:UNUSED_PAD src0_sel:WORD_0 src1_sel:DWORD
	v_mul_u32_u24_sdwa v26, v26, v157 dst_sel:DWORD dst_unused:UNUSED_PAD src0_sel:WORD_1 src1_sel:DWORD
	v_mul_u32_u24_sdwa v40, v27, v157 dst_sel:DWORD dst_unused:UNUSED_PAD src0_sel:WORD_0 src1_sel:DWORD
	v_mul_u32_u24_sdwa v27, v27, v157 dst_sel:DWORD dst_unused:UNUSED_PAD src0_sel:WORD_1 src1_sel:DWORD
	v_mul_u32_u24_sdwa v41, v28, v157 dst_sel:DWORD dst_unused:UNUSED_PAD src0_sel:WORD_0 src1_sel:DWORD
	v_mul_u32_u24_sdwa v28, v28, v157 dst_sel:DWORD dst_unused:UNUSED_PAD src0_sel:WORD_1 src1_sel:DWORD
	v_mul_u32_u24_sdwa v43, v29, v157 dst_sel:DWORD dst_unused:UNUSED_PAD src0_sel:WORD_0 src1_sel:DWORD
	ds_read_b128 v[14:17], v149 offset:320
	v_mul_u32_u24_sdwa v29, v29, v157 dst_sel:DWORD dst_unused:UNUSED_PAD src0_sel:WORD_1 src1_sel:DWORD
	v_pk_fma_f16 v33, v12, v25, v33
	v_pk_fma_f16 v34, v12, v26, v34
	v_pk_fma_f16 v35, v12, v40, v35
	v_pk_fma_f16 v36, v12, v27, v36
	v_pk_fma_f16 v37, v12, v41, v37
	v_pk_fma_f16 v38, v12, v28, v38
	ds_read2_b64 v[18:21], v180 offset0:112 offset1:140
	v_pk_fma_f16 v39, v12, v43, v39
	v_pk_fma_f16 v44, v12, v29, v10
	v_pk_fma_f16 v25, v13, v25, v42
	v_pk_fma_f16 v22, v13, v26, v22
	v_pk_fma_f16 v26, v13, v40, v32
	v_pk_fma_f16 v23, v13, v27, v23
	v_pk_fma_f16 v27, v13, v41, v30
	v_pk_fma_f16 v24, v13, v28, v24
	v_pk_fma_f16 v28, v13, v43, v31
	v_pk_fma_f16 v29, v13, v29, v11
	ds_read_b128 v[10:13], v149 offset:336
	s_waitcnt lgkmcnt(2)
	v_mul_u32_u24_sdwa v30, v14, v157 dst_sel:DWORD dst_unused:UNUSED_PAD src0_sel:WORD_0 src1_sel:DWORD
	v_mul_u32_u24_sdwa v14, v14, v157 dst_sel:DWORD dst_unused:UNUSED_PAD src0_sel:WORD_1 src1_sel:DWORD
	v_mul_u32_u24_sdwa v31, v15, v157 dst_sel:DWORD dst_unused:UNUSED_PAD src0_sel:WORD_0 src1_sel:DWORD
	v_mul_u32_u24_sdwa v15, v15, v157 dst_sel:DWORD dst_unused:UNUSED_PAD src0_sel:WORD_1 src1_sel:DWORD
	v_mul_u32_u24_sdwa v32, v16, v157 dst_sel:DWORD dst_unused:UNUSED_PAD src0_sel:WORD_0 src1_sel:DWORD
	v_mul_u32_u24_sdwa v16, v16, v157 dst_sel:DWORD dst_unused:UNUSED_PAD src0_sel:WORD_1 src1_sel:DWORD
	v_mul_u32_u24_sdwa v40, v17, v157 dst_sel:DWORD dst_unused:UNUSED_PAD src0_sel:WORD_0 src1_sel:DWORD
	v_mul_u32_u24_sdwa v17, v17, v157 dst_sel:DWORD dst_unused:UNUSED_PAD src0_sel:WORD_1 src1_sel:DWORD
	s_waitcnt lgkmcnt(1)
	v_pk_fma_f16 v33, v18, v30, v33
	v_pk_fma_f16 v34, v18, v14, v34
	v_pk_fma_f16 v35, v18, v31, v35
	v_pk_fma_f16 v36, v18, v15, v36
	v_pk_fma_f16 v37, v18, v32, v37
	v_pk_fma_f16 v38, v18, v16, v38
	v_pk_fma_f16 v39, v18, v40, v39
	v_pk_fma_f16 v18, v18, v17, v44
	v_pk_fma_f16 v25, v19, v30, v25
	v_pk_fma_f16 v22, v19, v14, v22
	v_pk_fma_f16 v26, v19, v31, v26
	v_pk_fma_f16 v23, v19, v15, v23
	v_pk_fma_f16 v27, v19, v32, v27
	v_pk_fma_f16 v24, v19, v16, v24
	v_pk_fma_f16 v28, v19, v40, v28
	v_pk_fma_f16 v19, v19, v17, v29
	s_waitcnt lgkmcnt(0)
	v_mul_u32_u24_sdwa v29, v10, v157 dst_sel:DWORD dst_unused:UNUSED_PAD src0_sel:WORD_0 src1_sel:DWORD
	v_mul_u32_u24_sdwa v30, v10, v157 dst_sel:DWORD dst_unused:UNUSED_PAD src0_sel:WORD_1 src1_sel:DWORD
	v_mul_u32_u24_sdwa v31, v11, v157 dst_sel:DWORD dst_unused:UNUSED_PAD src0_sel:WORD_0 src1_sel:DWORD
	v_mul_u32_u24_sdwa v32, v11, v157 dst_sel:DWORD dst_unused:UNUSED_PAD src0_sel:WORD_1 src1_sel:DWORD
	v_mul_u32_u24_sdwa v40, v12, v157 dst_sel:DWORD dst_unused:UNUSED_PAD src0_sel:WORD_0 src1_sel:DWORD
	v_mul_u32_u24_sdwa v41, v12, v157 dst_sel:DWORD dst_unused:UNUSED_PAD src0_sel:WORD_1 src1_sel:DWORD
	v_mul_u32_u24_sdwa v42, v13, v157 dst_sel:DWORD dst_unused:UNUSED_PAD src0_sel:WORD_0 src1_sel:DWORD
	ds_read_b128 v[14:17], v149 offset:352
	v_mul_u32_u24_sdwa v43, v13, v157 dst_sel:DWORD dst_unused:UNUSED_PAD src0_sel:WORD_1 src1_sel:DWORD
	v_pk_fma_f16 v33, v20, v29, v33
	v_pk_fma_f16 v34, v20, v30, v34
	v_pk_fma_f16 v35, v20, v31, v35
	v_pk_fma_f16 v36, v20, v32, v36
	v_pk_fma_f16 v37, v20, v40, v37
	v_pk_fma_f16 v38, v20, v41, v38
	ds_read2_b64 v[10:13], v180 offset0:168 offset1:196
	v_pk_fma_f16 v39, v20, v42, v39
	v_pk_fma_f16 v44, v20, v43, v18
	v_pk_fma_f16 v25, v21, v29, v25
	v_pk_fma_f16 v22, v21, v30, v22
	v_pk_fma_f16 v26, v21, v31, v26
	v_pk_fma_f16 v23, v21, v32, v23
	v_pk_fma_f16 v27, v21, v40, v27
	v_pk_fma_f16 v24, v21, v41, v24
	v_pk_fma_f16 v28, v21, v42, v28
	v_pk_fma_f16 v29, v21, v43, v19
	ds_read_b128 v[18:21], v149 offset:368
	s_waitcnt lgkmcnt(2)
	v_mul_u32_u24_sdwa v30, v14, v157 dst_sel:DWORD dst_unused:UNUSED_PAD src0_sel:WORD_0 src1_sel:DWORD
	v_mul_u32_u24_sdwa v14, v14, v157 dst_sel:DWORD dst_unused:UNUSED_PAD src0_sel:WORD_1 src1_sel:DWORD
	v_mul_u32_u24_sdwa v31, v15, v157 dst_sel:DWORD dst_unused:UNUSED_PAD src0_sel:WORD_0 src1_sel:DWORD
	v_mul_u32_u24_sdwa v15, v15, v157 dst_sel:DWORD dst_unused:UNUSED_PAD src0_sel:WORD_1 src1_sel:DWORD
	v_mul_u32_u24_sdwa v32, v16, v157 dst_sel:DWORD dst_unused:UNUSED_PAD src0_sel:WORD_0 src1_sel:DWORD
	v_mul_u32_u24_sdwa v16, v16, v157 dst_sel:DWORD dst_unused:UNUSED_PAD src0_sel:WORD_1 src1_sel:DWORD
	v_mul_u32_u24_sdwa v40, v17, v157 dst_sel:DWORD dst_unused:UNUSED_PAD src0_sel:WORD_0 src1_sel:DWORD
	v_mul_u32_u24_sdwa v17, v17, v157 dst_sel:DWORD dst_unused:UNUSED_PAD src0_sel:WORD_1 src1_sel:DWORD
	s_waitcnt lgkmcnt(1)
	v_pk_fma_f16 v33, v10, v30, v33
	v_pk_fma_f16 v34, v10, v14, v34
	v_pk_fma_f16 v35, v10, v31, v35
	v_pk_fma_f16 v36, v10, v15, v36
	v_pk_fma_f16 v37, v10, v32, v37
	v_pk_fma_f16 v38, v10, v16, v38
	v_pk_fma_f16 v39, v10, v40, v39
	v_pk_fma_f16 v10, v10, v17, v44
	v_pk_fma_f16 v25, v11, v30, v25
	v_pk_fma_f16 v22, v11, v14, v22
	v_pk_fma_f16 v26, v11, v31, v26
	v_pk_fma_f16 v23, v11, v15, v23
	v_pk_fma_f16 v27, v11, v32, v27
	v_pk_fma_f16 v24, v11, v16, v24
	v_pk_fma_f16 v28, v11, v40, v28
	v_pk_fma_f16 v11, v11, v17, v29
	s_waitcnt lgkmcnt(0)
	;; [unrolled: 54-line block ×5, first 2 shown]
	v_mul_u32_u24_sdwa v29, v10, v157 dst_sel:DWORD dst_unused:UNUSED_PAD src0_sel:WORD_0 src1_sel:DWORD
	v_mul_u32_u24_sdwa v30, v10, v157 dst_sel:DWORD dst_unused:UNUSED_PAD src0_sel:WORD_1 src1_sel:DWORD
	v_mul_u32_u24_sdwa v31, v11, v157 dst_sel:DWORD dst_unused:UNUSED_PAD src0_sel:WORD_0 src1_sel:DWORD
	v_mul_u32_u24_sdwa v32, v11, v157 dst_sel:DWORD dst_unused:UNUSED_PAD src0_sel:WORD_1 src1_sel:DWORD
	;; [unrolled: 2-line block ×3, first 2 shown]
	v_mul_u32_u24_sdwa v42, v13, v157 dst_sel:DWORD dst_unused:UNUSED_PAD src0_sel:WORD_0 src1_sel:DWORD
	ds_read_b128 v[14:17], v149 offset:480
	v_mul_u32_u24_sdwa v43, v13, v157 dst_sel:DWORD dst_unused:UNUSED_PAD src0_sel:WORD_1 src1_sel:DWORD
	v_pk_fma_f16 v33, v20, v29, v33
	v_pk_fma_f16 v34, v20, v30, v34
	;; [unrolled: 1-line block ×6, first 2 shown]
	ds_read2_b64 v[10:13], v179 offset0:136 offset1:164
	v_pk_fma_f16 v39, v20, v42, v39
	v_pk_fma_f16 v44, v20, v43, v18
	;; [unrolled: 1-line block ×10, first 2 shown]
	ds_read_b128 v[18:21], v149 offset:496
	s_waitcnt lgkmcnt(0)
	s_barrier
	buffer_gl0_inv
	s_load_dword s8, s[36:37], 0x4
	v_mul_u32_u24_sdwa v30, v14, v157 dst_sel:DWORD dst_unused:UNUSED_PAD src0_sel:WORD_0 src1_sel:DWORD
	v_mul_u32_u24_sdwa v14, v14, v157 dst_sel:DWORD dst_unused:UNUSED_PAD src0_sel:WORD_1 src1_sel:DWORD
	v_mul_u32_u24_sdwa v31, v15, v157 dst_sel:DWORD dst_unused:UNUSED_PAD src0_sel:WORD_0 src1_sel:DWORD
	v_mul_u32_u24_sdwa v15, v15, v157 dst_sel:DWORD dst_unused:UNUSED_PAD src0_sel:WORD_1 src1_sel:DWORD
	;; [unrolled: 2-line block ×4, first 2 shown]
	v_pk_fma_f16 v33, v10, v30, v33
	v_pk_fma_f16 v34, v10, v14, v34
	;; [unrolled: 1-line block ×16, first 2 shown]
	v_mul_u32_u24_sdwa v17, v18, v157 dst_sel:DWORD dst_unused:UNUSED_PAD src0_sel:WORD_0 src1_sel:DWORD
	v_mul_u32_u24_sdwa v18, v18, v157 dst_sel:DWORD dst_unused:UNUSED_PAD src0_sel:WORD_1 src1_sel:DWORD
	v_mul_u32_u24_sdwa v26, v19, v157 dst_sel:DWORD dst_unused:UNUSED_PAD src0_sel:WORD_0 src1_sel:DWORD
	v_mul_u32_u24_sdwa v19, v19, v157 dst_sel:DWORD dst_unused:UNUSED_PAD src0_sel:WORD_1 src1_sel:DWORD
	;; [unrolled: 2-line block ×4, first 2 shown]
	s_waitcnt lgkmcnt(0)
	s_lshl_b32 s8, s8, 5
	v_pk_fma_f16 v143, v12, v17, v33
	v_pk_fma_f16 v138, v12, v18, v34
	;; [unrolled: 1-line block ×16, first 2 shown]
	s_add_i32 s31, s8, s31
	s_cmp_ge_i32 s31, s34
	s_cbranch_scc1 .LBB17_45
; %bb.36:                               ;   in Loop: Header=BB17_19 Depth=1
	v_mov_b32_e32 v10, v2
	v_mov_b32_e32 v11, v3
	;; [unrolled: 1-line block ×16, first 2 shown]
	s_branch .LBB17_19
.LBB17_37:                              ;   in Loop: Header=BB17_19 Depth=1
	v_add_co_u32 v2, s8, s9, v107
	v_add_co_ci_u32_e64 v3, null, s10, v108, s8
	global_load_dwordx4 v[2:5], v[2:3], off offset:96
	s_waitcnt vmcnt(0)
	ds_write_b128 v142, v[2:5]
	s_or_b32 exec_lo, exec_lo, s11
	s_and_saveexec_b32 s11, s1
	s_cbranch_execz .LBB17_21
.LBB17_38:                              ;   in Loop: Header=BB17_19 Depth=1
	v_add_co_u32 v2, s8, s9, v109
	v_add_co_ci_u32_e64 v3, null, s10, v110, s8
	v_add_co_u32 v2, s8, v2, v155
	v_add_co_ci_u32_e64 v3, null, 0, v3, s8
	global_load_dwordx4 v[2:5], v[2:3], off offset:64
	s_waitcnt vmcnt(0)
	ds_write_b128 v144, v[2:5]
	s_or_b32 exec_lo, exec_lo, s11
	s_and_saveexec_b32 s11, s2
	s_cbranch_execnz .LBB17_22
	s_branch .LBB17_23
.LBB17_39:                              ;   in Loop: Header=BB17_19 Depth=1
	v_add_co_u32 v18, s8, s9, v107
	v_add_co_ci_u32_e64 v19, null, s10, v108, s8
	global_load_dwordx4 v[18:21], v[18:19], off offset:208
	s_waitcnt vmcnt(0)
	ds_write_b128 v142, v[18:21]
	s_or_b32 exec_lo, exec_lo, s11
	s_and_saveexec_b32 s11, s1
	s_cbranch_execz .LBB17_25
.LBB17_40:                              ;   in Loop: Header=BB17_19 Depth=1
	v_add_co_u32 v18, s8, s9, v109
	v_add_co_ci_u32_e64 v19, null, s10, v110, s8
	v_add_co_u32 v18, s8, v18, v155
	v_add_co_ci_u32_e64 v19, null, 0, v19, s8
	global_load_dwordx4 v[18:21], v[18:19], off offset:176
	s_waitcnt vmcnt(0)
	ds_write_b128 v144, v[18:21]
	s_or_b32 exec_lo, exec_lo, s11
	s_and_saveexec_b32 s11, s2
	s_cbranch_execnz .LBB17_26
	s_branch .LBB17_27
.LBB17_41:                              ;   in Loop: Header=BB17_19 Depth=1
	v_add_co_u32 v10, s24, s25, v113
	v_add_co_ci_u32_e64 v11, null, s43, v114, s24
	v_add_co_u32 v10, s24, v10, v155
	v_add_co_ci_u32_e64 v11, null, 0, v11, s24
	global_load_dwordx4 v[10:13], v[10:11], off offset:192
	s_waitcnt vmcnt(0)
	ds_write_b128 v151, v[10:13]
	s_or_b32 exec_lo, exec_lo, s46
	s_and_saveexec_b32 s46, s6
	s_cbranch_execz .LBB17_29
.LBB17_42:                              ;   in Loop: Header=BB17_19 Depth=1
	v_add_co_u32 v10, s24, s25, v115
	v_add_co_ci_u32_e64 v11, null, s43, v116, s24
	v_add_co_u32 v10, s24, v10, v156
	v_add_co_ci_u32_e64 v11, null, 0, v11, s24
	global_load_dwordx4 v[10:13], v[10:11], off offset:128
	s_waitcnt vmcnt(0)
	ds_write_b128 v152, v[10:13]
	s_or_b32 exec_lo, exec_lo, s46
	v_lshlrev_b32_e32 v189, 2, v150
	s_and_saveexec_b32 s46, s7
	s_cbranch_execnz .LBB17_30
	s_branch .LBB17_31
.LBB17_43:                              ;   in Loop: Header=BB17_19 Depth=1
	v_add_co_u32 v190, s24, s25, v113
	v_add_co_ci_u32_e64 v191, null, s43, v114, s24
	v_add_co_u32 v190, s24, v190, v155
	v_add_co_ci_u32_e64 v191, null, 0, v191, s24
	global_load_dwordx4 v[190:193], v[190:191], off offset:192
	s_waitcnt vmcnt(0)
	ds_write_b128 v151, v[190:193]
	s_or_b32 exec_lo, exec_lo, s46
	s_and_saveexec_b32 s46, s6
	s_cbranch_execz .LBB17_33
.LBB17_44:                              ;   in Loop: Header=BB17_19 Depth=1
	v_add_co_u32 v190, s24, s25, v115
	v_add_co_ci_u32_e64 v191, null, s43, v116, s24
	v_add_co_u32 v190, s24, v190, v156
	v_add_co_ci_u32_e64 v191, null, 0, v191, s24
	global_load_dwordx4 v[190:193], v[190:191], off offset:128
	s_waitcnt vmcnt(0)
	ds_write_b128 v152, v[190:193]
	s_or_b32 exec_lo, exec_lo, s46
	s_and_saveexec_b32 s46, s7
	s_cbranch_execnz .LBB17_34
	s_branch .LBB17_35
.LBB17_45:
	v_mov_b32_e32 v10, v135
.LBB17_46:
	v_cmp_lt_i32_e32 vcc_lo, v166, v134
	s_cmp_lg_u64 s[44:45], 0
	s_cselect_b32 s1, -1, 0
	s_cmp_eq_u32 s28, 0
	v_cndmask_b32_e32 v11, v10, v166, vcc_lo
	v_cmp_lt_i32_e32 vcc_lo, v167, v134
	s_cselect_b32 s2, -1, 0
	s_and_b32 s1, s2, s1
	v_lshlrev_b32_e32 v11, 2, v11
	v_cndmask_b32_e32 v19, v10, v167, vcc_lo
	v_cmp_lt_i32_e32 vcc_lo, v168, v134
	ds_bpermute_b32 v12, v11, v178
	ds_bpermute_b32 v13, v11, v177
	;; [unrolled: 1-line block ×8, first 2 shown]
	v_lshlrev_b32_e32 v19, 2, v19
	v_cndmask_b32_e32 v27, v10, v168, vcc_lo
	v_cmp_lt_i32_e32 vcc_lo, v169, v134
	v_lshlrev_b32_e32 v27, 2, v27
	s_waitcnt lgkmcnt(7)
	v_add_f32_e32 v12, v178, v12
	s_waitcnt lgkmcnt(6)
	v_add_f32_e32 v13, v177, v13
	;; [unrolled: 2-line block ×8, first 2 shown]
	ds_bpermute_b32 v20, v19, v12
	ds_bpermute_b32 v21, v19, v13
	;; [unrolled: 1-line block ×8, first 2 shown]
	s_waitcnt lgkmcnt(7)
	v_add_f32_e32 v12, v12, v20
	s_waitcnt lgkmcnt(6)
	v_add_f32_e32 v13, v13, v21
	;; [unrolled: 2-line block ×8, first 2 shown]
	ds_bpermute_b32 v19, v27, v12
	ds_bpermute_b32 v20, v27, v13
	;; [unrolled: 1-line block ×8, first 2 shown]
	v_cndmask_b32_e32 v27, v10, v169, vcc_lo
	v_cmp_lt_i32_e32 vcc_lo, v170, v134
	v_lshlrev_b32_e32 v27, 2, v27
	v_cndmask_b32_e32 v10, v10, v170, vcc_lo
	s_and_b32 vcc_lo, exec_lo, s1
	v_lshlrev_b32_e32 v10, 2, v10
	s_waitcnt lgkmcnt(7)
	v_add_f32_e32 v12, v12, v19
	s_waitcnt lgkmcnt(6)
	v_add_f32_e32 v13, v13, v20
	;; [unrolled: 2-line block ×8, first 2 shown]
	ds_bpermute_b32 v19, v27, v12
	ds_bpermute_b32 v20, v27, v13
	;; [unrolled: 1-line block ×8, first 2 shown]
	s_waitcnt lgkmcnt(7)
	v_add_f32_e32 v12, v12, v19
	s_waitcnt lgkmcnt(6)
	v_add_f32_e32 v13, v13, v20
	;; [unrolled: 2-line block ×8, first 2 shown]
	ds_bpermute_b32 v11, v10, v12
	ds_bpermute_b32 v20, v10, v13
	;; [unrolled: 1-line block ×8, first 2 shown]
	s_waitcnt lgkmcnt(7)
	v_add_f32_e32 v10, v12, v11
	s_waitcnt lgkmcnt(6)
	v_add_f32_e32 v11, v13, v20
	;; [unrolled: 2-line block ×8, first 2 shown]
	s_cbranch_vccz .LBB17_48
; %bb.47:
	s_ashr_i32 s31, s30, 31
	v_mov_b32_e32 v18, 0
	s_lshl_b64 s[2:3], s[30:31], 2
	v_max_f32_e32 v19, v3, v3
	s_add_u32 s2, s44, s2
	s_addc_u32 s3, s45, s3
	v_max_f32_e32 v20, v4, v4
	global_load_dwordx4 v[27:30], v18, s[2:3]
	v_max_f32_e32 v18, v2, v2
	v_max_f32_e32 v21, v5, v5
	;; [unrolled: 1-line block ×6, first 2 shown]
	v_mov_b32_e32 v26, 0x10001
	s_waitcnt vmcnt(0)
	v_max_f32_e32 v25, v27, v27
	v_max_f32_e32 v31, v28, v28
	;; [unrolled: 1-line block ×12, first 2 shown]
	v_sub_f32_e32 v31, v2, v18
	v_sub_f32_e32 v33, v3, v19
	;; [unrolled: 1-line block ×8, first 2 shown]
	v_mov_b32_e32 v2, v18
	v_sub_f32_e32 v32, v27, v18
	v_mov_b32_e32 v3, v19
	v_mov_b32_e32 v4, v20
	;; [unrolled: 1-line block ×7, first 2 shown]
	v_mul_f32_e32 v18, 0x3fb8aa3b, v31
	v_sub_f32_e32 v34, v28, v19
	v_mul_f32_e32 v19, 0x3fb8aa3b, v32
	v_sub_f32_e32 v36, v29, v20
	v_mul_f32_e32 v20, 0x3fb8aa3b, v33
	v_fma_f32 v51, 0x3fb8aa3b, v31, -v18
	v_rndne_f32_e32 v52, v18
	v_fma_f32 v53, 0x3fb8aa3b, v32, -v19
	v_rndne_f32_e32 v54, v19
	v_sub_f32_e32 v38, v30, v21
	v_fmac_f32_e32 v51, 0x32a5705f, v31
	v_sub_f32_e32 v18, v18, v52
	v_mul_f32_e32 v21, 0x3fb8aa3b, v34
	v_fma_f32 v55, 0x3fb8aa3b, v33, -v20
	v_rndne_f32_e32 v56, v20
	v_fmac_f32_e32 v53, 0x32a5705f, v32
	v_sub_f32_e32 v19, v19, v54
	v_add_f32_e32 v18, v18, v51
	v_sub_f32_e32 v27, v27, v22
	v_mul_f32_e32 v22, 0x3fb8aa3b, v35
	v_fma_f32 v57, 0x3fb8aa3b, v34, -v21
	v_rndne_f32_e32 v58, v21
	v_fmac_f32_e32 v55, 0x32a5705f, v33
	v_sub_f32_e32 v20, v20, v56
	v_add_f32_e32 v19, v19, v53
	v_exp_f32_e32 v18, v18
	v_sub_f32_e32 v28, v28, v23
	v_mul_f32_e32 v23, 0x3fb8aa3b, v36
	v_fma_f32 v59, 0x3fb8aa3b, v35, -v22
	v_rndne_f32_e32 v60, v22
	v_cvt_i32_f32_e32 v52, v52
	v_fmac_f32_e32 v57, 0x32a5705f, v34
	v_sub_f32_e32 v21, v21, v58
	v_add_f32_e32 v20, v20, v55
	v_exp_f32_e32 v19, v19
	v_sub_f32_e32 v29, v29, v24
	v_mul_f32_e32 v24, 0x3fb8aa3b, v37
	v_fma_f32 v61, 0x3fb8aa3b, v36, -v23
	v_rndne_f32_e32 v62, v23
	v_cvt_i32_f32_e32 v54, v54
	v_fmac_f32_e32 v59, 0x32a5705f, v35
	v_sub_f32_e32 v22, v22, v60
	v_add_f32_e32 v21, v21, v57
	v_exp_f32_e32 v20, v20
	v_ldexp_f32 v18, v18, v52
	v_cmp_ngt_f32_e32 vcc_lo, 0xc2ce8ed0, v31
	v_sub_f32_e32 v30, v30, v25
	v_mul_f32_e32 v25, 0x3fb8aa3b, v38
	v_fma_f32 v63, 0x3fb8aa3b, v37, -v24
	v_rndne_f32_e32 v64, v24
	v_cvt_i32_f32_e32 v56, v56
	v_fmac_f32_e32 v61, 0x32a5705f, v36
	v_sub_f32_e32 v23, v23, v62
	v_add_f32_e32 v22, v22, v59
	v_exp_f32_e32 v21, v21
	v_ldexp_f32 v19, v19, v54
	v_cndmask_b32_e32 v18, 0, v18, vcc_lo
	v_cmp_ngt_f32_e32 vcc_lo, 0xc2ce8ed0, v32
	v_mul_f32_e32 v43, 0x3fb8aa3b, v39
	v_fma_f32 v65, 0x3fb8aa3b, v38, -v25
	v_rndne_f32_e32 v66, v25
	v_cvt_i32_f32_e32 v58, v58
	v_fmac_f32_e32 v63, 0x32a5705f, v37
	v_sub_f32_e32 v24, v24, v64
	v_add_f32_e32 v23, v23, v61
	v_exp_f32_e32 v22, v22
	v_ldexp_f32 v20, v20, v56
	v_cndmask_b32_e32 v19, 0, v19, vcc_lo
	v_cmp_ngt_f32_e32 vcc_lo, 0xc2ce8ed0, v33
	;; [unrolled: 11-line block ×9, first 2 shown]
	v_fma_f32 v81, 0x3fb8aa3b, v30, -v50
	v_rndne_f32_e32 v82, v50
	v_cvt_i32_f32_e32 v74, v74
	v_fmac_f32_e32 v79, 0x32a5705f, v42
	v_sub_f32_e32 v49, v49, v80
	v_add_f32_e32 v48, v48, v77
	v_exp_f32_e32 v47, v47
	v_ldexp_f32 v45, v45, v72
	v_cndmask_b32_e32 v44, 0, v44, vcc_lo
	v_cmp_ngt_f32_e32 vcc_lo, 0xc2ce8ed0, v40
	v_cvt_i32_f32_e32 v76, v76
	v_fmac_f32_e32 v81, 0x32a5705f, v30
	v_sub_f32_e32 v50, v50, v82
	v_add_f32_e32 v49, v49, v79
	v_exp_f32_e32 v48, v48
	v_ldexp_f32 v46, v46, v74
	v_cndmask_b32_e32 v45, 0, v45, vcc_lo
	v_cmp_ngt_f32_e32 vcc_lo, 0xc2ce8ed0, v28
	v_cvt_i32_f32_e32 v78, v78
	v_add_f32_e32 v50, v50, v81
	v_exp_f32_e32 v49, v49
	v_ldexp_f32 v47, v47, v76
	v_cndmask_b32_e32 v46, 0, v46, vcc_lo
	v_cmp_ngt_f32_e32 vcc_lo, 0xc2ce8ed0, v41
	v_cvt_i32_f32_e32 v80, v80
	v_exp_f32_e32 v50, v50
	v_ldexp_f32 v48, v48, v78
	v_cvt_i32_f32_e32 v82, v82
	v_cndmask_b32_e32 v47, 0, v47, vcc_lo
	v_cmp_ngt_f32_e32 vcc_lo, 0xc2ce8ed0, v29
	v_ldexp_f32 v49, v49, v80
	v_cndmask_b32_e32 v48, 0, v48, vcc_lo
	v_cmp_ngt_f32_e32 vcc_lo, 0xc2ce8ed0, v42
	v_ldexp_f32 v50, v50, v82
	v_cndmask_b32_e32 v49, 0, v49, vcc_lo
	v_cmp_ngt_f32_e32 vcc_lo, 0xc2ce8ed0, v30
	v_cndmask_b32_e32 v50, 0, v50, vcc_lo
	v_cmp_nlt_f32_e32 vcc_lo, 0x42b17218, v31
	v_cndmask_b32_e32 v31, 0x7f800000, v18, vcc_lo
	v_cmp_nlt_f32_e32 vcc_lo, 0x42b17218, v32
	;; [unrolled: 2-line block ×3, first 2 shown]
	v_fmac_f32_e32 v18, v10, v31
	v_cndmask_b32_e32 v32, 0x7f800000, v20, vcc_lo
	v_cmp_nlt_f32_e32 vcc_lo, 0x42b17218, v34
	v_cvt_f16_f32_e32 v10, v31
	v_cndmask_b32_e32 v19, 0x7f800000, v21, vcc_lo
	v_cmp_nlt_f32_e32 vcc_lo, 0x42b17218, v35
	v_fmac_f32_e32 v19, v11, v32
	v_cndmask_b32_e32 v33, 0x7f800000, v22, vcc_lo
	v_cmp_nlt_f32_e32 vcc_lo, 0x42b17218, v36
	v_cvt_f16_f32_e32 v11, v32
	v_cndmask_b32_e32 v20, 0x7f800000, v23, vcc_lo
	v_cmp_nlt_f32_e32 vcc_lo, 0x42b17218, v37
	;; [unrolled: 6-line block ×5, first 2 shown]
	v_mul_u32_u24_sdwa v31, v14, v26 dst_sel:DWORD dst_unused:UNUSED_PAD src0_sel:WORD_0 src1_sel:DWORD
	v_mov_b32_e32 v14, v22
	v_fmac_f32_e32 v23, v15, v27
	v_cndmask_b32_e32 v28, 0x7f800000, v47, vcc_lo
	v_cmp_nlt_f32_e32 vcc_lo, 0x42b17218, v29
	v_cvt_f16_f32_e32 v15, v27
	v_mul_u32_u24_sdwa v27, v10, v26 dst_sel:DWORD dst_unused:UNUSED_PAD src0_sel:WORD_0 src1_sel:DWORD
	v_mov_b32_e32 v10, v18
	v_pk_mul_f16 v130, v130, v31
	v_cndmask_b32_e32 v24, 0x7f800000, v48, vcc_lo
	v_cmp_nlt_f32_e32 vcc_lo, 0x42b17218, v42
	v_mul_u32_u24_sdwa v32, v15, v26 dst_sel:DWORD dst_unused:UNUSED_PAD src0_sel:WORD_0 src1_sel:DWORD
	v_mov_b32_e32 v15, v23
	v_pk_mul_f16 v143, v143, v27
	v_fmac_f32_e32 v24, v16, v28
	v_cndmask_b32_e32 v29, 0x7f800000, v49, vcc_lo
	v_cmp_nlt_f32_e32 vcc_lo, 0x42b17218, v30
	v_cvt_f16_f32_e32 v16, v28
	v_mul_u32_u24_sdwa v28, v11, v26 dst_sel:DWORD dst_unused:UNUSED_PAD src0_sel:WORD_0 src1_sel:DWORD
	v_mul_u32_u24_sdwa v30, v13, v26 dst_sel:DWORD dst_unused:UNUSED_PAD src0_sel:WORD_0 src1_sel:DWORD
	v_mov_b32_e32 v11, v19
	v_cndmask_b32_e32 v25, 0x7f800000, v50, vcc_lo
	v_mul_u32_u24_sdwa v33, v16, v26 dst_sel:DWORD dst_unused:UNUSED_PAD src0_sel:WORD_0 src1_sel:DWORD
	v_mov_b32_e32 v13, v21
	v_mov_b32_e32 v16, v24
	v_pk_mul_f16 v148, v148, v27
	v_fmac_f32_e32 v25, v17, v29
	v_cvt_f16_f32_e32 v17, v29
	v_mul_u32_u24_sdwa v29, v12, v26 dst_sel:DWORD dst_unused:UNUSED_PAD src0_sel:WORD_0 src1_sel:DWORD
	v_mov_b32_e32 v12, v20
	v_pk_mul_f16 v138, v138, v28
	v_pk_mul_f16 v139, v139, v28
	v_mul_u32_u24_sdwa v17, v17, v26 dst_sel:DWORD dst_unused:UNUSED_PAD src0_sel:WORD_0 src1_sel:DWORD
	v_pk_mul_f16 v136, v136, v29
	v_pk_mul_f16 v137, v137, v29
	;; [unrolled: 1-line block ×11, first 2 shown]
	v_mov_b32_e32 v17, v25
	s_branch .LBB17_49
.LBB17_48:
	v_mov_b32_e32 v25, v17
	v_mov_b32_e32 v24, v16
	;; [unrolled: 1-line block ×8, first 2 shown]
.LBB17_49:
	v_lshlrev_b32_e32 v26, 1, v1
	s_mov_b32 s1, exec_lo
	v_add_nc_u32_e32 v1, s29, v26
	v_cmpx_gt_i32_e64 s26, v1
	s_cbranch_execz .LBB17_102
; %bb.50:
	s_load_dword s1, s[4:5], 0xd4
	v_mov_b32_e32 v1, 1.0
	s_waitcnt lgkmcnt(0)
	s_cmp_lg_u32 s1, 1
	s_cselect_b32 s4, -1, 0
	s_cmp_eq_u32 s1, 1
	s_cselect_b32 s2, -1, 0
	s_and_b32 vcc_lo, exec_lo, s4
	s_cbranch_vccnz .LBB17_52
; %bb.51:
	v_div_scale_f32 v1, null, v10, v10, 1.0
	v_rcp_f32_e32 v27, v1
	v_fma_f32 v28, -v1, v27, 1.0
	v_fmac_f32_e32 v27, v28, v27
	v_div_scale_f32 v28, vcc_lo, 1.0, v10, 1.0
	v_mul_f32_e32 v29, v28, v27
	v_fma_f32 v30, -v1, v29, v28
	v_fmac_f32_e32 v29, v30, v27
	v_fma_f32 v1, -v1, v29, v28
	v_div_fmas_f32 v1, v1, v27, v29
	v_div_fixup_f32 v1, v1, v10, 1.0
.LBB17_52:
	s_mul_i32 s3, s33, s26
	s_add_i32 s3, s3, s29
	v_add_nc_u32_e32 v10, s3, v26
	v_mul_lo_u32 v10, v10, s27
	v_add_nc_u32_e32 v26, s30, v10
	v_mad_u64_u32 v[26:27], null, s1, v26, s[28:29]
	s_and_saveexec_b32 s5, s0
	s_cbranch_execz .LBB17_54
; %bb.53:
	v_mad_u64_u32 v[27:28], null, 0x70, v26, v[106:107]
	v_mov_b32_e32 v28, 0
	v_cvt_f32_f16_sdwa v29, v148 dst_sel:DWORD dst_unused:UNUSED_PAD src0_sel:WORD_1
	v_cvt_f32_f16_e32 v33, v148
	v_cvt_f32_f16_sdwa v34, v143 dst_sel:DWORD dst_unused:UNUSED_PAD src0_sel:WORD_1
	v_mul_f32_e32 v30, v1, v29
	v_lshlrev_b64 v[31:32], 2, v[27:28]
	v_cvt_f32_f16_e32 v27, v143
	v_mul_f32_e32 v29, v1, v33
	v_mul_f32_e32 v28, v1, v34
	;; [unrolled: 1-line block ×3, first 2 shown]
	v_add_co_u32 v31, vcc_lo, s48, v31
	v_add_co_ci_u32_e64 v32, null, s49, v32, vcc_lo
	global_store_dwordx4 v[31:32], v[27:30], off
.LBB17_54:
	s_or_b32 exec_lo, exec_lo, s5
	v_cmp_eq_u32_e32 vcc_lo, 0, v0
	s_and_b32 s5, vcc_lo, s4
	s_and_saveexec_b32 s4, s5
	s_cbranch_execz .LBB17_56
; %bb.55:
	v_ashrrev_i32_e32 v27, 31, v26
	v_lshlrev_b64 v[0:1], 3, v[26:27]
	v_mov_b32_e32 v26, v2
	v_mov_b32_e32 v27, v18
	v_add_co_u32 v0, vcc_lo, s50, v0
	v_add_co_ci_u32_e64 v1, null, s51, v1, vcc_lo
	global_store_dwordx2 v[0:1], v[26:27], off
.LBB17_56:
	s_or_b32 exec_lo, exec_lo, s4
	v_cndmask_b32_e64 v2, 0, 1, s2
	v_mov_b32_e32 v18, 1.0
	s_andn2_b32 vcc_lo, exec_lo, s2
	s_cbranch_vccnz .LBB17_58
; %bb.57:
	v_div_scale_f32 v0, null, v11, v11, 1.0
	v_rcp_f32_e32 v1, v0
	v_fma_f32 v18, -v0, v1, 1.0
	v_fmac_f32_e32 v1, v18, v1
	v_div_scale_f32 v18, vcc_lo, 1.0, v11, 1.0
	v_mul_f32_e32 v26, v18, v1
	v_fma_f32 v27, -v0, v26, v18
	v_fmac_f32_e32 v26, v27, v1
	v_fma_f32 v0, -v0, v26, v18
	v_div_fmas_f32 v0, v0, v1, v26
	v_div_fixup_f32 v18, v0, v11, 1.0
.LBB17_58:
	s_add_i32 s6, s30, 1
	v_add_nc_u32_e32 v0, s6, v10
	v_mad_u64_u32 v[0:1], null, s1, v0, s[28:29]
	s_and_saveexec_b32 s2, s0
	s_cbranch_execz .LBB17_60
; %bb.59:
	v_mad_u64_u32 v[26:27], null, 0x70, v0, v[106:107]
	v_mov_b32_e32 v27, 0
	v_cvt_f32_f16_sdwa v1, v139 dst_sel:DWORD dst_unused:UNUSED_PAD src0_sel:WORD_1
	v_cvt_f32_f16_e32 v11, v139
	v_cvt_f32_f16_sdwa v32, v138 dst_sel:DWORD dst_unused:UNUSED_PAD src0_sel:WORD_1
	v_mul_f32_e32 v29, v18, v1
	v_lshlrev_b64 v[30:31], 2, v[26:27]
	v_cvt_f32_f16_e32 v26, v138
	v_mul_f32_e32 v28, v18, v11
	v_mul_f32_e32 v27, v18, v32
	;; [unrolled: 1-line block ×3, first 2 shown]
	v_add_co_u32 v30, vcc_lo, s48, v30
	v_add_co_ci_u32_e64 v31, null, s49, v31, vcc_lo
	global_store_dwordx4 v[30:31], v[26:29], off
.LBB17_60:
	s_or_b32 exec_lo, exec_lo, s2
	s_and_saveexec_b32 s2, s5
	s_cbranch_execz .LBB17_62
; %bb.61:
	v_ashrrev_i32_e32 v1, 31, v0
	v_mov_b32_e32 v18, v3
	v_lshlrev_b64 v[0:1], 3, v[0:1]
	v_add_co_u32 v0, vcc_lo, s50, v0
	v_add_co_ci_u32_e64 v1, null, s51, v1, vcc_lo
	global_store_dwordx2 v[0:1], v[18:19], off
.LBB17_62:
	s_or_b32 exec_lo, exec_lo, s2
	v_cmp_ne_u32_e32 vcc_lo, 1, v2
	v_mov_b32_e32 v3, 1.0
	s_cbranch_vccnz .LBB17_64
; %bb.63:
	v_div_scale_f32 v0, null, v12, v12, 1.0
	v_rcp_f32_e32 v1, v0
	v_fma_f32 v3, -v0, v1, 1.0
	v_fmac_f32_e32 v1, v3, v1
	v_div_scale_f32 v3, vcc_lo, 1.0, v12, 1.0
	v_mul_f32_e32 v11, v3, v1
	v_fma_f32 v18, -v0, v11, v3
	v_fmac_f32_e32 v11, v18, v1
	v_fma_f32 v0, -v0, v11, v3
	v_div_fmas_f32 v0, v0, v1, v11
	v_div_fixup_f32 v3, v0, v12, 1.0
.LBB17_64:
	s_add_i32 s4, s30, 2
	v_add_nc_u32_e32 v0, s4, v10
	v_mad_u64_u32 v[0:1], null, s1, v0, s[28:29]
	s_and_saveexec_b32 s2, s0
	s_cbranch_execz .LBB17_66
; %bb.65:
	v_mad_u64_u32 v[11:12], null, 0x70, v0, v[106:107]
	v_mov_b32_e32 v12, 0
	v_cvt_f32_f16_sdwa v1, v137 dst_sel:DWORD dst_unused:UNUSED_PAD src0_sel:WORD_1
	v_cvt_f32_f16_e32 v18, v137
	v_cvt_f32_f16_sdwa v19, v136 dst_sel:DWORD dst_unused:UNUSED_PAD src0_sel:WORD_1
	v_cvt_f32_f16_e32 v26, v136
	v_mul_f32_e32 v29, v3, v1
	v_lshlrev_b64 v[11:12], 2, v[11:12]
	v_mul_f32_e32 v28, v3, v18
	v_mul_f32_e32 v27, v3, v19
	;; [unrolled: 1-line block ×3, first 2 shown]
	v_add_co_u32 v11, vcc_lo, s48, v11
	v_add_co_ci_u32_e64 v12, null, s49, v12, vcc_lo
	global_store_dwordx4 v[11:12], v[26:29], off
.LBB17_66:
	s_or_b32 exec_lo, exec_lo, s2
	s_and_saveexec_b32 s2, s5
	s_cbranch_execz .LBB17_68
; %bb.67:
	v_ashrrev_i32_e32 v1, 31, v0
	v_mov_b32_e32 v19, v4
	v_lshlrev_b64 v[0:1], 3, v[0:1]
	v_add_co_u32 v0, vcc_lo, s50, v0
	v_add_co_ci_u32_e64 v1, null, s51, v1, vcc_lo
	global_store_dwordx2 v[0:1], v[19:20], off
.LBB17_68:
	s_or_b32 exec_lo, exec_lo, s2
	v_cmp_ne_u32_e32 vcc_lo, 1, v2
	v_mov_b32_e32 v3, 1.0
	s_cbranch_vccnz .LBB17_70
; %bb.69:
	v_div_scale_f32 v0, null, v13, v13, 1.0
	v_rcp_f32_e32 v1, v0
	v_fma_f32 v3, -v0, v1, 1.0
	v_fmac_f32_e32 v1, v3, v1
	v_div_scale_f32 v3, vcc_lo, 1.0, v13, 1.0
	v_mul_f32_e32 v4, v3, v1
	v_fma_f32 v11, -v0, v4, v3
	v_fmac_f32_e32 v4, v11, v1
	v_fma_f32 v0, -v0, v4, v3
	v_div_fmas_f32 v0, v0, v1, v4
	v_div_fixup_f32 v3, v0, v13, 1.0
.LBB17_70:
	s_add_i32 s2, s30, 3
	v_add_nc_u32_e32 v0, s2, v10
	v_mad_u64_u32 v[0:1], null, s1, v0, s[28:29]
	s_and_saveexec_b32 s7, s0
	s_cbranch_execz .LBB17_72
; %bb.71:
	v_mad_u64_u32 v[10:11], null, 0x70, v0, v[106:107]
	v_mov_b32_e32 v11, 0
	v_cvt_f32_f16_sdwa v1, v133 dst_sel:DWORD dst_unused:UNUSED_PAD src0_sel:WORD_1
	v_cvt_f32_f16_e32 v4, v133
	v_cvt_f32_f16_sdwa v20, v132 dst_sel:DWORD dst_unused:UNUSED_PAD src0_sel:WORD_1
	v_mul_f32_e32 v13, v3, v1
	v_lshlrev_b64 v[18:19], 2, v[10:11]
	v_cvt_f32_f16_e32 v10, v132
	v_mul_f32_e32 v12, v3, v4
	v_mul_f32_e32 v11, v3, v20
	;; [unrolled: 1-line block ×3, first 2 shown]
	v_add_co_u32 v18, vcc_lo, s48, v18
	v_add_co_ci_u32_e64 v19, null, s49, v19, vcc_lo
	global_store_dwordx4 v[18:19], v[10:13], off
.LBB17_72:
	s_or_b32 exec_lo, exec_lo, s7
	s_and_saveexec_b32 s7, s5
	s_cbranch_execz .LBB17_74
; %bb.73:
	v_ashrrev_i32_e32 v1, 31, v0
	v_mov_b32_e32 v20, v5
	v_lshlrev_b64 v[0:1], 3, v[0:1]
	v_add_co_u32 v0, vcc_lo, s50, v0
	v_add_co_ci_u32_e64 v1, null, s51, v1, vcc_lo
	global_store_dwordx2 v[0:1], v[20:21], off
.LBB17_74:
	s_or_b32 exec_lo, exec_lo, s7
	v_add_nc_u32_e32 v0, s29, v122
	v_cmp_gt_i32_e32 vcc_lo, s26, v0
	s_and_b32 exec_lo, exec_lo, vcc_lo
	s_cbranch_execz .LBB17_102
; %bb.75:
	v_cmp_ne_u32_e32 vcc_lo, 1, v2
	v_mov_b32_e32 v3, 1.0
	s_cbranch_vccnz .LBB17_77
; %bb.76:
	v_div_scale_f32 v0, null, v14, v14, 1.0
	v_rcp_f32_e32 v1, v0
	v_fma_f32 v3, -v0, v1, 1.0
	v_fmac_f32_e32 v1, v3, v1
	v_div_scale_f32 v3, vcc_lo, 1.0, v14, 1.0
	v_mul_f32_e32 v4, v3, v1
	v_fma_f32 v5, -v0, v4, v3
	v_fmac_f32_e32 v4, v5, v1
	v_fma_f32 v0, -v0, v4, v3
	v_div_fmas_f32 v0, v0, v1, v4
	v_div_fixup_f32 v3, v0, v14, 1.0
.LBB17_77:
	v_add_nc_u32_e32 v0, s3, v122
	v_mad_u64_u32 v[0:1], null, v0, s27, s[30:31]
	v_mad_u64_u32 v[0:1], null, s1, v0, s[28:29]
	s_and_saveexec_b32 s7, s0
	s_cbranch_execz .LBB17_79
; %bb.78:
	v_mad_u64_u32 v[4:5], null, 0x70, v0, v[106:107]
	v_mov_b32_e32 v5, 0
	v_cvt_f32_f16_sdwa v1, v131 dst_sel:DWORD dst_unused:UNUSED_PAD src0_sel:WORD_1
	v_cvt_f32_f16_e32 v10, v131
	v_cvt_f32_f16_sdwa v11, v130 dst_sel:DWORD dst_unused:UNUSED_PAD src0_sel:WORD_1
	v_cvt_f32_f16_e32 v14, v130
	v_mul_f32_e32 v13, v3, v1
	v_lshlrev_b64 v[4:5], 2, v[4:5]
	v_mul_f32_e32 v12, v3, v10
	v_mul_f32_e32 v11, v3, v11
	v_mul_f32_e32 v10, v3, v14
	v_add_co_u32 v4, vcc_lo, s48, v4
	v_add_co_ci_u32_e64 v5, null, s49, v5, vcc_lo
	global_store_dwordx4 v[4:5], v[10:13], off
.LBB17_79:
	s_or_b32 exec_lo, exec_lo, s7
	s_and_saveexec_b32 s7, s5
	s_cbranch_execz .LBB17_81
; %bb.80:
	v_ashrrev_i32_e32 v1, 31, v0
	v_mov_b32_e32 v21, v6
	v_lshlrev_b64 v[0:1], 3, v[0:1]
	v_add_co_u32 v0, vcc_lo, s50, v0
	v_add_co_ci_u32_e64 v1, null, s51, v1, vcc_lo
	global_store_dwordx2 v[0:1], v[21:22], off
.LBB17_81:
	s_or_b32 exec_lo, exec_lo, s7
	v_lshrrev_b32_e32 v0, 2, v121
	v_add_nc_u32_e32 v1, s29, v0
	v_cmp_gt_i32_e32 vcc_lo, s26, v1
	s_and_b32 exec_lo, exec_lo, vcc_lo
	s_cbranch_execz .LBB17_102
; %bb.82:
	v_cmp_ne_u32_e32 vcc_lo, 1, v2
	v_mov_b32_e32 v3, 1.0
	s_cbranch_vccnz .LBB17_84
; %bb.83:
	v_div_scale_f32 v1, null, v15, v15, 1.0
	v_rcp_f32_e32 v3, v1
	v_fma_f32 v4, -v1, v3, 1.0
	v_fmac_f32_e32 v3, v4, v3
	v_div_scale_f32 v4, vcc_lo, 1.0, v15, 1.0
	v_mul_f32_e32 v5, v4, v3
	v_fma_f32 v6, -v1, v5, v4
	v_fmac_f32_e32 v5, v6, v3
	v_fma_f32 v1, -v1, v5, v4
	v_div_fmas_f32 v1, v1, v3, v5
	v_div_fixup_f32 v3, v1, v15, 1.0
.LBB17_84:
	v_add_nc_u32_e32 v0, s3, v0
	v_mad_u64_u32 v[0:1], null, v0, s27, s[6:7]
	v_mad_u64_u32 v[0:1], null, s1, v0, s[28:29]
	s_and_saveexec_b32 s6, s0
	s_cbranch_execz .LBB17_86
; %bb.85:
	v_mad_u64_u32 v[4:5], null, 0x70, v0, v[106:107]
	v_mov_b32_e32 v5, 0
	v_cvt_f32_f16_sdwa v1, v129 dst_sel:DWORD dst_unused:UNUSED_PAD src0_sel:WORD_1
	v_cvt_f32_f16_e32 v12, v129
	v_cvt_f32_f16_sdwa v13, v128 dst_sel:DWORD dst_unused:UNUSED_PAD src0_sel:WORD_1
	v_cvt_f32_f16_e32 v14, v128
	v_mul_f32_e32 v6, v3, v1
	v_lshlrev_b64 v[10:11], 2, v[4:5]
	v_mul_f32_e32 v5, v3, v12
	v_mul_f32_e32 v4, v3, v13
	v_mul_f32_e32 v3, v3, v14
	v_add_co_u32 v10, vcc_lo, s48, v10
	v_add_co_ci_u32_e64 v11, null, s49, v11, vcc_lo
	global_store_dwordx4 v[10:11], v[3:6], off
.LBB17_86:
	s_or_b32 exec_lo, exec_lo, s6
	s_and_saveexec_b32 s6, s5
	s_cbranch_execz .LBB17_88
; %bb.87:
	v_ashrrev_i32_e32 v1, 31, v0
	v_mov_b32_e32 v22, v7
	v_lshlrev_b64 v[0:1], 3, v[0:1]
	v_add_co_u32 v0, vcc_lo, s50, v0
	v_add_co_ci_u32_e64 v1, null, s51, v1, vcc_lo
	global_store_dwordx2 v[0:1], v[22:23], off
.LBB17_88:
	s_or_b32 exec_lo, exec_lo, s6
	v_lshrrev_b32_e32 v0, 2, v120
	;; [unrolled: 55-line block ×3, first 2 shown]
	v_add_nc_u32_e32 v1, s29, v0
	v_cmp_gt_i32_e32 vcc_lo, s26, v1
	s_and_b32 exec_lo, exec_lo, vcc_lo
	s_cbranch_execz .LBB17_102
; %bb.96:
	v_cmp_ne_u32_e32 vcc_lo, 1, v2
	v_mov_b32_e32 v2, 1.0
	s_cbranch_vccnz .LBB17_98
; %bb.97:
	v_div_scale_f32 v1, null, v17, v17, 1.0
	v_rcp_f32_e32 v2, v1
	v_fma_f32 v3, -v1, v2, 1.0
	v_fmac_f32_e32 v2, v3, v2
	v_div_scale_f32 v3, vcc_lo, 1.0, v17, 1.0
	v_mul_f32_e32 v4, v3, v2
	v_fma_f32 v5, -v1, v4, v3
	v_fmac_f32_e32 v4, v5, v2
	v_fma_f32 v1, -v1, v4, v3
	v_div_fmas_f32 v1, v1, v2, v4
	v_div_fixup_f32 v2, v1, v17, 1.0
.LBB17_98:
	v_add_nc_u32_e32 v0, s3, v0
	v_mad_u64_u32 v[0:1], null, v0, s27, s[2:3]
	v_mad_u64_u32 v[0:1], null, s1, v0, s[28:29]
	s_and_saveexec_b32 s1, s0
	s_cbranch_execz .LBB17_100
; %bb.99:
	v_mad_u64_u32 v[3:4], null, 0x70, v0, v[106:107]
	v_mov_b32_e32 v4, 0
	v_cvt_f32_f16_sdwa v1, v123 dst_sel:DWORD dst_unused:UNUSED_PAD src0_sel:WORD_1
	v_cvt_f32_f16_e32 v8, v123
	v_cvt_f32_f16_sdwa v10, v124 dst_sel:DWORD dst_unused:UNUSED_PAD src0_sel:WORD_1
	v_cvt_f32_f16_e32 v11, v124
	v_mul_f32_e32 v5, v2, v1
	v_lshlrev_b64 v[6:7], 2, v[3:4]
	v_mul_f32_e32 v4, v2, v8
	v_mul_f32_e32 v3, v2, v10
	;; [unrolled: 1-line block ×3, first 2 shown]
	v_add_co_u32 v6, vcc_lo, s48, v6
	v_add_co_ci_u32_e64 v7, null, s49, v7, vcc_lo
	global_store_dwordx4 v[6:7], v[2:5], off
.LBB17_100:
	s_or_b32 exec_lo, exec_lo, s1
	s_and_b32 exec_lo, exec_lo, s5
	s_cbranch_execz .LBB17_102
; %bb.101:
	v_ashrrev_i32_e32 v1, 31, v0
	v_mov_b32_e32 v24, v9
	v_lshlrev_b64 v[0:1], 3, v[0:1]
	v_add_co_u32 v0, vcc_lo, s50, v0
	v_add_co_ci_u32_e64 v1, null, s51, v1, vcc_lo
	global_store_dwordx2 v[0:1], v[24:25], off
.LBB17_102:
	s_endpgm
	.section	.rodata,"a",@progbits
	.p2align	6, 0x0
	.amdhsa_kernel _ZL15flash_attn_tileILi112ELi112ELi16ELi4ELb0EEvPKcS1_S1_S1_S1_PKiPfP15HIP_vector_typeIfLj2EEffffjfiS5_IjLj3EEiiiiiiiiiiiliiliiiiil
		.amdhsa_group_segment_fixed_size 22592
		.amdhsa_private_segment_fixed_size 0
		.amdhsa_kernarg_size 464
		.amdhsa_user_sgpr_count 6
		.amdhsa_user_sgpr_private_segment_buffer 1
		.amdhsa_user_sgpr_dispatch_ptr 0
		.amdhsa_user_sgpr_queue_ptr 0
		.amdhsa_user_sgpr_kernarg_segment_ptr 1
		.amdhsa_user_sgpr_dispatch_id 0
		.amdhsa_user_sgpr_flat_scratch_init 0
		.amdhsa_user_sgpr_private_segment_size 0
		.amdhsa_wavefront_size32 1
		.amdhsa_uses_dynamic_stack 0
		.amdhsa_system_sgpr_private_segment_wavefront_offset 0
		.amdhsa_system_sgpr_workgroup_id_x 1
		.amdhsa_system_sgpr_workgroup_id_y 1
		.amdhsa_system_sgpr_workgroup_id_z 1
		.amdhsa_system_sgpr_workgroup_info 0
		.amdhsa_system_vgpr_workitem_id 1
		.amdhsa_next_free_vgpr 245
		.amdhsa_next_free_sgpr 54
		.amdhsa_reserve_vcc 1
		.amdhsa_reserve_flat_scratch 0
		.amdhsa_float_round_mode_32 0
		.amdhsa_float_round_mode_16_64 0
		.amdhsa_float_denorm_mode_32 3
		.amdhsa_float_denorm_mode_16_64 3
		.amdhsa_dx10_clamp 1
		.amdhsa_ieee_mode 1
		.amdhsa_fp16_overflow 0
		.amdhsa_workgroup_processor_mode 1
		.amdhsa_memory_ordered 1
		.amdhsa_forward_progress 1
		.amdhsa_shared_vgpr_count 0
		.amdhsa_exception_fp_ieee_invalid_op 0
		.amdhsa_exception_fp_denorm_src 0
		.amdhsa_exception_fp_ieee_div_zero 0
		.amdhsa_exception_fp_ieee_overflow 0
		.amdhsa_exception_fp_ieee_underflow 0
		.amdhsa_exception_fp_ieee_inexact 0
		.amdhsa_exception_int_div_zero 0
	.end_amdhsa_kernel
	.section	.text._ZL15flash_attn_tileILi112ELi112ELi16ELi4ELb0EEvPKcS1_S1_S1_S1_PKiPfP15HIP_vector_typeIfLj2EEffffjfiS5_IjLj3EEiiiiiiiiiiiliiliiiiil,"axG",@progbits,_ZL15flash_attn_tileILi112ELi112ELi16ELi4ELb0EEvPKcS1_S1_S1_S1_PKiPfP15HIP_vector_typeIfLj2EEffffjfiS5_IjLj3EEiiiiiiiiiiiliiliiiiil,comdat
.Lfunc_end17:
	.size	_ZL15flash_attn_tileILi112ELi112ELi16ELi4ELb0EEvPKcS1_S1_S1_S1_PKiPfP15HIP_vector_typeIfLj2EEffffjfiS5_IjLj3EEiiiiiiiiiiiliiliiiiil, .Lfunc_end17-_ZL15flash_attn_tileILi112ELi112ELi16ELi4ELb0EEvPKcS1_S1_S1_S1_PKiPfP15HIP_vector_typeIfLj2EEffffjfiS5_IjLj3EEiiiiiiiiiiiliiliiiiil
                                        ; -- End function
	.set _ZL15flash_attn_tileILi112ELi112ELi16ELi4ELb0EEvPKcS1_S1_S1_S1_PKiPfP15HIP_vector_typeIfLj2EEffffjfiS5_IjLj3EEiiiiiiiiiiiliiliiiiil.num_vgpr, 245
	.set _ZL15flash_attn_tileILi112ELi112ELi16ELi4ELb0EEvPKcS1_S1_S1_S1_PKiPfP15HIP_vector_typeIfLj2EEffffjfiS5_IjLj3EEiiiiiiiiiiiliiliiiiil.num_agpr, 0
	.set _ZL15flash_attn_tileILi112ELi112ELi16ELi4ELb0EEvPKcS1_S1_S1_S1_PKiPfP15HIP_vector_typeIfLj2EEffffjfiS5_IjLj3EEiiiiiiiiiiiliiliiiiil.numbered_sgpr, 54
	.set _ZL15flash_attn_tileILi112ELi112ELi16ELi4ELb0EEvPKcS1_S1_S1_S1_PKiPfP15HIP_vector_typeIfLj2EEffffjfiS5_IjLj3EEiiiiiiiiiiiliiliiiiil.num_named_barrier, 0
	.set _ZL15flash_attn_tileILi112ELi112ELi16ELi4ELb0EEvPKcS1_S1_S1_S1_PKiPfP15HIP_vector_typeIfLj2EEffffjfiS5_IjLj3EEiiiiiiiiiiiliiliiiiil.private_seg_size, 0
	.set _ZL15flash_attn_tileILi112ELi112ELi16ELi4ELb0EEvPKcS1_S1_S1_S1_PKiPfP15HIP_vector_typeIfLj2EEffffjfiS5_IjLj3EEiiiiiiiiiiiliiliiiiil.uses_vcc, 1
	.set _ZL15flash_attn_tileILi112ELi112ELi16ELi4ELb0EEvPKcS1_S1_S1_S1_PKiPfP15HIP_vector_typeIfLj2EEffffjfiS5_IjLj3EEiiiiiiiiiiiliiliiiiil.uses_flat_scratch, 0
	.set _ZL15flash_attn_tileILi112ELi112ELi16ELi4ELb0EEvPKcS1_S1_S1_S1_PKiPfP15HIP_vector_typeIfLj2EEffffjfiS5_IjLj3EEiiiiiiiiiiiliiliiiiil.has_dyn_sized_stack, 0
	.set _ZL15flash_attn_tileILi112ELi112ELi16ELi4ELb0EEvPKcS1_S1_S1_S1_PKiPfP15HIP_vector_typeIfLj2EEffffjfiS5_IjLj3EEiiiiiiiiiiiliiliiiiil.has_recursion, 0
	.set _ZL15flash_attn_tileILi112ELi112ELi16ELi4ELb0EEvPKcS1_S1_S1_S1_PKiPfP15HIP_vector_typeIfLj2EEffffjfiS5_IjLj3EEiiiiiiiiiiiliiliiiiil.has_indirect_call, 0
	.section	.AMDGPU.csdata,"",@progbits
; Kernel info:
; codeLenInByte = 29492
; TotalNumSgprs: 56
; NumVgprs: 245
; ScratchSize: 0
; MemoryBound: 0
; FloatMode: 240
; IeeeMode: 1
; LDSByteSize: 22592 bytes/workgroup (compile time only)
; SGPRBlocks: 0
; VGPRBlocks: 30
; NumSGPRsForWavesPerEU: 56
; NumVGPRsForWavesPerEU: 245
; Occupancy: 4
; WaveLimiterHint : 1
; COMPUTE_PGM_RSRC2:SCRATCH_EN: 0
; COMPUTE_PGM_RSRC2:USER_SGPR: 6
; COMPUTE_PGM_RSRC2:TRAP_HANDLER: 0
; COMPUTE_PGM_RSRC2:TGID_X_EN: 1
; COMPUTE_PGM_RSRC2:TGID_Y_EN: 1
; COMPUTE_PGM_RSRC2:TGID_Z_EN: 1
; COMPUTE_PGM_RSRC2:TIDIG_COMP_CNT: 1
	.section	.text._ZL25flash_attn_mask_to_KV_maxILi16EEvPK7__half2Piiii,"axG",@progbits,_ZL25flash_attn_mask_to_KV_maxILi16EEvPK7__half2Piiii,comdat
	.globl	_ZL25flash_attn_mask_to_KV_maxILi16EEvPK7__half2Piiii ; -- Begin function _ZL25flash_attn_mask_to_KV_maxILi16EEvPK7__half2Piiii
	.p2align	8
	.type	_ZL25flash_attn_mask_to_KV_maxILi16EEvPK7__half2Piiii,@function
_ZL25flash_attn_mask_to_KV_maxILi16EEvPK7__half2Piiii: ; @_ZL25flash_attn_mask_to_KV_maxILi16EEvPK7__half2Piiii
; %bb.0:
	s_load_dwordx4 s[8:11], s[4:5], 0x0
	s_mov_b32 s0, exec_lo
	v_cmpx_gt_u32_e32 32, v0
; %bb.1:
	v_lshlrev_b32_e32 v1, 2, v0
	v_mov_b32_e32 v2, 1
	ds_write_b32 v1, v2
; %bb.2:
	s_or_b32 exec_lo, exec_lo, s0
	s_clause 0x1
	s_load_dwordx4 s[12:15], s[4:5], 0x10
	s_load_dword s1, s[4:5], 0x20
	v_and_b32_e32 v1, 31, v0
	v_lshrrev_b32_e32 v5, 3, v0
	v_mov_b32_e32 v2, 0
	v_mov_b32_e32 v6, 0x204
	s_waitcnt lgkmcnt(0)
	v_lshlrev_b32_e32 v7, 2, v1
	s_barrier
	buffer_gl0_inv
	s_mul_i32 s0, s6, s13
	s_mul_i32 s2, s14, s7
	s_lshl_b32 s0, s0, 4
	s_add_i32 s2, s2, s0
	v_cmp_eq_u32_e64 s0, 0, v1
	s_ashr_i32 s3, s2, 31
	s_lshl_b64 s[4:5], s[2:3], 2
	s_add_u32 s3, s8, s4
	s_addc_u32 s4, s9, s5
	s_lshl_b32 s5, s12, 8
	s_branch .LBB18_4
.LBB18_3:                               ;   in Loop: Header=BB18_4 Depth=1
	s_or_b32 exec_lo, exec_lo, s8
	s_waitcnt lgkmcnt(0)
	s_barrier
	buffer_gl0_inv
	ds_read_b32 v1, v7
	s_waitcnt lgkmcnt(0)
	s_barrier
	buffer_gl0_inv
	v_cmp_ne_u32_e32 vcc_lo, 0, v1
	s_cmp_lg_u32 vcc_lo, exec_lo
	s_cselect_b32 s8, -1, 0
	s_and_b32 vcc_lo, exec_lo, s8
	s_cbranch_vccnz .LBB18_68
.LBB18_4:                               ; =>This Inner Loop Header: Depth=1
	s_mov_b32 s2, s5
	s_addk_i32 s5, 0xff00
	s_cmp_lt_i32 s5, 0
	s_cbranch_scc1 .LBB18_67
; %bb.5:                                ;   in Loop: Header=BB18_4 Depth=1
	s_lshr_b32 s8, s5, 1
	v_add_nc_u32_e32 v1, s8, v0
	v_lshlrev_b64 v[3:4], 2, v[1:2]
	v_add_co_u32 v3, vcc_lo, s3, v3
	v_add_co_ci_u32_e64 v4, null, s4, v4, vcc_lo
	global_load_dword v3, v[3:4], off
	s_waitcnt vmcnt(0)
	v_cmp_class_f16_e64 s8, v3, 0x204
	v_cmp_class_f16_sdwa s9, v3, v6 src0_sel:WORD_1 src1_sel:DWORD
	s_and_b32 s12, s8, s9
	s_mov_b32 s9, 0
	s_and_saveexec_b32 s8, s12
	s_cbranch_execz .LBB18_65
; %bb.6:                                ;   in Loop: Header=BB18_4 Depth=1
	v_add_nc_u32_e32 v3, s13, v1
	s_mov_b32 s12, 0
	v_ashrrev_i32_e32 v4, 31, v3
	v_lshlrev_b64 v[8:9], 2, v[3:4]
	v_add_co_u32 v8, vcc_lo, s3, v8
	v_add_co_ci_u32_e64 v9, null, s4, v9, vcc_lo
	global_load_dword v1, v[8:9], off
	s_waitcnt vmcnt(0)
	v_cmp_class_f16_e64 s14, v1, 0x204
	s_and_saveexec_b32 s9, s14
	s_cbranch_execz .LBB18_64
; %bb.7:                                ;   in Loop: Header=BB18_4 Depth=1
	v_cmp_class_f16_sdwa s15, v1, v6 src0_sel:WORD_1 src1_sel:DWORD
	s_mov_b32 s14, 0
	s_and_saveexec_b32 s12, s15
	s_cbranch_execz .LBB18_63
; %bb.8:                                ;   in Loop: Header=BB18_4 Depth=1
	v_add_nc_u32_e32 v3, s13, v3
	s_mov_b32 s15, 0
	v_ashrrev_i32_e32 v4, 31, v3
	v_lshlrev_b64 v[8:9], 2, v[3:4]
	v_add_co_u32 v8, vcc_lo, s3, v8
	v_add_co_ci_u32_e64 v9, null, s4, v9, vcc_lo
	global_load_dword v1, v[8:9], off
	s_waitcnt vmcnt(0)
	v_cmp_class_f16_e64 s16, v1, 0x204
	s_and_saveexec_b32 s14, s16
	s_cbranch_execz .LBB18_62
; %bb.9:                                ;   in Loop: Header=BB18_4 Depth=1
	v_cmp_class_f16_sdwa s17, v1, v6 src0_sel:WORD_1 src1_sel:DWORD
	s_mov_b32 s16, 0
	s_and_saveexec_b32 s15, s17
	s_cbranch_execz .LBB18_61
; %bb.10:                               ;   in Loop: Header=BB18_4 Depth=1
	v_add_nc_u32_e32 v3, s13, v3
	s_mov_b32 s17, 0
	v_ashrrev_i32_e32 v4, 31, v3
	v_lshlrev_b64 v[8:9], 2, v[3:4]
	v_add_co_u32 v8, vcc_lo, s3, v8
	v_add_co_ci_u32_e64 v9, null, s4, v9, vcc_lo
	global_load_dword v1, v[8:9], off
	s_waitcnt vmcnt(0)
	v_cmp_class_f16_e64 s18, v1, 0x204
	s_and_saveexec_b32 s16, s18
	s_cbranch_execz .LBB18_60
; %bb.11:                               ;   in Loop: Header=BB18_4 Depth=1
	v_cmp_class_f16_sdwa s19, v1, v6 src0_sel:WORD_1 src1_sel:DWORD
	s_mov_b32 s18, 0
	s_and_saveexec_b32 s17, s19
	s_cbranch_execz .LBB18_59
; %bb.12:                               ;   in Loop: Header=BB18_4 Depth=1
	v_add_nc_u32_e32 v3, s13, v3
	s_mov_b32 s19, 0
	v_ashrrev_i32_e32 v4, 31, v3
	v_lshlrev_b64 v[8:9], 2, v[3:4]
	v_add_co_u32 v8, vcc_lo, s3, v8
	v_add_co_ci_u32_e64 v9, null, s4, v9, vcc_lo
	global_load_dword v1, v[8:9], off
	s_waitcnt vmcnt(0)
	v_cmp_class_f16_e64 s20, v1, 0x204
	s_and_saveexec_b32 s18, s20
	s_cbranch_execz .LBB18_58
; %bb.13:                               ;   in Loop: Header=BB18_4 Depth=1
	;; [unrolled: 17-line block ×12, first 2 shown]
	v_cmp_class_f16_sdwa s42, v1, v6 src0_sel:WORD_1 src1_sel:DWORD
	s_mov_b32 s41, 0
	s_and_saveexec_b32 s40, s42
	s_cbranch_execz .LBB18_37
; %bb.34:                               ;   in Loop: Header=BB18_4 Depth=1
	v_add_nc_u32_e32 v3, s13, v3
	v_ashrrev_i32_e32 v4, 31, v3
	v_lshlrev_b64 v[3:4], 2, v[3:4]
	v_add_co_u32 v3, vcc_lo, s3, v3
	v_add_co_ci_u32_e64 v4, null, s4, v4, vcc_lo
	global_load_dword v1, v[3:4], off
	s_waitcnt vmcnt(0)
	v_cmp_class_f16_e64 s43, v1, 0x204
	s_and_saveexec_b32 s42, s43
; %bb.35:                               ;   in Loop: Header=BB18_4 Depth=1
	v_cmp_class_f16_sdwa s41, v1, v6 src0_sel:WORD_1 src1_sel:DWORD
	s_and_b32 s41, s41, exec_lo
; %bb.36:                               ;   in Loop: Header=BB18_4 Depth=1
	s_or_b32 exec_lo, exec_lo, s42
	s_and_b32 s41, s41, exec_lo
.LBB18_37:                              ;   in Loop: Header=BB18_4 Depth=1
	s_or_b32 exec_lo, exec_lo, s40
	s_and_b32 s40, s41, exec_lo
.LBB18_38:                              ;   in Loop: Header=BB18_4 Depth=1
	s_or_b32 exec_lo, exec_lo, s39
	s_and_b32 s39, s40, exec_lo
.LBB18_39:                              ;   in Loop: Header=BB18_4 Depth=1
	s_or_b32 exec_lo, exec_lo, s38
	s_and_b32 s38, s39, exec_lo
.LBB18_40:                              ;   in Loop: Header=BB18_4 Depth=1
	s_or_b32 exec_lo, exec_lo, s37
	s_and_b32 s37, s38, exec_lo
.LBB18_41:                              ;   in Loop: Header=BB18_4 Depth=1
	s_or_b32 exec_lo, exec_lo, s36
	s_and_b32 s36, s37, exec_lo
.LBB18_42:                              ;   in Loop: Header=BB18_4 Depth=1
	s_or_b32 exec_lo, exec_lo, s35
	s_and_b32 s35, s36, exec_lo
.LBB18_43:                              ;   in Loop: Header=BB18_4 Depth=1
	s_or_b32 exec_lo, exec_lo, s34
	s_and_b32 s34, s35, exec_lo
.LBB18_44:                              ;   in Loop: Header=BB18_4 Depth=1
	s_or_b32 exec_lo, exec_lo, s33
	s_and_b32 s33, s34, exec_lo
.LBB18_45:                              ;   in Loop: Header=BB18_4 Depth=1
	s_or_b32 exec_lo, exec_lo, s31
	s_and_b32 s31, s33, exec_lo
.LBB18_46:                              ;   in Loop: Header=BB18_4 Depth=1
	s_or_b32 exec_lo, exec_lo, s30
	s_and_b32 s30, s31, exec_lo
.LBB18_47:                              ;   in Loop: Header=BB18_4 Depth=1
	s_or_b32 exec_lo, exec_lo, s29
	s_and_b32 s29, s30, exec_lo
.LBB18_48:                              ;   in Loop: Header=BB18_4 Depth=1
	s_or_b32 exec_lo, exec_lo, s28
	s_and_b32 s28, s29, exec_lo
.LBB18_49:                              ;   in Loop: Header=BB18_4 Depth=1
	s_or_b32 exec_lo, exec_lo, s27
	s_and_b32 s27, s28, exec_lo
.LBB18_50:                              ;   in Loop: Header=BB18_4 Depth=1
	s_or_b32 exec_lo, exec_lo, s26
	s_and_b32 s26, s27, exec_lo
.LBB18_51:                              ;   in Loop: Header=BB18_4 Depth=1
	s_or_b32 exec_lo, exec_lo, s25
	s_and_b32 s25, s26, exec_lo
.LBB18_52:                              ;   in Loop: Header=BB18_4 Depth=1
	s_or_b32 exec_lo, exec_lo, s24
	s_and_b32 s24, s25, exec_lo
.LBB18_53:                              ;   in Loop: Header=BB18_4 Depth=1
	s_or_b32 exec_lo, exec_lo, s23
	s_and_b32 s23, s24, exec_lo
.LBB18_54:                              ;   in Loop: Header=BB18_4 Depth=1
	s_or_b32 exec_lo, exec_lo, s22
	s_and_b32 s22, s23, exec_lo
.LBB18_55:                              ;   in Loop: Header=BB18_4 Depth=1
	s_or_b32 exec_lo, exec_lo, s21
	s_and_b32 s21, s22, exec_lo
.LBB18_56:                              ;   in Loop: Header=BB18_4 Depth=1
	s_or_b32 exec_lo, exec_lo, s20
	s_and_b32 s20, s21, exec_lo
.LBB18_57:                              ;   in Loop: Header=BB18_4 Depth=1
	s_or_b32 exec_lo, exec_lo, s19
	s_and_b32 s19, s20, exec_lo
.LBB18_58:                              ;   in Loop: Header=BB18_4 Depth=1
	s_or_b32 exec_lo, exec_lo, s18
	s_and_b32 s18, s19, exec_lo
.LBB18_59:                              ;   in Loop: Header=BB18_4 Depth=1
	s_or_b32 exec_lo, exec_lo, s17
	s_and_b32 s17, s18, exec_lo
.LBB18_60:                              ;   in Loop: Header=BB18_4 Depth=1
	s_or_b32 exec_lo, exec_lo, s16
	s_and_b32 s16, s17, exec_lo
.LBB18_61:                              ;   in Loop: Header=BB18_4 Depth=1
	s_or_b32 exec_lo, exec_lo, s15
	s_and_b32 s15, s16, exec_lo
.LBB18_62:                              ;   in Loop: Header=BB18_4 Depth=1
	s_or_b32 exec_lo, exec_lo, s14
	s_and_b32 s14, s15, exec_lo
.LBB18_63:                              ;   in Loop: Header=BB18_4 Depth=1
	s_or_b32 exec_lo, exec_lo, s12
	s_and_b32 s12, s14, exec_lo
.LBB18_64:                              ;   in Loop: Header=BB18_4 Depth=1
	s_or_b32 exec_lo, exec_lo, s9
	s_and_b32 s9, s12, exec_lo
.LBB18_65:                              ;   in Loop: Header=BB18_4 Depth=1
	s_or_b32 exec_lo, exec_lo, s8
	v_cndmask_b32_e64 v1, 0, 1, s9
	s_mov_b32 s12, exec_lo
	v_cmp_ne_u32_e32 vcc_lo, 0, v1
	s_and_saveexec_b32 s8, s0
	s_cbranch_execz .LBB18_3
; %bb.66:                               ;   in Loop: Header=BB18_4 Depth=1
	s_cmp_eq_u32 vcc_lo, s12
	s_cselect_b32 s9, -1, 0
	v_cndmask_b32_e64 v1, 0, 1, s9
	ds_write_b32 v5, v1
	s_branch .LBB18_3
.LBB18_67:                              ;   in Loop: Header=BB18_4 Depth=1
	s_cbranch_execz .LBB18_4
.LBB18_68:
	s_mov_b32 s0, exec_lo
	v_cmpx_eq_u32_e32 0, v0
	s_cbranch_execz .LBB18_70
; %bb.69:
	s_mul_i32 s0, s1, s7
	v_mov_b32_e32 v0, 0
	s_add_i32 s0, s0, s6
	v_mov_b32_e32 v1, s2
	s_ashr_i32 s1, s0, 31
	s_lshl_b64 s[0:1], s[0:1], 2
	s_add_u32 s0, s10, s0
	s_addc_u32 s1, s11, s1
	global_store_dword v0, v1, s[0:1]
.LBB18_70:
	s_endpgm
	.section	.rodata,"a",@progbits
	.p2align	6, 0x0
	.amdhsa_kernel _ZL25flash_attn_mask_to_KV_maxILi16EEvPK7__half2Piiii
		.amdhsa_group_segment_fixed_size 128
		.amdhsa_private_segment_fixed_size 0
		.amdhsa_kernarg_size 288
		.amdhsa_user_sgpr_count 6
		.amdhsa_user_sgpr_private_segment_buffer 1
		.amdhsa_user_sgpr_dispatch_ptr 0
		.amdhsa_user_sgpr_queue_ptr 0
		.amdhsa_user_sgpr_kernarg_segment_ptr 1
		.amdhsa_user_sgpr_dispatch_id 0
		.amdhsa_user_sgpr_flat_scratch_init 0
		.amdhsa_user_sgpr_private_segment_size 0
		.amdhsa_wavefront_size32 1
		.amdhsa_uses_dynamic_stack 0
		.amdhsa_system_sgpr_private_segment_wavefront_offset 0
		.amdhsa_system_sgpr_workgroup_id_x 1
		.amdhsa_system_sgpr_workgroup_id_y 1
		.amdhsa_system_sgpr_workgroup_id_z 0
		.amdhsa_system_sgpr_workgroup_info 0
		.amdhsa_system_vgpr_workitem_id 0
		.amdhsa_next_free_vgpr 10
		.amdhsa_next_free_sgpr 44
		.amdhsa_reserve_vcc 1
		.amdhsa_reserve_flat_scratch 0
		.amdhsa_float_round_mode_32 0
		.amdhsa_float_round_mode_16_64 0
		.amdhsa_float_denorm_mode_32 3
		.amdhsa_float_denorm_mode_16_64 3
		.amdhsa_dx10_clamp 1
		.amdhsa_ieee_mode 1
		.amdhsa_fp16_overflow 0
		.amdhsa_workgroup_processor_mode 1
		.amdhsa_memory_ordered 1
		.amdhsa_forward_progress 1
		.amdhsa_shared_vgpr_count 0
		.amdhsa_exception_fp_ieee_invalid_op 0
		.amdhsa_exception_fp_denorm_src 0
		.amdhsa_exception_fp_ieee_div_zero 0
		.amdhsa_exception_fp_ieee_overflow 0
		.amdhsa_exception_fp_ieee_underflow 0
		.amdhsa_exception_fp_ieee_inexact 0
		.amdhsa_exception_int_div_zero 0
	.end_amdhsa_kernel
	.section	.text._ZL25flash_attn_mask_to_KV_maxILi16EEvPK7__half2Piiii,"axG",@progbits,_ZL25flash_attn_mask_to_KV_maxILi16EEvPK7__half2Piiii,comdat
.Lfunc_end18:
	.size	_ZL25flash_attn_mask_to_KV_maxILi16EEvPK7__half2Piiii, .Lfunc_end18-_ZL25flash_attn_mask_to_KV_maxILi16EEvPK7__half2Piiii
                                        ; -- End function
	.set _ZL25flash_attn_mask_to_KV_maxILi16EEvPK7__half2Piiii.num_vgpr, 10
	.set _ZL25flash_attn_mask_to_KV_maxILi16EEvPK7__half2Piiii.num_agpr, 0
	.set _ZL25flash_attn_mask_to_KV_maxILi16EEvPK7__half2Piiii.numbered_sgpr, 44
	.set _ZL25flash_attn_mask_to_KV_maxILi16EEvPK7__half2Piiii.num_named_barrier, 0
	.set _ZL25flash_attn_mask_to_KV_maxILi16EEvPK7__half2Piiii.private_seg_size, 0
	.set _ZL25flash_attn_mask_to_KV_maxILi16EEvPK7__half2Piiii.uses_vcc, 1
	.set _ZL25flash_attn_mask_to_KV_maxILi16EEvPK7__half2Piiii.uses_flat_scratch, 0
	.set _ZL25flash_attn_mask_to_KV_maxILi16EEvPK7__half2Piiii.has_dyn_sized_stack, 0
	.set _ZL25flash_attn_mask_to_KV_maxILi16EEvPK7__half2Piiii.has_recursion, 0
	.set _ZL25flash_attn_mask_to_KV_maxILi16EEvPK7__half2Piiii.has_indirect_call, 0
	.section	.AMDGPU.csdata,"",@progbits
; Kernel info:
; codeLenInByte = 1956
; TotalNumSgprs: 46
; NumVgprs: 10
; ScratchSize: 0
; MemoryBound: 0
; FloatMode: 240
; IeeeMode: 1
; LDSByteSize: 128 bytes/workgroup (compile time only)
; SGPRBlocks: 0
; VGPRBlocks: 1
; NumSGPRsForWavesPerEU: 46
; NumVGPRsForWavesPerEU: 10
; Occupancy: 16
; WaveLimiterHint : 0
; COMPUTE_PGM_RSRC2:SCRATCH_EN: 0
; COMPUTE_PGM_RSRC2:USER_SGPR: 6
; COMPUTE_PGM_RSRC2:TRAP_HANDLER: 0
; COMPUTE_PGM_RSRC2:TGID_X_EN: 1
; COMPUTE_PGM_RSRC2:TGID_Y_EN: 1
; COMPUTE_PGM_RSRC2:TGID_Z_EN: 0
; COMPUTE_PGM_RSRC2:TIDIG_COMP_CNT: 0
	.section	.text._ZL33flash_attn_stream_k_fixup_uniformILi112ELi16ELi4EEvPfPK15HIP_vector_typeIfLj2EEiiiiiiS1_IjLj3EES5_S5_,"axG",@progbits,_ZL33flash_attn_stream_k_fixup_uniformILi112ELi16ELi4EEvPfPK15HIP_vector_typeIfLj2EEiiiiiiS1_IjLj3EES5_S5_,comdat
	.globl	_ZL33flash_attn_stream_k_fixup_uniformILi112ELi16ELi4EEvPfPK15HIP_vector_typeIfLj2EEiiiiiiS1_IjLj3EES5_S5_ ; -- Begin function _ZL33flash_attn_stream_k_fixup_uniformILi112ELi16ELi4EEvPfPK15HIP_vector_typeIfLj2EEiiiiiiS1_IjLj3EES5_S5_
	.p2align	8
	.type	_ZL33flash_attn_stream_k_fixup_uniformILi112ELi16ELi4EEvPfPK15HIP_vector_typeIfLj2EEiiiiiiS1_IjLj3EES5_S5_,@function
_ZL33flash_attn_stream_k_fixup_uniformILi112ELi16ELi4EEvPfPK15HIP_vector_typeIfLj2EEiiiiiiS1_IjLj3EES5_S5_: ; @_ZL33flash_attn_stream_k_fixup_uniformILi112ELi16ELi4EEvPfPK15HIP_vector_typeIfLj2EEiiiiiiS1_IjLj3EES5_S5_
; %bb.0:
	s_clause 0x2
	s_load_dwordx8 s[12:19], s[4:5], 0x1c
	s_load_dwordx4 s[20:23], s[4:5], 0x3c
	s_load_dwordx2 s[10:11], s[4:5], 0x10
	s_waitcnt lgkmcnt(0)
	s_mul_hi_u32 s0, s15, s6
	s_add_i32 s0, s6, s0
	s_lshr_b32 s0, s0, s16
	s_mul_i32 s1, s0, s17
	s_sub_i32 s1, s6, s1
	s_mul_hi_u32 s2, s1, s18
	s_add_i32 s2, s1, s2
	s_lshr_b32 s9, s2, s19
	s_mul_i32 s2, s9, s20
	s_sub_i32 s1, s1, s2
	s_mul_hi_u32 s2, s1, s21
	s_add_i32 s2, s1, s2
	s_lshr_b32 s2, s2, s22
	s_mul_i32 s3, s2, s23
	s_lshl_b32 s16, s2, 2
	s_sub_i32 s15, s1, s3
	s_lshl_b32 s1, s15, 4
	s_add_i32 s1, s1, s7
	s_cmp_lt_i32 s1, s10
	s_cselect_b32 s1, -1, 0
	s_add_i32 s16, s16, s8
	s_cmp_lt_i32 s16, s13
	s_cselect_b32 s2, -1, 0
	s_and_b32 s1, s1, s2
	s_andn2_b32 vcc_lo, exec_lo, s1
	s_cbranch_vccnz .LBB19_6
; %bb.1:
	s_mul_i32 s10, s0, s10
	s_load_dwordx4 s[0:3], s[4:5], 0x0
	s_add_i32 s4, s10, s7
	s_mul_i32 s9, s9, s13
	s_mul_i32 s4, s4, s11
	s_add_i32 s5, s16, s9
	s_mul_i32 s9, s11, s15
	s_add_i32 s4, s5, s4
	s_mulk_i32 s9, 0x700
	s_mulk_i32 s4, 0x70
	s_lshl_b32 s10, s7, 2
	v_add3_u32 v1, s4, s9, v0
	s_mul_i32 s4, s14, s6
	s_add_i32 s11, s4, s14
	v_ashrrev_i32_e32 v2, 31, v1
	v_lshlrev_b64 v[1:2], 2, v[1:2]
	s_waitcnt lgkmcnt(0)
	v_add_co_u32 v1, vcc_lo, s0, v1
	v_add_co_ci_u32_e64 v2, null, s1, v2, vcc_lo
	s_add_i32 s0, s10, s8
	s_lshl_b32 s1, s11, 6
	global_load_dword v5, v[1:2], off
	s_add_i32 s0, s0, s1
	s_sub_i32 s0, s0, 64
	s_ashr_i32 s1, s0, 31
	s_lshl_b64 s[0:1], s[0:1], 3
	s_add_u32 s0, s2, s0
	s_addc_u32 s1, s3, s1
	s_add_i32 s5, s11, -2
	s_load_dword s13, s[0:1], 0x4
	s_cmp_lt_i32 s5, s4
	s_cbranch_scc1 .LBB19_4
; %bb.2:
	s_load_dword s15, s[0:1], 0x0
	s_lshl_b32 s16, s12, 8
	s_mulk_i32 s7, 0x1c0
	s_ashr_i32 s17, s16, 31
	s_waitcnt lgkmcnt(0)
	v_mov_b32_e32 v6, s13
	s_lshl_b64 s[0:1], s[16:17], 2
	s_add_u32 s5, s2, s0
	s_addc_u32 s9, s3, s1
	s_add_i32 s6, s6, 1
	s_mul_i32 s0, s14, s6
	s_mul_i32 s6, s8, 0x70
	s_lshl_b32 s1, s0, 6
	s_mulk_i32 s0, 0x1c00
	s_add_i32 s6, s6, s7
	s_add_i32 s1, s8, s1
	s_lshl_b32 s7, s12, 6
	s_add_i32 s6, s6, s0
	s_add_i32 s0, s1, s7
	v_add3_u32 v3, s6, v0, 0xffffc800
	v_mov_b32_e32 v0, s15
	s_add_i32 s0, s0, s10
	s_add_i32 s6, s11, -1
	s_addk_i32 s0, 0xff80
.LBB19_3:                               ; =>This Inner Loop Header: Depth=1
	v_ashrrev_i32_e32 v4, 31, v3
	s_ashr_i32 s1, s0, 31
	s_lshl_b64 s[10:11], s[0:1], 3
	s_add_u32 s10, s2, s10
	v_lshlrev_b64 v[7:8], 2, v[3:4]
	s_addc_u32 s11, s3, s11
	v_add_nc_u32_e32 v3, 0xffffe400, v3
	s_add_i32 s6, s6, -1
	s_sub_i32 s0, s0, 64
	s_cmp_le_i32 s6, s4
	v_add_co_u32 v7, vcc_lo, s5, v7
	v_add_co_ci_u32_e64 v8, null, s9, v8, vcc_lo
	s_load_dwordx2 s[10:11], s[10:11], 0x0
	global_load_dword v4, v[7:8], off
	v_max_f32_e32 v7, v0, v0
	s_waitcnt lgkmcnt(0)
	v_max_f32_e64 v8, s10, s10
	v_max_f32_e32 v7, v7, v8
	v_sub_f32_e32 v8, s10, v7
	v_sub_f32_e32 v0, v0, v7
	v_mul_f32_e32 v9, 0x3fb8aa3b, v8
	v_mul_f32_e32 v12, 0x3fb8aa3b, v0
	v_cmp_ngt_f32_e32 vcc_lo, 0xc2ce8ed0, v8
	v_fma_f32 v10, 0x3fb8aa3b, v8, -v9
	v_rndne_f32_e32 v11, v9
	v_fma_f32 v13, 0x3fb8aa3b, v0, -v12
	v_rndne_f32_e32 v14, v12
	v_fmac_f32_e32 v10, 0x32a5705f, v8
	v_sub_f32_e32 v9, v9, v11
	v_fmac_f32_e32 v13, 0x32a5705f, v0
	v_cvt_i32_f32_e32 v11, v11
	v_add_f32_e32 v9, v9, v10
	v_sub_f32_e32 v10, v12, v14
	v_exp_f32_e32 v9, v9
	v_add_f32_e32 v10, v10, v13
	v_exp_f32_e32 v10, v10
	v_ldexp_f32 v9, v9, v11
	v_cvt_i32_f32_e32 v11, v14
	v_cndmask_b32_e32 v9, 0, v9, vcc_lo
	v_cmp_nlt_f32_e32 vcc_lo, 0x42b17218, v8
	v_ldexp_f32 v10, v10, v11
	v_mov_b32_e32 v11, v6
	v_cndmask_b32_e32 v9, 0x7f800000, v9, vcc_lo
	v_cmp_ngt_f32_e32 vcc_lo, 0xc2ce8ed0, v0
	v_cndmask_b32_e32 v10, 0, v10, vcc_lo
	v_cmp_le_f32_e32 vcc_lo, 0xc1a00000, v8
	v_cndmask_b32_e32 v8, 0, v9, vcc_lo
	v_cmp_nlt_f32_e32 vcc_lo, 0x42b17218, v0
	s_waitcnt vmcnt(1)
	v_mov_b32_e32 v9, v5
	v_cndmask_b32_e32 v5, 0x7f800000, v10, vcc_lo
	v_mul_f32_e32 v10, s11, v8
	v_cmp_le_f32_e32 vcc_lo, 0xc1a00000, v0
	v_mov_b32_e32 v0, v7
	v_mov_b32_e32 v6, v10
	v_cndmask_b32_e32 v12, 0, v5, vcc_lo
	v_fmac_f32_e32 v6, v11, v12
	s_waitcnt vmcnt(0)
	v_mul_f32_e32 v5, v4, v8
	v_fmac_f32_e32 v5, v9, v12
	s_cbranch_scc0 .LBB19_3
	s_branch .LBB19_5
.LBB19_4:
	s_waitcnt lgkmcnt(0)
	v_mov_b32_e32 v6, s13
.LBB19_5:
	s_waitcnt vmcnt(0)
	v_div_scale_f32 v0, null, v6, v6, v5
	v_rcp_f32_e32 v3, v0
	v_fma_f32 v4, -v0, v3, 1.0
	v_fmac_f32_e32 v3, v4, v3
	v_div_scale_f32 v4, vcc_lo, v5, v6, v5
	v_mul_f32_e32 v7, v4, v3
	v_fma_f32 v8, -v0, v7, v4
	v_fmac_f32_e32 v7, v8, v3
	v_fma_f32 v0, -v0, v7, v4
	v_div_fmas_f32 v0, v0, v3, v7
	v_div_fixup_f32 v0, v0, v6, v5
	global_store_dword v[1:2], v0, off
.LBB19_6:
	s_endpgm
	.section	.rodata,"a",@progbits
	.p2align	6, 0x0
	.amdhsa_kernel _ZL33flash_attn_stream_k_fixup_uniformILi112ELi16ELi4EEvPfPK15HIP_vector_typeIfLj2EEiiiiiiS1_IjLj3EES5_S5_
		.amdhsa_group_segment_fixed_size 0
		.amdhsa_private_segment_fixed_size 0
		.amdhsa_kernarg_size 76
		.amdhsa_user_sgpr_count 6
		.amdhsa_user_sgpr_private_segment_buffer 1
		.amdhsa_user_sgpr_dispatch_ptr 0
		.amdhsa_user_sgpr_queue_ptr 0
		.amdhsa_user_sgpr_kernarg_segment_ptr 1
		.amdhsa_user_sgpr_dispatch_id 0
		.amdhsa_user_sgpr_flat_scratch_init 0
		.amdhsa_user_sgpr_private_segment_size 0
		.amdhsa_wavefront_size32 1
		.amdhsa_uses_dynamic_stack 0
		.amdhsa_system_sgpr_private_segment_wavefront_offset 0
		.amdhsa_system_sgpr_workgroup_id_x 1
		.amdhsa_system_sgpr_workgroup_id_y 1
		.amdhsa_system_sgpr_workgroup_id_z 1
		.amdhsa_system_sgpr_workgroup_info 0
		.amdhsa_system_vgpr_workitem_id 0
		.amdhsa_next_free_vgpr 15
		.amdhsa_next_free_sgpr 24
		.amdhsa_reserve_vcc 1
		.amdhsa_reserve_flat_scratch 0
		.amdhsa_float_round_mode_32 0
		.amdhsa_float_round_mode_16_64 0
		.amdhsa_float_denorm_mode_32 3
		.amdhsa_float_denorm_mode_16_64 3
		.amdhsa_dx10_clamp 1
		.amdhsa_ieee_mode 1
		.amdhsa_fp16_overflow 0
		.amdhsa_workgroup_processor_mode 1
		.amdhsa_memory_ordered 1
		.amdhsa_forward_progress 1
		.amdhsa_shared_vgpr_count 0
		.amdhsa_exception_fp_ieee_invalid_op 0
		.amdhsa_exception_fp_denorm_src 0
		.amdhsa_exception_fp_ieee_div_zero 0
		.amdhsa_exception_fp_ieee_overflow 0
		.amdhsa_exception_fp_ieee_underflow 0
		.amdhsa_exception_fp_ieee_inexact 0
		.amdhsa_exception_int_div_zero 0
	.end_amdhsa_kernel
	.section	.text._ZL33flash_attn_stream_k_fixup_uniformILi112ELi16ELi4EEvPfPK15HIP_vector_typeIfLj2EEiiiiiiS1_IjLj3EES5_S5_,"axG",@progbits,_ZL33flash_attn_stream_k_fixup_uniformILi112ELi16ELi4EEvPfPK15HIP_vector_typeIfLj2EEiiiiiiS1_IjLj3EES5_S5_,comdat
.Lfunc_end19:
	.size	_ZL33flash_attn_stream_k_fixup_uniformILi112ELi16ELi4EEvPfPK15HIP_vector_typeIfLj2EEiiiiiiS1_IjLj3EES5_S5_, .Lfunc_end19-_ZL33flash_attn_stream_k_fixup_uniformILi112ELi16ELi4EEvPfPK15HIP_vector_typeIfLj2EEiiiiiiS1_IjLj3EES5_S5_
                                        ; -- End function
	.set _ZL33flash_attn_stream_k_fixup_uniformILi112ELi16ELi4EEvPfPK15HIP_vector_typeIfLj2EEiiiiiiS1_IjLj3EES5_S5_.num_vgpr, 15
	.set _ZL33flash_attn_stream_k_fixup_uniformILi112ELi16ELi4EEvPfPK15HIP_vector_typeIfLj2EEiiiiiiS1_IjLj3EES5_S5_.num_agpr, 0
	.set _ZL33flash_attn_stream_k_fixup_uniformILi112ELi16ELi4EEvPfPK15HIP_vector_typeIfLj2EEiiiiiiS1_IjLj3EES5_S5_.numbered_sgpr, 24
	.set _ZL33flash_attn_stream_k_fixup_uniformILi112ELi16ELi4EEvPfPK15HIP_vector_typeIfLj2EEiiiiiiS1_IjLj3EES5_S5_.num_named_barrier, 0
	.set _ZL33flash_attn_stream_k_fixup_uniformILi112ELi16ELi4EEvPfPK15HIP_vector_typeIfLj2EEiiiiiiS1_IjLj3EES5_S5_.private_seg_size, 0
	.set _ZL33flash_attn_stream_k_fixup_uniformILi112ELi16ELi4EEvPfPK15HIP_vector_typeIfLj2EEiiiiiiS1_IjLj3EES5_S5_.uses_vcc, 1
	.set _ZL33flash_attn_stream_k_fixup_uniformILi112ELi16ELi4EEvPfPK15HIP_vector_typeIfLj2EEiiiiiiS1_IjLj3EES5_S5_.uses_flat_scratch, 0
	.set _ZL33flash_attn_stream_k_fixup_uniformILi112ELi16ELi4EEvPfPK15HIP_vector_typeIfLj2EEiiiiiiS1_IjLj3EES5_S5_.has_dyn_sized_stack, 0
	.set _ZL33flash_attn_stream_k_fixup_uniformILi112ELi16ELi4EEvPfPK15HIP_vector_typeIfLj2EEiiiiiiS1_IjLj3EES5_S5_.has_recursion, 0
	.set _ZL33flash_attn_stream_k_fixup_uniformILi112ELi16ELi4EEvPfPK15HIP_vector_typeIfLj2EEiiiiiiS1_IjLj3EES5_S5_.has_indirect_call, 0
	.section	.AMDGPU.csdata,"",@progbits
; Kernel info:
; codeLenInByte = 848
; TotalNumSgprs: 26
; NumVgprs: 15
; ScratchSize: 0
; MemoryBound: 0
; FloatMode: 240
; IeeeMode: 1
; LDSByteSize: 0 bytes/workgroup (compile time only)
; SGPRBlocks: 0
; VGPRBlocks: 1
; NumSGPRsForWavesPerEU: 26
; NumVGPRsForWavesPerEU: 15
; Occupancy: 16
; WaveLimiterHint : 0
; COMPUTE_PGM_RSRC2:SCRATCH_EN: 0
; COMPUTE_PGM_RSRC2:USER_SGPR: 6
; COMPUTE_PGM_RSRC2:TRAP_HANDLER: 0
; COMPUTE_PGM_RSRC2:TGID_X_EN: 1
; COMPUTE_PGM_RSRC2:TGID_Y_EN: 1
; COMPUTE_PGM_RSRC2:TGID_Z_EN: 1
; COMPUTE_PGM_RSRC2:TIDIG_COMP_CNT: 0
	.section	.text._ZL33flash_attn_stream_k_fixup_generalILi112ELi16ELi4EEvPfPK15HIP_vector_typeIfLj2EEiiiiS1_IjLj3EES5_S5_S5_,"axG",@progbits,_ZL33flash_attn_stream_k_fixup_generalILi112ELi16ELi4EEvPfPK15HIP_vector_typeIfLj2EEiiiiS1_IjLj3EES5_S5_S5_,comdat
	.globl	_ZL33flash_attn_stream_k_fixup_generalILi112ELi16ELi4EEvPfPK15HIP_vector_typeIfLj2EEiiiiS1_IjLj3EES5_S5_S5_ ; -- Begin function _ZL33flash_attn_stream_k_fixup_generalILi112ELi16ELi4EEvPfPK15HIP_vector_typeIfLj2EEiiiiS1_IjLj3EES5_S5_S5_
	.p2align	8
	.type	_ZL33flash_attn_stream_k_fixup_generalILi112ELi16ELi4EEvPfPK15HIP_vector_typeIfLj2EEiiiiS1_IjLj3EES5_S5_S5_,@function
_ZL33flash_attn_stream_k_fixup_generalILi112ELi16ELi4EEvPfPK15HIP_vector_typeIfLj2EEiiiiS1_IjLj3EES5_S5_S5_: ; @_ZL33flash_attn_stream_k_fixup_generalILi112ELi16ELi4EEvPfPK15HIP_vector_typeIfLj2EEiiiiS1_IjLj3EES5_S5_S5_
; %bb.0:
	s_clause 0x1
	s_load_dwordx4 s[0:3], s[4:5], 0x10
	s_load_dword s9, s[4:5], 0x50
	s_mov_b32 s16, 0
	s_waitcnt lgkmcnt(0)
	s_mul_hi_i32 s17, s3, s6
	s_mul_i32 s18, s3, s6
	s_cmp_lg_u64 s[16:17], 0
	s_cbranch_scc0 .LBB20_21
; %bb.1:
	s_add_u32 s10, s9, 0
	s_addc_u32 s11, 0, 0
	s_xor_b64 s[10:11], s[10:11], 0
	v_cvt_f32_u32_e32 v1, s10
	v_cvt_f32_u32_e32 v2, s11
	s_sub_u32 s14, 0, s10
	s_subb_u32 s15, 0, s11
	v_fmamk_f32 v1, v2, 0x4f800000, v1
	v_rcp_f32_e32 v1, v1
	v_mul_f32_e32 v1, 0x5f7ffffc, v1
	v_mul_f32_e32 v2, 0x2f800000, v1
	v_trunc_f32_e32 v2, v2
	v_fmamk_f32 v1, v2, 0xcf800000, v1
	v_cvt_u32_f32_e32 v2, v2
	v_cvt_u32_f32_e32 v1, v1
	v_readfirstlane_b32 s12, v2
	v_readfirstlane_b32 s13, v1
	s_mul_i32 s19, s14, s12
	s_mul_hi_u32 s21, s14, s13
	s_mul_i32 s20, s15, s13
	s_add_i32 s19, s21, s19
	s_mul_i32 s22, s14, s13
	s_add_i32 s19, s19, s20
	s_mul_hi_u32 s21, s13, s22
	s_mul_i32 s24, s13, s19
	s_mul_hi_u32 s23, s12, s22
	s_mul_i32 s20, s12, s22
	s_mul_hi_u32 s22, s13, s19
	s_add_u32 s21, s21, s24
	s_addc_u32 s22, 0, s22
	s_mul_hi_u32 s25, s12, s19
	s_add_u32 s20, s21, s20
	s_mul_i32 s19, s12, s19
	s_addc_u32 s20, s22, s23
	s_addc_u32 s21, s25, 0
	s_add_u32 s19, s20, s19
	s_addc_u32 s20, 0, s21
	s_add_u32 s13, s13, s19
	s_cselect_b32 s19, -1, 0
	s_mul_hi_u32 s21, s14, s13
	s_cmp_lg_u32 s19, 0
	s_mul_i32 s19, s14, s13
	s_addc_u32 s12, s12, s20
	s_mul_i32 s15, s15, s13
	s_mul_i32 s14, s14, s12
	s_mul_hi_u32 s20, s13, s19
	s_add_i32 s14, s21, s14
	s_mul_hi_u32 s21, s12, s19
	s_add_i32 s14, s14, s15
	s_mul_i32 s15, s12, s19
	s_mul_i32 s23, s13, s14
	s_mul_hi_u32 s22, s13, s14
	s_add_u32 s20, s20, s23
	s_addc_u32 s22, 0, s22
	s_mul_hi_u32 s19, s12, s14
	s_add_u32 s15, s20, s15
	s_mul_i32 s14, s12, s14
	s_addc_u32 s15, s22, s21
	s_addc_u32 s19, s19, 0
	s_add_u32 s14, s15, s14
	s_addc_u32 s15, 0, s19
	s_add_u32 s19, s13, s14
	s_cselect_b32 s13, -1, 0
	s_cmp_lg_u32 s13, 0
	s_addc_u32 s20, s12, s15
	s_ashr_i32 s12, s17, 31
	s_add_u32 s14, s18, s12
	s_mov_b32 s13, s12
	s_addc_u32 s15, s17, s12
	s_xor_b64 s[14:15], s[14:15], s[12:13]
	s_mul_i32 s21, s14, s20
	s_mul_hi_u32 s22, s14, s19
	s_mul_hi_u32 s17, s14, s20
	;; [unrolled: 1-line block ×3, first 2 shown]
	s_mul_i32 s19, s15, s19
	s_add_u32 s21, s22, s21
	s_addc_u32 s17, 0, s17
	s_mul_hi_u32 s23, s15, s20
	s_add_u32 s19, s21, s19
	s_mul_i32 s20, s15, s20
	s_addc_u32 s17, s17, s24
	s_addc_u32 s19, s23, 0
	s_add_u32 s17, s17, s20
	s_addc_u32 s19, 0, s19
	s_mul_hi_u32 s20, s10, s17
	s_mul_i32 s21, s10, s19
	s_mul_i32 s22, s11, s17
	s_add_i32 s20, s20, s21
	s_mul_i32 s21, s10, s17
	s_add_i32 s20, s20, s22
	s_sub_i32 s22, s15, s20
	s_sub_u32 s14, s14, s21
	s_cselect_b32 s21, -1, 0
	s_cmp_lg_u32 s21, 0
	s_subb_u32 s22, s22, s11
	s_sub_u32 s23, s14, s10
	s_cselect_b32 s24, -1, 0
	s_cmp_lg_u32 s24, 0
	s_subb_u32 s22, s22, 0
	s_cmp_ge_u32 s22, s11
	s_cselect_b32 s24, -1, 0
	s_cmp_ge_u32 s23, s10
	s_cselect_b32 s23, -1, 0
	s_cmp_eq_u32 s22, s11
	s_cselect_b32 s22, s23, s24
	s_add_u32 s23, s17, 1
	s_addc_u32 s24, s19, 0
	s_add_u32 s25, s17, 2
	s_addc_u32 s26, s19, 0
	s_cmp_lg_u32 s22, 0
	s_cselect_b32 s22, s25, s23
	s_cselect_b32 s23, s26, s24
	s_cmp_lg_u32 s21, 0
	s_subb_u32 s15, s15, s20
	s_cmp_ge_u32 s15, s11
	s_cselect_b32 s20, -1, 0
	s_cmp_ge_u32 s14, s10
	s_cselect_b32 s10, -1, 0
	s_cmp_eq_u32 s15, s11
	s_cselect_b32 s10, s10, s20
	s_cmp_lg_u32 s10, 0
	s_cselect_b32 s11, s23, s19
	s_cselect_b32 s10, s22, s17
	s_xor_b64 s[12:13], s[12:13], 0
	s_xor_b64 s[10:11], s[10:11], s[12:13]
	s_sub_u32 s10, s10, s12
	s_load_dwordx4 s[12:15], s[4:5], 0x44
	s_andn2_b32 vcc_lo, exec_lo, s16
	s_cbranch_vccnz .LBB20_3
.LBB20_2:
	v_cvt_f32_u32_e32 v1, s9
	s_sub_i32 s11, 0, s9
	v_rcp_iflag_f32_e32 v1, v1
	v_mul_f32_e32 v1, 0x4f7ffffe, v1
	v_cvt_u32_f32_e32 v1, v1
	v_readfirstlane_b32 s10, v1
	s_mul_i32 s11, s11, s10
	s_mul_hi_u32 s11, s10, s11
	s_add_i32 s10, s10, s11
	s_mul_hi_u32 s10, s18, s10
	s_mul_i32 s11, s10, s9
	s_waitcnt lgkmcnt(0)
	s_add_i32 s15, s10, 1
	s_sub_i32 s11, s18, s11
	s_sub_i32 s16, s11, s9
	s_cmp_ge_u32 s11, s9
	s_cselect_b32 s10, s15, s10
	s_cselect_b32 s11, s16, s11
	s_add_i32 s15, s10, 1
	s_cmp_ge_u32 s11, s9
	s_cselect_b32 s10, s15, s10
.LBB20_3:
	s_add_i32 s11, s6, 1
	s_mov_b32 s16, 0
	s_mul_hi_i32 s17, s3, s11
	s_mul_i32 s11, s3, s11
	s_cmp_lg_u64 s[16:17], 0
	s_cbranch_scc0 .LBB20_22
; %bb.4:
	s_add_u32 s18, s9, 0
	s_addc_u32 s19, 0, 0
	s_xor_b64 s[18:19], s[18:19], 0
	v_cvt_f32_u32_e32 v1, s18
	v_cvt_f32_u32_e32 v2, s19
	s_sub_u32 s21, 0, s18
	s_subb_u32 s22, 0, s19
	v_fmamk_f32 v1, v2, 0x4f800000, v1
	v_rcp_f32_e32 v1, v1
	v_mul_f32_e32 v1, 0x5f7ffffc, v1
	v_mul_f32_e32 v2, 0x2f800000, v1
	v_trunc_f32_e32 v2, v2
	v_fmamk_f32 v1, v2, 0xcf800000, v1
	v_cvt_u32_f32_e32 v2, v2
	v_cvt_u32_f32_e32 v1, v1
	s_waitcnt lgkmcnt(0)
	v_readfirstlane_b32 s15, v2
	v_readfirstlane_b32 s20, v1
	s_mul_i32 s23, s21, s15
	s_mul_hi_u32 s25, s21, s20
	s_mul_i32 s24, s22, s20
	s_add_i32 s23, s25, s23
	s_mul_i32 s26, s21, s20
	s_add_i32 s23, s23, s24
	s_mul_hi_u32 s25, s20, s26
	s_mul_i32 s28, s20, s23
	s_mul_hi_u32 s27, s15, s26
	s_mul_i32 s24, s15, s26
	s_mul_hi_u32 s26, s20, s23
	s_add_u32 s25, s25, s28
	s_addc_u32 s26, 0, s26
	s_mul_hi_u32 s29, s15, s23
	s_add_u32 s24, s25, s24
	s_mul_i32 s23, s15, s23
	s_addc_u32 s24, s26, s27
	s_addc_u32 s25, s29, 0
	s_add_u32 s23, s24, s23
	s_addc_u32 s24, 0, s25
	s_add_u32 s20, s20, s23
	s_cselect_b32 s23, -1, 0
	s_mul_hi_u32 s25, s21, s20
	s_cmp_lg_u32 s23, 0
	s_mul_i32 s23, s21, s20
	s_addc_u32 s15, s15, s24
	s_mul_i32 s22, s22, s20
	s_mul_i32 s21, s21, s15
	s_mul_hi_u32 s24, s20, s23
	s_add_i32 s21, s25, s21
	s_mul_hi_u32 s25, s15, s23
	s_add_i32 s21, s21, s22
	s_mul_i32 s22, s15, s23
	s_mul_i32 s27, s20, s21
	s_mul_hi_u32 s26, s20, s21
	s_add_u32 s24, s24, s27
	s_addc_u32 s26, 0, s26
	s_mul_hi_u32 s23, s15, s21
	s_add_u32 s22, s24, s22
	s_mul_i32 s21, s15, s21
	s_addc_u32 s22, s26, s25
	s_addc_u32 s23, s23, 0
	s_add_u32 s21, s22, s21
	s_addc_u32 s22, 0, s23
	s_add_u32 s24, s20, s21
	s_cselect_b32 s20, -1, 0
	s_cmp_lg_u32 s20, 0
	s_addc_u32 s15, s15, s22
	s_ashr_i32 s20, s17, 31
	s_add_u32 s22, s11, s20
	s_mov_b32 s21, s20
	s_addc_u32 s23, s17, s20
	s_xor_b64 s[22:23], s[22:23], s[20:21]
	s_mul_i32 s25, s22, s15
	s_mul_hi_u32 s26, s22, s24
	s_mul_hi_u32 s17, s22, s15
	;; [unrolled: 1-line block ×3, first 2 shown]
	s_mul_i32 s24, s23, s24
	s_add_u32 s25, s26, s25
	s_addc_u32 s17, 0, s17
	s_mul_hi_u32 s27, s23, s15
	s_add_u32 s24, s25, s24
	s_mul_i32 s15, s23, s15
	s_addc_u32 s17, s17, s28
	s_addc_u32 s24, s27, 0
	s_add_u32 s15, s17, s15
	s_addc_u32 s17, 0, s24
	s_mul_hi_u32 s24, s18, s15
	s_mul_i32 s25, s18, s17
	s_mul_i32 s26, s19, s15
	s_add_i32 s24, s24, s25
	s_mul_i32 s25, s18, s15
	s_add_i32 s24, s24, s26
	s_sub_i32 s26, s23, s24
	s_sub_u32 s22, s22, s25
	s_cselect_b32 s25, -1, 0
	s_cmp_lg_u32 s25, 0
	s_subb_u32 s26, s26, s19
	s_sub_u32 s27, s22, s18
	s_cselect_b32 s28, -1, 0
	s_cmp_lg_u32 s28, 0
	s_subb_u32 s26, s26, 0
	s_cmp_ge_u32 s26, s19
	s_cselect_b32 s28, -1, 0
	s_cmp_ge_u32 s27, s18
	s_cselect_b32 s27, -1, 0
	s_cmp_eq_u32 s26, s19
	s_cselect_b32 s26, s27, s28
	s_add_u32 s27, s15, 1
	s_addc_u32 s28, s17, 0
	s_add_u32 s29, s15, 2
	s_addc_u32 s30, s17, 0
	s_cmp_lg_u32 s26, 0
	s_cselect_b32 s26, s29, s27
	s_cselect_b32 s27, s30, s28
	s_cmp_lg_u32 s25, 0
	s_subb_u32 s23, s23, s24
	s_cmp_ge_u32 s23, s19
	s_cselect_b32 s24, -1, 0
	s_cmp_ge_u32 s22, s18
	s_cselect_b32 s18, -1, 0
	s_cmp_eq_u32 s23, s19
	s_cselect_b32 s18, s18, s24
	s_cmp_lg_u32 s18, 0
	s_cselect_b32 s19, s27, s17
	s_cselect_b32 s18, s26, s15
	s_xor_b64 s[20:21], s[20:21], 0
	s_xor_b64 s[18:19], s[18:19], s[20:21]
	s_sub_u32 s18, s18, s20
	s_andn2_b32 vcc_lo, exec_lo, s16
	s_cbranch_vccnz .LBB20_6
.LBB20_5:
	v_cvt_f32_u32_e32 v1, s9
	s_sub_i32 s16, 0, s9
	v_rcp_iflag_f32_e32 v1, v1
	v_mul_f32_e32 v1, 0x4f7ffffe, v1
	v_cvt_u32_f32_e32 v1, v1
	s_waitcnt lgkmcnt(0)
	v_readfirstlane_b32 s15, v1
	s_mul_i32 s16, s16, s15
	s_mul_hi_u32 s16, s15, s16
	s_add_i32 s15, s15, s16
	s_mul_hi_u32 s15, s11, s15
	s_mul_i32 s16, s15, s9
	s_sub_i32 s11, s11, s16
	s_add_i32 s16, s15, 1
	s_sub_i32 s17, s11, s9
	s_cmp_ge_u32 s11, s9
	s_cselect_b32 s15, s16, s15
	s_cselect_b32 s11, s17, s11
	s_add_i32 s16, s15, 1
	s_cmp_ge_u32 s11, s9
	s_cselect_b32 s18, s16, s15
.LBB20_6:
	s_cmp_eq_u32 s10, s18
	s_waitcnt lgkmcnt(0)
	s_mul_hi_u32 s11, s10, s12
	s_cselect_b32 s15, -1, 0
	s_add_i32 s11, s11, s10
	s_lshr_b32 s11, s11, s13
	s_mul_i32 s16, s11, s14
	s_cmp_eq_u32 s16, s10
	s_mul_hi_u32 s16, s18, s12
	s_cselect_b32 s17, -1, 0
	s_add_i32 s16, s16, s18
	s_lshr_b32 s16, s16, s13
	s_cmp_eq_u32 s11, s16
	s_mul_i32 s16, s16, s14
	s_cselect_b32 s19, -1, 0
	s_cmp_lg_u32 s16, s18
	s_cselect_b32 s16, -1, 0
	s_or_b32 s15, s15, s17
	s_and_b32 s16, s19, s16
	s_or_b32 s15, s15, s16
	s_and_b32 vcc_lo, exec_lo, s15
	s_cbranch_vccnz .LBB20_24
; %bb.7:
	s_clause 0x1
	s_load_dwordx8 s[20:27], s[4:5], 0x20
	s_load_dword s16, s[4:5], 0x40
	s_waitcnt lgkmcnt(0)
	s_mul_hi_u32 s15, s10, s20
	s_add_i32 s15, s15, s10
	s_lshr_b32 s15, s15, s21
	s_mul_i32 s17, s15, s22
	s_sub_i32 s17, s10, s17
	s_mul_hi_u32 s18, s17, s23
	s_add_i32 s18, s17, s18
	s_lshr_b32 s21, s18, s24
	s_mul_i32 s18, s21, s25
	s_sub_i32 s17, s17, s18
	s_mul_hi_u32 s18, s17, s26
	s_add_i32 s18, s17, s18
	s_lshr_b32 s18, s18, s27
	s_mul_i32 s16, s18, s16
	s_lshl_b32 s22, s18, 2
	s_sub_i32 s16, s17, s16
	s_mul_hi_u32 s17, s16, s12
	s_add_i32 s16, s16, s17
	s_lshr_b32 s20, s16, s13
	s_lshl_b32 s16, s20, 4
	s_add_i32 s16, s16, s7
	s_cmp_lt_i32 s16, s0
	s_cselect_b32 s16, -1, 0
	s_add_i32 s22, s22, s8
	s_cmp_lt_i32 s22, s2
	s_cselect_b32 s17, -1, 0
	s_and_b32 s16, s16, s17
	s_andn2_b32 vcc_lo, exec_lo, s16
	s_cbranch_vccnz .LBB20_24
; %bb.8:
	s_load_dwordx4 s[16:19], s[4:5], 0x0
	s_mov_b32 s4, 0
	s_lshl_b32 s24, s9, 8
	s_mov_b32 s25, s4
	s_lshl_b32 s5, s7, 2
	s_lshl_b64 s[24:25], s[24:25], 2
	s_mul_i32 s21, s21, s2
	s_mul_i32 s0, s15, s0
	s_add_i32 s2, s5, s8
	v_cvt_f32_u32_e32 v3, s9
	v_rcp_iflag_f32_e32 v3, v3
	s_waitcnt lgkmcnt(0)
	s_add_u32 s8, s18, s24
	s_addc_u32 s15, s19, s25
	s_add_i32 s0, s0, s7
	s_add_i32 s5, s22, s21
	s_mul_i32 s0, s0, s1
	s_mul_i32 s1, s1, s20
	s_add_i32 s0, s5, s0
	s_mulk_i32 s1, 0x700
	s_mulk_i32 s0, 0x70
	v_mul_f32_e32 v7, 0x4f7ffffe, v3
	v_add3_u32 v1, s1, s0, v0
	s_lshl_b32 s0, s6, 6
	s_add_i32 s0, s2, s0
	v_ashrrev_i32_e32 v2, 31, v1
	s_ashr_i32 s1, s0, 31
	s_lshl_b64 s[0:1], s[0:1], 3
	v_lshlrev_b64 v[1:2], 2, v[1:2]
	s_add_u32 s0, s18, s0
	s_addc_u32 s1, s19, s1
	s_load_dwordx2 s[0:1], s[0:1], 0x0
	v_add_co_u32 v1, vcc_lo, s16, v1
	v_add_co_ci_u32_e64 v2, null, s17, v2, vcc_lo
	s_add_i32 s17, s6, -1
	v_mad_u64_u32 v[3:4], null, 0x70, s2, v[0:1]
	global_load_dword v5, v[1:2], off
	v_cvt_u32_f32_e32 v0, v7
	s_sub_i32 s16, 0, s9
	s_waitcnt lgkmcnt(0)
	v_mov_b32_e32 v4, s1
	v_mov_b32_e32 v6, s0
.LBB20_9:                               ; =>This Inner Loop Header: Depth=1
	s_mul_hi_i32 s5, s17, s3
	s_mul_i32 s6, s17, s3
	s_cmp_lg_u64 s[4:5], 0
	s_mov_b32 s7, -1
                                        ; implicit-def: $sgpr0_sgpr1
	s_cbranch_scc0 .LBB20_11
; %bb.10:                               ;   in Loop: Header=BB20_9 Depth=1
	s_add_u32 s0, s9, 0
	s_addc_u32 s1, 0, 0
	s_xor_b64 s[0:1], s[0:1], 0
	v_cvt_f32_u32_e32 v7, s0
	v_cvt_f32_u32_e32 v8, s1
	s_sub_u32 s21, 0, s0
	s_subb_u32 s22, 0, s1
	v_fmac_f32_e32 v7, 0x4f800000, v8
	v_rcp_f32_e32 v7, v7
	v_mul_f32_e32 v7, 0x5f7ffffc, v7
	v_mul_f32_e32 v8, 0x2f800000, v7
	v_trunc_f32_e32 v8, v8
	v_fmac_f32_e32 v7, 0xcf800000, v8
	v_cvt_u32_f32_e32 v8, v8
	v_cvt_u32_f32_e32 v7, v7
	v_readfirstlane_b32 s7, v8
	v_readfirstlane_b32 s20, v7
	s_mul_i32 s23, s21, s7
	s_mul_hi_u32 s25, s21, s20
	s_mul_i32 s24, s22, s20
	s_add_i32 s23, s25, s23
	s_mul_i32 s26, s21, s20
	s_add_i32 s23, s23, s24
	s_mul_hi_u32 s25, s20, s26
	s_mul_i32 s28, s20, s23
	s_mul_hi_u32 s27, s7, s26
	s_mul_i32 s24, s7, s26
	s_mul_hi_u32 s26, s20, s23
	s_add_u32 s25, s25, s28
	s_addc_u32 s26, 0, s26
	s_mul_hi_u32 s29, s7, s23
	s_add_u32 s24, s25, s24
	s_mul_i32 s23, s7, s23
	s_addc_u32 s24, s26, s27
	s_addc_u32 s25, s29, 0
	s_add_u32 s23, s24, s23
	s_addc_u32 s24, 0, s25
	s_add_u32 s20, s20, s23
	s_cselect_b32 s23, -1, 0
	s_mul_hi_u32 s25, s21, s20
	s_cmp_lg_u32 s23, 0
	s_mul_i32 s23, s21, s20
	s_addc_u32 s7, s7, s24
	s_mul_i32 s22, s22, s20
	s_mul_i32 s21, s21, s7
	s_mul_hi_u32 s24, s20, s23
	s_add_i32 s21, s25, s21
	s_mul_hi_u32 s25, s7, s23
	s_add_i32 s21, s21, s22
	s_mul_i32 s22, s7, s23
	s_mul_i32 s27, s20, s21
	s_mul_hi_u32 s26, s20, s21
	s_add_u32 s24, s24, s27
	s_addc_u32 s26, 0, s26
	s_mul_hi_u32 s23, s7, s21
	s_add_u32 s22, s24, s22
	s_mul_i32 s21, s7, s21
	s_addc_u32 s22, s26, s25
	s_addc_u32 s23, s23, 0
	s_add_u32 s21, s22, s21
	s_addc_u32 s22, 0, s23
	s_add_u32 s24, s20, s21
	s_cselect_b32 s20, -1, 0
	s_cmp_lg_u32 s20, 0
	s_addc_u32 s7, s7, s22
	s_ashr_i32 s20, s5, 31
	s_add_u32 s22, s6, s20
	s_mov_b32 s21, s20
	s_addc_u32 s23, s5, s20
	s_xor_b64 s[22:23], s[22:23], s[20:21]
	s_mul_i32 s25, s22, s7
	s_mul_hi_u32 s26, s22, s24
	s_mul_hi_u32 s5, s22, s7
	s_mul_hi_u32 s28, s23, s24
	s_mul_i32 s24, s23, s24
	s_add_u32 s25, s26, s25
	s_addc_u32 s5, 0, s5
	s_mul_hi_u32 s27, s23, s7
	s_add_u32 s24, s25, s24
	s_mul_i32 s7, s23, s7
	s_addc_u32 s5, s5, s28
	s_addc_u32 s24, s27, 0
	s_add_u32 s5, s5, s7
	s_addc_u32 s7, 0, s24
	s_mul_hi_u32 s24, s0, s5
	s_mul_i32 s25, s0, s7
	s_mul_i32 s26, s1, s5
	s_add_i32 s24, s24, s25
	s_mul_i32 s25, s0, s5
	s_add_i32 s24, s24, s26
	s_sub_i32 s26, s23, s24
	s_sub_u32 s22, s22, s25
	s_cselect_b32 s25, -1, 0
	s_cmp_lg_u32 s25, 0
	s_subb_u32 s26, s26, s1
	s_sub_u32 s27, s22, s0
	s_cselect_b32 s28, -1, 0
	s_cmp_lg_u32 s28, 0
	s_subb_u32 s26, s26, 0
	s_cmp_ge_u32 s26, s1
	s_cselect_b32 s28, -1, 0
	s_cmp_ge_u32 s27, s0
	s_cselect_b32 s27, -1, 0
	s_cmp_eq_u32 s26, s1
	s_cselect_b32 s26, s27, s28
	s_add_u32 s27, s5, 1
	s_addc_u32 s28, s7, 0
	s_add_u32 s29, s5, 2
	s_addc_u32 s30, s7, 0
	s_cmp_lg_u32 s26, 0
	s_cselect_b32 s26, s29, s27
	s_cselect_b32 s27, s30, s28
	s_cmp_lg_u32 s25, 0
	s_subb_u32 s23, s23, s24
	s_cmp_ge_u32 s23, s1
	s_cselect_b32 s24, -1, 0
	s_cmp_ge_u32 s22, s0
	s_cselect_b32 s0, -1, 0
	s_cmp_eq_u32 s23, s1
	s_cselect_b32 s0, s0, s24
	s_cmp_lg_u32 s0, 0
	s_cselect_b32 s1, s27, s7
	s_cselect_b32 s0, s26, s5
	s_xor_b64 s[20:21], s[20:21], 0
	s_mov_b32 s7, 0
	s_xor_b64 s[0:1], s[0:1], s[20:21]
	s_sub_u32 s0, s0, s20
.LBB20_11:                              ;   in Loop: Header=BB20_9 Depth=1
	s_andn2_b32 vcc_lo, exec_lo, s7
	s_cbranch_vccnz .LBB20_13
; %bb.12:                               ;   in Loop: Header=BB20_9 Depth=1
	v_readfirstlane_b32 s0, v0
	s_mul_i32 s1, s16, s0
	s_mul_hi_u32 s1, s0, s1
	s_add_i32 s0, s0, s1
	s_mul_hi_u32 s0, s6, s0
	s_mul_i32 s1, s0, s9
	s_add_i32 s5, s0, 1
	s_sub_i32 s1, s6, s1
	s_sub_i32 s6, s1, s9
	s_cmp_ge_u32 s1, s9
	s_cselect_b32 s0, s5, s0
	s_cselect_b32 s1, s6, s1
	s_add_i32 s5, s0, 1
	s_cmp_ge_u32 s1, s9
	s_cselect_b32 s0, s5, s0
.LBB20_13:                              ;   in Loop: Header=BB20_9 Depth=1
	s_cmp_lg_u32 s10, s0
	s_mov_b32 s6, -1
                                        ; implicit-def: $sgpr5
                                        ; implicit-def: $vgpr8
                                        ; implicit-def: $vgpr7
                                        ; implicit-def: $vgpr9
                                        ; implicit-def: $sgpr1
                                        ; implicit-def: $sgpr20
	s_cbranch_scc0 .LBB20_18
; %bb.14:                               ;   in Loop: Header=BB20_9 Depth=1
	s_add_i32 s1, s17, s9
	s_mov_b32 s7, s4
	s_lshl_b32 s1, s1, 6
	s_mov_b32 s20, s10
	s_add_i32 s6, s1, s2
	s_mul_hi_u32 s1, s0, s12
	s_lshl_b64 s[6:7], s[6:7], 3
	s_add_u32 s6, s18, s6
	s_addc_u32 s7, s19, s7
	s_add_i32 s1, s1, s0
	s_lshr_b32 s1, s1, s13
	s_mul_i32 s5, s1, s14
	s_cmp_eq_u32 s5, s0
	s_cselect_b32 s5, -1, 0
	s_cmp_lt_u32 s1, s11
	s_cselect_b32 s1, -1, 0
	s_or_b32 s1, s1, s5
	s_mov_b32 s5, -1
	s_and_b32 vcc_lo, exec_lo, s1
	s_mov_b32 s1, s17
	s_cbranch_vccnz .LBB20_16
; %bb.15:                               ;   in Loop: Header=BB20_9 Depth=1
	s_add_i32 s1, s17, -1
	s_mov_b32 s5, 0
	s_mov_b32 s20, s0
.LBB20_16:                              ;   in Loop: Header=BB20_9 Depth=1
	v_mad_u64_u32 v[7:8], null, 0x1c00, s17, v[3:4]
	s_load_dwordx2 s[6:7], s[6:7], 0x0
	v_ashrrev_i32_e32 v8, 31, v7
	v_lshlrev_b64 v[7:8], 2, v[7:8]
	v_add_co_u32 v7, vcc_lo, s8, v7
	v_add_co_ci_u32_e64 v8, null, s15, v8, vcc_lo
	s_waitcnt lgkmcnt(0)
	v_max_f32_e64 v9, s6, s6
	global_load_dword v8, v[7:8], off
	v_max_f32_e32 v7, v6, v6
	v_max_f32_e32 v7, v7, v9
	v_sub_f32_e32 v9, s6, v7
	v_sub_f32_e32 v10, v6, v7
	v_mul_f32_e32 v11, 0x3fb8aa3b, v9
	v_mul_f32_e32 v12, 0x3fb8aa3b, v10
	v_cmp_ngt_f32_e32 vcc_lo, 0xc2ce8ed0, v9
	v_fma_f32 v13, 0x3fb8aa3b, v9, -v11
	v_rndne_f32_e32 v14, v11
	v_fma_f32 v15, 0x3fb8aa3b, v10, -v12
	v_rndne_f32_e32 v16, v12
	v_fmac_f32_e32 v13, 0x32a5705f, v9
	v_sub_f32_e32 v11, v11, v14
	v_fmac_f32_e32 v15, 0x32a5705f, v10
	v_sub_f32_e32 v12, v12, v16
	v_add_f32_e32 v11, v11, v13
	v_cvt_i32_f32_e32 v13, v14
	v_add_f32_e32 v12, v12, v15
	v_cvt_i32_f32_e32 v14, v16
	v_exp_f32_e32 v11, v11
	v_exp_f32_e32 v12, v12
	v_ldexp_f32 v11, v11, v13
	v_ldexp_f32 v12, v12, v14
	v_cndmask_b32_e32 v11, 0, v11, vcc_lo
	v_cmp_ngt_f32_e32 vcc_lo, 0xc2ce8ed0, v10
	v_cndmask_b32_e32 v12, 0, v12, vcc_lo
	v_cmp_nlt_f32_e32 vcc_lo, 0x42b17218, v9
	v_cndmask_b32_e32 v11, 0x7f800000, v11, vcc_lo
	v_cmp_nlt_f32_e32 vcc_lo, 0x42b17218, v10
	v_cndmask_b32_e32 v12, 0x7f800000, v12, vcc_lo
	v_cmp_le_f32_e32 vcc_lo, 0xc1a00000, v9
	v_cndmask_b32_e32 v9, 0, v11, vcc_lo
	v_cmp_le_f32_e32 vcc_lo, 0xc1a00000, v10
	v_cndmask_b32_e32 v10, 0, v12, vcc_lo
	s_waitcnt vmcnt(0)
	v_mul_f32_e32 v8, v8, v9
	v_mul_f32_e32 v9, s7, v9
	v_fmac_f32_e32 v8, v5, v10
	v_fmac_f32_e32 v9, v4, v10
	s_cbranch_execz .LBB20_19
.LBB20_17:                              ;   in Loop: Header=BB20_9 Depth=1
	s_andn2_b32 vcc_lo, exec_lo, s5
	s_cbranch_vccnz .LBB20_20
	s_branch .LBB20_23
.LBB20_18:                              ;   in Loop: Header=BB20_9 Depth=1
	s_andn2_b32 vcc_lo, exec_lo, s6
	s_cbranch_vccnz .LBB20_17
.LBB20_19:                              ;   in Loop: Header=BB20_9 Depth=1
	v_mov_b32_e32 v9, v4
	v_mov_b32_e32 v7, v6
	s_waitcnt vmcnt(0)
	v_mov_b32_e32 v8, v5
	s_add_i32 s1, s17, -1
	s_mov_b32 s20, s10
	s_cbranch_execz .LBB20_23
.LBB20_20:                              ;   in Loop: Header=BB20_9 Depth=1
	v_mov_b32_e32 v4, v9
	v_mov_b32_e32 v6, v7
	s_waitcnt vmcnt(0)
	v_mov_b32_e32 v5, v8
	s_mov_b32 s10, s20
	s_mov_b32 s17, s1
	s_branch .LBB20_9
.LBB20_21:
                                        ; implicit-def: $sgpr10_sgpr11
	s_load_dwordx4 s[12:15], s[4:5], 0x44
	s_branch .LBB20_2
.LBB20_22:
                                        ; implicit-def: $sgpr18_sgpr19
	s_branch .LBB20_5
.LBB20_23:
	v_div_scale_f32 v0, null, v9, v9, v8
	v_rcp_f32_e32 v3, v0
	v_fma_f32 v4, -v0, v3, 1.0
	v_fmac_f32_e32 v3, v4, v3
	v_div_scale_f32 v4, vcc_lo, v8, v9, v8
	s_waitcnt vmcnt(0)
	v_mul_f32_e32 v5, v4, v3
	v_fma_f32 v6, -v0, v5, v4
	v_fmac_f32_e32 v5, v6, v3
	v_fma_f32 v0, -v0, v5, v4
	v_div_fmas_f32 v0, v0, v3, v5
	v_div_fixup_f32 v0, v0, v9, v8
	global_store_dword v[1:2], v0, off
.LBB20_24:
	s_endpgm
	.section	.rodata,"a",@progbits
	.p2align	6, 0x0
	.amdhsa_kernel _ZL33flash_attn_stream_k_fixup_generalILi112ELi16ELi4EEvPfPK15HIP_vector_typeIfLj2EEiiiiS1_IjLj3EES5_S5_S5_
		.amdhsa_group_segment_fixed_size 0
		.amdhsa_private_segment_fixed_size 0
		.amdhsa_kernarg_size 336
		.amdhsa_user_sgpr_count 6
		.amdhsa_user_sgpr_private_segment_buffer 1
		.amdhsa_user_sgpr_dispatch_ptr 0
		.amdhsa_user_sgpr_queue_ptr 0
		.amdhsa_user_sgpr_kernarg_segment_ptr 1
		.amdhsa_user_sgpr_dispatch_id 0
		.amdhsa_user_sgpr_flat_scratch_init 0
		.amdhsa_user_sgpr_private_segment_size 0
		.amdhsa_wavefront_size32 1
		.amdhsa_uses_dynamic_stack 0
		.amdhsa_system_sgpr_private_segment_wavefront_offset 0
		.amdhsa_system_sgpr_workgroup_id_x 1
		.amdhsa_system_sgpr_workgroup_id_y 1
		.amdhsa_system_sgpr_workgroup_id_z 1
		.amdhsa_system_sgpr_workgroup_info 0
		.amdhsa_system_vgpr_workitem_id 0
		.amdhsa_next_free_vgpr 17
		.amdhsa_next_free_sgpr 31
		.amdhsa_reserve_vcc 1
		.amdhsa_reserve_flat_scratch 0
		.amdhsa_float_round_mode_32 0
		.amdhsa_float_round_mode_16_64 0
		.amdhsa_float_denorm_mode_32 3
		.amdhsa_float_denorm_mode_16_64 3
		.amdhsa_dx10_clamp 1
		.amdhsa_ieee_mode 1
		.amdhsa_fp16_overflow 0
		.amdhsa_workgroup_processor_mode 1
		.amdhsa_memory_ordered 1
		.amdhsa_forward_progress 1
		.amdhsa_shared_vgpr_count 0
		.amdhsa_exception_fp_ieee_invalid_op 0
		.amdhsa_exception_fp_denorm_src 0
		.amdhsa_exception_fp_ieee_div_zero 0
		.amdhsa_exception_fp_ieee_overflow 0
		.amdhsa_exception_fp_ieee_underflow 0
		.amdhsa_exception_fp_ieee_inexact 0
		.amdhsa_exception_int_div_zero 0
	.end_amdhsa_kernel
	.section	.text._ZL33flash_attn_stream_k_fixup_generalILi112ELi16ELi4EEvPfPK15HIP_vector_typeIfLj2EEiiiiS1_IjLj3EES5_S5_S5_,"axG",@progbits,_ZL33flash_attn_stream_k_fixup_generalILi112ELi16ELi4EEvPfPK15HIP_vector_typeIfLj2EEiiiiS1_IjLj3EES5_S5_S5_,comdat
.Lfunc_end20:
	.size	_ZL33flash_attn_stream_k_fixup_generalILi112ELi16ELi4EEvPfPK15HIP_vector_typeIfLj2EEiiiiS1_IjLj3EES5_S5_S5_, .Lfunc_end20-_ZL33flash_attn_stream_k_fixup_generalILi112ELi16ELi4EEvPfPK15HIP_vector_typeIfLj2EEiiiiS1_IjLj3EES5_S5_S5_
                                        ; -- End function
	.set _ZL33flash_attn_stream_k_fixup_generalILi112ELi16ELi4EEvPfPK15HIP_vector_typeIfLj2EEiiiiS1_IjLj3EES5_S5_S5_.num_vgpr, 17
	.set _ZL33flash_attn_stream_k_fixup_generalILi112ELi16ELi4EEvPfPK15HIP_vector_typeIfLj2EEiiiiS1_IjLj3EES5_S5_S5_.num_agpr, 0
	.set _ZL33flash_attn_stream_k_fixup_generalILi112ELi16ELi4EEvPfPK15HIP_vector_typeIfLj2EEiiiiS1_IjLj3EES5_S5_S5_.numbered_sgpr, 31
	.set _ZL33flash_attn_stream_k_fixup_generalILi112ELi16ELi4EEvPfPK15HIP_vector_typeIfLj2EEiiiiS1_IjLj3EES5_S5_S5_.num_named_barrier, 0
	.set _ZL33flash_attn_stream_k_fixup_generalILi112ELi16ELi4EEvPfPK15HIP_vector_typeIfLj2EEiiiiS1_IjLj3EES5_S5_S5_.private_seg_size, 0
	.set _ZL33flash_attn_stream_k_fixup_generalILi112ELi16ELi4EEvPfPK15HIP_vector_typeIfLj2EEiiiiS1_IjLj3EES5_S5_S5_.uses_vcc, 1
	.set _ZL33flash_attn_stream_k_fixup_generalILi112ELi16ELi4EEvPfPK15HIP_vector_typeIfLj2EEiiiiS1_IjLj3EES5_S5_S5_.uses_flat_scratch, 0
	.set _ZL33flash_attn_stream_k_fixup_generalILi112ELi16ELi4EEvPfPK15HIP_vector_typeIfLj2EEiiiiS1_IjLj3EES5_S5_S5_.has_dyn_sized_stack, 0
	.set _ZL33flash_attn_stream_k_fixup_generalILi112ELi16ELi4EEvPfPK15HIP_vector_typeIfLj2EEiiiiS1_IjLj3EES5_S5_S5_.has_recursion, 0
	.set _ZL33flash_attn_stream_k_fixup_generalILi112ELi16ELi4EEvPfPK15HIP_vector_typeIfLj2EEiiiiS1_IjLj3EES5_S5_S5_.has_indirect_call, 0
	.section	.AMDGPU.csdata,"",@progbits
; Kernel info:
; codeLenInByte = 2948
; TotalNumSgprs: 33
; NumVgprs: 17
; ScratchSize: 0
; MemoryBound: 0
; FloatMode: 240
; IeeeMode: 1
; LDSByteSize: 0 bytes/workgroup (compile time only)
; SGPRBlocks: 0
; VGPRBlocks: 2
; NumSGPRsForWavesPerEU: 33
; NumVGPRsForWavesPerEU: 17
; Occupancy: 16
; WaveLimiterHint : 0
; COMPUTE_PGM_RSRC2:SCRATCH_EN: 0
; COMPUTE_PGM_RSRC2:USER_SGPR: 6
; COMPUTE_PGM_RSRC2:TRAP_HANDLER: 0
; COMPUTE_PGM_RSRC2:TGID_X_EN: 1
; COMPUTE_PGM_RSRC2:TGID_Y_EN: 1
; COMPUTE_PGM_RSRC2:TGID_Z_EN: 1
; COMPUTE_PGM_RSRC2:TIDIG_COMP_CNT: 0
	.section	.text._ZL15flash_attn_tileILi112ELi112ELi8ELi4ELb0EEvPKcS1_S1_S1_S1_PKiPfP15HIP_vector_typeIfLj2EEffffjfiS5_IjLj3EEiiiiiiiiiiiliiliiiiil,"axG",@progbits,_ZL15flash_attn_tileILi112ELi112ELi8ELi4ELb0EEvPKcS1_S1_S1_S1_PKiPfP15HIP_vector_typeIfLj2EEffffjfiS5_IjLj3EEiiiiiiiiiiiliiliiiiil,comdat
	.globl	_ZL15flash_attn_tileILi112ELi112ELi8ELi4ELb0EEvPKcS1_S1_S1_S1_PKiPfP15HIP_vector_typeIfLj2EEffffjfiS5_IjLj3EEiiiiiiiiiiiliiliiiiil ; -- Begin function _ZL15flash_attn_tileILi112ELi112ELi8ELi4ELb0EEvPKcS1_S1_S1_S1_PKiPfP15HIP_vector_typeIfLj2EEffffjfiS5_IjLj3EEiiiiiiiiiiiliiliiiiil
	.p2align	8
	.type	_ZL15flash_attn_tileILi112ELi112ELi8ELi4ELb0EEvPKcS1_S1_S1_S1_PKiPfP15HIP_vector_typeIfLj2EEffffjfiS5_IjLj3EEiiiiiiiiiiiliiliiiiil,@function
_ZL15flash_attn_tileILi112ELi112ELi8ELi4ELb0EEvPKcS1_S1_S1_S1_PKiPfP15HIP_vector_typeIfLj2EEffffjfiS5_IjLj3EEiiiiiiiiiiiliiliiiiil: ; @_ZL15flash_attn_tileILi112ELi112ELi8ELi4ELb0EEvPKcS1_S1_S1_S1_PKiPfP15HIP_vector_typeIfLj2EEffffjfiS5_IjLj3EEiiiiiiiiiiiliiliiiiil
; %bb.0:
	s_clause 0x1
	s_load_dwordx4 s[28:31], s[4:5], 0x5c
	s_load_dwordx2 s[34:35], s[4:5], 0x80
	s_mov_b64 s[36:37], 0
	s_waitcnt lgkmcnt(0)
	s_ashr_i32 s0, s31, 31
	s_lshr_b32 s0, s0, 30
	s_add_i32 s0, s31, s0
	s_ashr_i32 s0, s0, 2
	v_cvt_f32_u32_e32 v2, s0
	s_sub_i32 s2, 0, s0
	v_rcp_iflag_f32_e32 v2, v2
	v_mul_f32_e32 v2, 0x4f7ffffe, v2
	v_cvt_u32_f32_e32 v2, v2
	v_readfirstlane_b32 s1, v2
	s_mul_i32 s2, s2, s1
	s_mul_hi_u32 s2, s1, s2
	s_add_i32 s1, s1, s2
	s_mul_hi_u32 s1, s8, s1
	s_mul_i32 s2, s1, s0
	s_add_i32 s3, s1, 1
	s_sub_i32 s2, s8, s2
	s_sub_i32 s9, s2, s0
	s_cmp_ge_u32 s2, s0
	s_cselect_b32 s1, s3, s1
	s_cselect_b32 s2, s9, s2
	s_add_i32 s3, s1, 1
	s_cmp_ge_u32 s2, s0
	s_cselect_b32 s33, s3, s1
	s_abs_i32 s0, s35
	s_abs_i32 s3, s31
	v_cvt_f32_u32_e32 v2, s0
	s_sub_i32 s2, 0, s0
	s_lshl_b32 s8, s8, 2
	v_rcp_iflag_f32_e32 v2, v2
	v_mul_f32_e32 v2, 0x4f7ffffe, v2
	v_cvt_u32_f32_e32 v2, v2
	v_readfirstlane_b32 s1, v2
	s_mul_i32 s2, s2, s1
	s_mul_hi_u32 s2, s1, s2
	s_add_i32 s1, s1, s2
	s_xor_b32 s2, s31, s35
	s_mul_hi_u32 s1, s3, s1
	s_ashr_i32 s2, s2, 31
	s_mul_i32 s9, s1, s0
	s_sub_i32 s3, s3, s9
	s_add_i32 s9, s1, 1
	s_sub_i32 s10, s3, s0
	s_cmp_ge_u32 s3, s0
	s_cselect_b32 s1, s9, s1
	s_cselect_b32 s3, s10, s3
	s_add_i32 s9, s1, 1
	s_cmp_ge_u32 s3, s0
	s_cselect_b32 s0, s9, s1
	s_mul_i32 s9, s33, s31
	s_xor_b32 s0, s0, s2
	s_sub_i32 s3, s0, s2
	s_clause 0x1
	s_load_dwordx16 s[12:27], s[4:5], 0x0
	s_load_dwordx2 s[0:1], s[4:5], 0xb8
	s_abs_i32 s2, s3
	v_cvt_f32_u32_e32 v2, s2
	v_rcp_iflag_f32_e32 v2, v2
	v_mul_f32_e32 v2, 0x4f7ffffe, v2
	s_waitcnt lgkmcnt(0)
	s_cmp_eq_u64 s[18:19], 0
	v_cvt_u32_f32_e32 v2, v2
	v_readfirstlane_b32 s35, v2
	s_cbranch_scc1 .LBB21_2
; %bb.1:
	s_abs_i32 s0, s0
	s_abs_i32 s36, s33
	v_cvt_f32_u32_e32 v2, s0
	s_sub_i32 s11, 0, s0
	v_rcp_iflag_f32_e32 v2, v2
	v_mul_f32_e32 v2, 0x4f7ffffe, v2
	v_cvt_u32_f32_e32 v2, v2
	v_readfirstlane_b32 s10, v2
	s_mul_i32 s11, s11, s10
	s_mul_hi_u32 s11, s10, s11
	s_add_i32 s10, s10, s11
	s_mul_hi_u32 s37, s36, s10
	s_load_dwordx2 s[10:11], s[4:5], 0xc8
	s_mul_i32 s37, s37, s0
	s_sub_i32 s36, s36, s37
	s_ashr_i32 s37, s33, 31
	s_sub_i32 s38, s36, s0
	s_cmp_ge_u32 s36, s0
	s_cselect_b32 s36, s38, s36
	s_sub_i32 s38, s36, s0
	s_cmp_ge_u32 s36, s0
	s_cselect_b32 s0, s38, s36
	s_xor_b32 s0, s0, s37
	s_sub_i32 s0, s0, s37
	s_ashr_i32 s36, s0, 31
	s_waitcnt lgkmcnt(0)
	s_mul_hi_u32 s37, s10, s0
	s_mul_i32 s36, s10, s36
	s_mul_i32 s11, s11, s0
	s_add_i32 s36, s37, s36
	s_mul_i32 s0, s10, s0
	s_add_i32 s10, s36, s11
	s_add_u32 s36, s18, s0
	s_addc_u32 s37, s19, s10
.LBB21_2:
	v_lshl_add_u32 v70, s6, 3, v1
	v_cmp_gt_u32_e64 s0, 28, v0
	v_lshlrev_b32_e32 v69, 2, v0
	v_lshlrev_b32_e32 v84, 3, v0
	s_sub_i32 s18, s8, s9
	v_mul_hi_u32 v2, s28, v70
	v_add_nc_u32_e32 v2, v70, v2
	v_lshrrev_b32_e32 v2, s29, v2
	v_mul_lo_u32 v2, v2, s30
	v_sub_nc_u32_e32 v2, v70, v2
	s_and_saveexec_b32 s19, s0
	s_cbranch_execz .LBB21_4
; %bb.3:
	s_load_dwordx4 s[8:11], s[4:5], 0x70
	v_mad_u32_u24 v19, 0x380, v1, v84
	s_waitcnt lgkmcnt(0)
	s_mul_i32 s11, s33, s10
	s_mul_i32 s28, s18, s9
	s_ashr_i32 s29, s11, 31
	s_add_u32 s11, s12, s11
	s_addc_u32 s12, s13, s29
	s_ashr_i32 s13, s28, 31
	s_add_u32 s28, s11, s28
	s_mov_b32 s10, s8
	s_addc_u32 s29, s12, s13
	s_ashr_i32 s11, s8, 31
	s_lshr_b64 s[12:13], s[10:11], 2
	s_lshr_b32 s8, s11, 2
	v_mad_u64_u32 v[3:4], null, s12, v2, 0
	s_mov_b32 s10, s9
	s_ashr_i32 s11, s9, 31
	s_lshr_b64 s[12:13], s[10:11], 2
	s_and_b32 s10, s9, -4
	v_mad_u64_u32 v[4:5], null, s8, v2, v[4:5]
	v_lshlrev_b32_e32 v5, 2, v69
	s_lshl_b64 s[8:9], s[12:13], 3
	v_lshlrev_b64 v[3:4], 2, v[3:4]
	v_add_co_u32 v3, vcc_lo, s28, v3
	v_add_co_ci_u32_e64 v4, null, s29, v4, vcc_lo
	v_add_co_u32 v7, vcc_lo, v3, v5
	v_add_co_ci_u32_e64 v8, null, 0, v4, vcc_lo
	v_add_co_u32 v9, vcc_lo, v7, s10
	v_mad_u64_u32 v[15:16], null, s12, 12, v[7:8]
	global_load_dwordx4 v[3:6], v[7:8], off
	v_add_co_ci_u32_e64 v10, null, s11, v8, vcc_lo
	v_add_co_u32 v11, vcc_lo, v7, s8
	v_add_co_ci_u32_e64 v12, null, s9, v8, vcc_lo
	s_clause 0x1
	global_load_dwordx4 v[7:10], v[9:10], off
	global_load_dwordx4 v[11:14], v[11:12], off
	v_mad_u64_u32 v[16:17], null, s11, 12, v[16:17]
	s_load_dword s8, s[4:5], 0x40
	global_load_dwordx4 v[15:18], v[15:16], off
	s_waitcnt vmcnt(3) lgkmcnt(0)
	v_fma_mixlo_f16 v4, s8, v4, 0
	v_fma_mixlo_f16 v3, s8, v3, 0
	;; [unrolled: 1-line block ×4, first 2 shown]
	v_lshlrev_b32_e32 v4, 16, v4
	v_and_b32_e32 v3, 0xffff, v3
	v_lshlrev_b32_e32 v6, 16, v6
	v_and_b32_e32 v5, 0xffff, v5
	s_waitcnt vmcnt(2)
	v_fma_mixlo_f16 v7, s8, v7, 0
	v_fma_mixlo_f16 v8, s8, v8, 0
	;; [unrolled: 1-line block ×4, first 2 shown]
	s_waitcnt vmcnt(1)
	v_fma_mixlo_f16 v11, s8, v11, 0
	v_fma_mixlo_f16 v12, s8, v12, 0
	v_or_b32_e32 v3, v4, v3
	v_or3_b32 v4, v6, v5, 0
	v_lshlrev_b32_e32 v5, 16, v8
	v_and_b32_e32 v6, 0xffff, v7
	v_lshlrev_b32_e32 v7, 16, v10
	v_and_b32_e32 v8, 0xffff, v9
	;; [unrolled: 2-line block ×3, first 2 shown]
	v_or_b32_e32 v5, v5, v6
	v_fma_mixlo_f16 v13, s8, v13, 0
	v_or3_b32 v6, v7, v8, 0
	s_waitcnt vmcnt(0)
	v_fma_mixlo_f16 v7, s8, v16, 0
	v_fma_mixlo_f16 v8, s8, v15, 0
	;; [unrolled: 1-line block ×3, first 2 shown]
	v_or_b32_e32 v9, v9, v10
	v_fma_mixlo_f16 v10, s8, v17, 0
	v_fma_mixlo_f16 v11, s8, v18, 0
	v_lshlrev_b32_e32 v7, 16, v7
	v_and_b32_e32 v8, 0xffff, v8
	v_lshlrev_b32_e32 v12, 16, v14
	v_and_b32_e32 v13, 0xffff, v13
	;; [unrolled: 2-line block ×3, first 2 shown]
	v_or_b32_e32 v14, v7, v8
	v_or3_b32 v3, 0, 0, v3
	v_or3_b32 v5, 0, 0, v5
	;; [unrolled: 1-line block ×6, first 2 shown]
	ds_write2_b64 v19, v[3:4], v[5:6] offset1:28
	ds_write2_b64 v19, v[7:8], v[9:10] offset0:56 offset1:84
.LBB21_4:
	s_or_b32 exec_lo, exec_lo, s19
	s_cmp_eq_u64 s[22:23], 0
	s_waitcnt lgkmcnt(0)
	s_barrier
	buffer_gl0_inv
	s_cbranch_scc1 .LBB21_6
; %bb.5:
	s_load_dword s8, s[4:5], 0xd0
	s_mov_b32 s9, 0
	s_waitcnt lgkmcnt(0)
	s_mul_i32 s8, s8, s33
	s_add_i32 s8, s8, s6
	s_lshl_b64 s[8:9], s[8:9], 2
	s_add_u32 s8, s22, s8
	s_addc_u32 s9, s23, s9
	s_load_dword s34, s[8:9], 0x0
.LBB21_6:
	v_mbcnt_lo_u32_b32 v87, -1, 0
	s_lshl_b32 s19, s7, 5
	s_waitcnt lgkmcnt(0)
	s_cmp_lt_i32 s19, s34
	s_cbranch_scc1 .LBB21_9
; %bb.7:
	v_mbcnt_lo_u32_b32 v5, -1, 0
	v_mov_b32_e32 v90, 32
	v_xor_b32_e32 v112, 16, v5
	v_xor_b32_e32 v113, 8, v5
	;; [unrolled: 1-line block ×5, first 2 shown]
	s_cbranch_execz .LBB21_10
; %bb.8:
	v_mov_b32_e32 v93, 0
	v_mov_b32_e32 v117, 0
	;; [unrolled: 1-line block ×16, first 2 shown]
	s_branch .LBB21_38
.LBB21_9:
                                        ; implicit-def: $vgpr5
                                        ; implicit-def: $vgpr90
                                        ; implicit-def: $vgpr112
                                        ; implicit-def: $vgpr113
                                        ; implicit-def: $vgpr114
                                        ; implicit-def: $vgpr115
                                        ; implicit-def: $vgpr116
.LBB21_10:
	s_clause 0x1
	s_load_dwordx4 s[8:11], s[4:5], 0x98
	s_load_dwordx2 s[12:13], s[4:5], 0x8c
	s_sub_i32 s6, 0, s2
	s_abs_i32 s38, s18
	s_mul_i32 s6, s6, s35
	s_ashr_i32 s39, s18, 31
	s_mul_hi_u32 s6, s35, s6
	s_ashr_i32 s3, s3, 31
	s_add_i32 s35, s35, s6
	s_ashr_i32 s6, s1, 1
	s_mul_hi_u32 s1, s38, s35
	s_ashr_i32 s35, s33, 31
	s_load_dwordx2 s[22:23], s[4:5], 0xa8
	s_mul_i32 s40, s1, s2
	v_lshrrev_b32_e32 v3, 1, v0
	v_lshrrev_b32_e32 v4, 2, v0
	v_lshl_add_u32 v5, v1, 5, v0
	v_and_b32_e32 v14, 4, v69
	v_lshrrev_b32_e32 v12, 3, v0
	v_lshl_add_u32 v10, v1, 4, v3
	s_waitcnt lgkmcnt(0)
	s_ashr_i32 s28, s10, 2
	s_ashr_i32 s29, s12, 2
	s_mul_hi_u32 s10, s8, s33
	s_mul_i32 s12, s8, s35
	s_mul_i32 s9, s9, s33
	s_add_i32 s10, s10, s12
	s_mul_i32 s8, s8, s33
	s_add_i32 s10, s10, s9
	s_add_u32 s8, s14, s8
	s_addc_u32 s9, s15, s10
	s_sub_i32 s10, s38, s40
	s_xor_b32 s3, s39, s3
	s_add_i32 s12, s1, 1
	s_sub_i32 s14, s10, s2
	s_cmp_ge_u32 s10, s2
	v_and_b32_e32 v15, 12, v69
	s_cselect_b32 s1, s12, s1
	s_cselect_b32 s10, s14, s10
	s_add_i32 s12, s1, 1
	s_cmp_ge_u32 s10, s2
	s_mul_hi_u32 s2, s22, s33
	s_cselect_b32 s1, s12, s1
	s_mul_i32 s10, s22, s35
	s_xor_b32 s1, s1, s3
	v_lshl_add_u32 v11, v1, 3, v4
	s_sub_i32 s1, s1, s3
	s_mul_i32 s3, s23, s33
	s_mul_i32 s12, s1, s13
	v_cmp_gt_u32_e32 vcc_lo, 32, v5
	s_ashr_i32 s14, s12, 31
	s_add_u32 s35, s8, s12
	s_addc_u32 s38, s9, s14
	s_add_i32 s2, s2, s10
	v_mul_lo_u32 v3, s29, v5
	v_lshlrev_b32_e32 v5, 2, v14
	v_mad_u64_u32 v[71:72], null, v2, s6, v[0:1]
	v_lshl_add_u32 v2, v1, 2, v12
	v_mul_u32_u24_e32 v12, 0xe0, v10
	s_mul_i32 s13, s22, s33
	s_mul_i32 s1, s1, s11
	s_add_i32 s2, s2, s3
	s_add_u32 s3, s16, s13
	v_lshlrev_b32_e32 v13, 2, v15
	s_addc_u32 s9, s17, s2
	s_ashr_i32 s10, s1, 31
	s_add_u32 s39, s3, s1
	v_cmp_gt_u32_e64 s1, 32, v10
	v_mul_u32_u24_e32 v95, 0x380, v1
	v_mul_lo_u32 v6, s29, v10
	v_lshl_or_b32 v7, v10, 7, v5
	v_mul_lo_u32 v8, s29, v11
	v_lshl_add_u32 v100, v1, 8, 0x2c40
	v_cmp_gt_u32_e64 s3, 16, v10
	v_or_b32_e32 v5, v12, v5
	v_mul_lo_u32 v1, s28, v10
	v_mul_lo_u32 v10, s28, v11
	;; [unrolled: 1-line block ×3, first 2 shown]
	v_lshlrev_b32_e32 v4, 7, v0
	v_cmp_gt_u32_e64 s2, 32, v11
	v_lshl_or_b32 v9, v11, 7, v13
	v_cmp_gt_u32_e64 s6, 16, v11
	v_mul_u32_u24_e32 v11, 0xe0, v11
	v_and_b32_e32 v101, 28, v69
	v_add_nc_u32_e32 v94, 0x1c00, v4
	v_add_nc_u32_e32 v96, 0x1c60, v4
	v_ashrrev_i32_e32 v4, 31, v3
	v_add_nc_u32_e32 v97, 0x1c40, v7
	v_ashrrev_i32_e32 v7, 31, v6
	;; [unrolled: 2-line block ×3, first 2 shown]
	v_cmp_gt_u32_e64 s8, 16, v2
	v_mul_u32_u24_e32 v16, 0xe0, v2
	v_ashrrev_i32_e32 v2, 31, v1
	v_add3_u32 v103, v11, v13, 0x1c80
	v_ashrrev_i32_e32 v11, 31, v10
	v_ashrrev_i32_e32 v13, 31, v12
	v_lshlrev_b32_e32 v17, 2, v101
	v_lshlrev_b64 v[72:73], 2, v[3:4]
	v_lshlrev_b64 v[74:75], 2, v[6:7]
	;; [unrolled: 1-line block ×6, first 2 shown]
	v_mov_b32_e32 v85, 0
	v_add_nc_u32_e32 v102, 0x1cc0, v5
	v_add3_u32 v104, v16, v17, 0x1c00
	v_mov_b32_e32 v5, 0xfeffffff
	v_mov_b32_e32 v90, 32
	v_lshlrev_b32_e32 v105, 2, v14
	v_lshlrev_b32_e32 v106, 2, v15
	v_mov_b32_e32 v107, 0x10001
	v_mov_b32_e32 v86, 0
	;; [unrolled: 1-line block ×15, first 2 shown]
	s_addc_u32 s40, s9, s10
	s_add_u32 s22, s4, 0xd0
	s_addc_u32 s23, s5, 0
.LBB21_11:                              ; =>This Inner Loop Header: Depth=1
	s_mul_hi_i32 s11, s19, s29
	s_mul_i32 s10, s19, s29
	s_lshl_b64 s[10:11], s[10:11], 2
	s_add_u32 s10, s35, s10
	s_addc_u32 s11, s38, s11
	s_and_saveexec_b32 s12, vcc_lo
	s_cbranch_execnz .LBB21_29
; %bb.12:                               ;   in Loop: Header=BB21_11 Depth=1
	s_or_b32 exec_lo, exec_lo, s12
	s_and_saveexec_b32 s12, s1
	s_cbranch_execnz .LBB21_30
.LBB21_13:                              ;   in Loop: Header=BB21_11 Depth=1
	s_or_b32 exec_lo, exec_lo, s12
	s_and_saveexec_b32 s12, s2
	s_cbranch_execz .LBB21_15
.LBB21_14:                              ;   in Loop: Header=BB21_11 Depth=1
	v_add_co_u32 v1, s9, s10, v76
	v_add_co_ci_u32_e64 v2, null, s11, v77, s9
	v_add_co_u32 v1, s9, v1, v106
	v_add_co_ci_u32_e64 v2, null, 0, v2, s9
	global_load_dwordx4 v[1:4], v[1:2], off
	s_waitcnt vmcnt(0)
	ds_write_b128 v99, v[1:4]
.LBB21_15:                              ;   in Loop: Header=BB21_11 Depth=1
	s_or_b32 exec_lo, exec_lo, s12
	s_waitcnt lgkmcnt(0)
	s_barrier
	buffer_gl0_inv
	ds_read_b128 v[9:12], v94
	ds_read_b128 v[13:16], v95
	ds_read_b128 v[17:20], v95 offset:224
	ds_read_b128 v[21:24], v95 offset:448
	;; [unrolled: 1-line block ×3, first 2 shown]
	v_mov_b32_e32 v1, 0
	v_mov_b32_e32 v2, 0
	;; [unrolled: 1-line block ×4, first 2 shown]
	s_waitcnt lgkmcnt(3)
	;;#ASMSTART
	v_dot2_f32_f16 v1, v9, v13, v1
	;;#ASMEND
	;;#ASMSTART
	v_dot2_f32_f16 v1, v10, v14, v1
	;;#ASMEND
	;;#ASMSTART
	v_dot2_f32_f16 v1, v11, v15, v1
	;;#ASMEND
	;;#ASMSTART
	v_dot2_f32_f16 v1, v12, v16, v1
	;;#ASMEND
	s_waitcnt lgkmcnt(2)
	;;#ASMSTART
	v_dot2_f32_f16 v2, v9, v17, v2
	;;#ASMEND
	;;#ASMSTART
	v_dot2_f32_f16 v2, v10, v18, v2
	;;#ASMEND
	;;#ASMSTART
	v_dot2_f32_f16 v2, v11, v19, v2
	;;#ASMEND
	;;#ASMSTART
	v_dot2_f32_f16 v2, v12, v20, v2
	;;#ASMEND
	s_waitcnt lgkmcnt(1)
	;;#ASMSTART
	v_dot2_f32_f16 v3, v9, v21, v3
	;;#ASMEND
	;;#ASMSTART
	v_dot2_f32_f16 v3, v10, v22, v3
	;;#ASMEND
	;;#ASMSTART
	v_dot2_f32_f16 v3, v11, v23, v3
	;;#ASMEND
	;;#ASMSTART
	v_dot2_f32_f16 v3, v12, v24, v3
	;;#ASMEND
	s_waitcnt lgkmcnt(0)
	;;#ASMSTART
	v_dot2_f32_f16 v4, v9, v25, v4
	;;#ASMEND
	;;#ASMSTART
	v_dot2_f32_f16 v4, v10, v26, v4
	;;#ASMEND
	;;#ASMSTART
	v_dot2_f32_f16 v4, v11, v27, v4
	;;#ASMEND
	;;#ASMSTART
	v_dot2_f32_f16 v4, v12, v28, v4
	;;#ASMEND
	ds_read_b128 v[9:12], v94 offset:16
	ds_read_b128 v[13:16], v95 offset:16
	ds_read_b128 v[17:20], v95 offset:240
	ds_read_b128 v[21:24], v95 offset:464
	ds_read_b128 v[25:28], v95 offset:688
	s_waitcnt lgkmcnt(3)
	;;#ASMSTART
	v_dot2_f32_f16 v1, v9, v13, v1
	;;#ASMEND
	;;#ASMSTART
	v_dot2_f32_f16 v1, v10, v14, v1
	;;#ASMEND
	;;#ASMSTART
	v_dot2_f32_f16 v1, v11, v15, v1
	;;#ASMEND
	;;#ASMSTART
	v_dot2_f32_f16 v1, v12, v16, v1
	;;#ASMEND
	s_waitcnt lgkmcnt(2)
	;;#ASMSTART
	v_dot2_f32_f16 v2, v9, v17, v2
	;;#ASMEND
	;;#ASMSTART
	v_dot2_f32_f16 v2, v10, v18, v2
	;;#ASMEND
	;;#ASMSTART
	v_dot2_f32_f16 v2, v11, v19, v2
	;;#ASMEND
	;;#ASMSTART
	v_dot2_f32_f16 v2, v12, v20, v2
	;;#ASMEND
	s_waitcnt lgkmcnt(1)
	;;#ASMSTART
	v_dot2_f32_f16 v3, v9, v21, v3
	;;#ASMEND
	;;#ASMSTART
	v_dot2_f32_f16 v3, v10, v22, v3
	;;#ASMEND
	;;#ASMSTART
	v_dot2_f32_f16 v3, v11, v23, v3
	;;#ASMEND
	;;#ASMSTART
	v_dot2_f32_f16 v3, v12, v24, v3
	;;#ASMEND
	s_waitcnt lgkmcnt(0)
	;;#ASMSTART
	v_dot2_f32_f16 v4, v9, v25, v4
	;;#ASMEND
	;;#ASMSTART
	v_dot2_f32_f16 v4, v10, v26, v4
	;;#ASMEND
	;;#ASMSTART
	v_dot2_f32_f16 v4, v11, v27, v4
	;;#ASMEND
	;;#ASMSTART
	v_dot2_f32_f16 v4, v12, v28, v4
	;;#ASMEND
	ds_read_b128 v[9:12], v94 offset:32
	ds_read_b128 v[13:16], v95 offset:32
	ds_read_b128 v[17:20], v95 offset:256
	ds_read_b128 v[21:24], v95 offset:480
	ds_read_b128 v[25:28], v95 offset:704
	;; [unrolled: 57-line block ×6, first 2 shown]
	s_waitcnt lgkmcnt(3)
	;;#ASMSTART
	v_dot2_f32_f16 v1, v9, v13, v1
	;;#ASMEND
	;;#ASMSTART
	v_dot2_f32_f16 v1, v10, v14, v1
	;;#ASMEND
	;;#ASMSTART
	v_dot2_f32_f16 v1, v11, v15, v1
	;;#ASMEND
	;;#ASMSTART
	v_dot2_f32_f16 v1, v12, v16, v1
	;;#ASMEND
	s_waitcnt lgkmcnt(2)
	;;#ASMSTART
	v_dot2_f32_f16 v2, v9, v17, v2
	;;#ASMEND
	;;#ASMSTART
	v_dot2_f32_f16 v2, v10, v18, v2
	;;#ASMEND
	;;#ASMSTART
	v_dot2_f32_f16 v2, v11, v19, v2
	;;#ASMEND
	;;#ASMSTART
	v_dot2_f32_f16 v2, v12, v20, v2
	;;#ASMEND
	;; [unrolled: 13-line block ×4, first 2 shown]
	s_barrier
	buffer_gl0_inv
	s_and_saveexec_b32 s12, vcc_lo
	s_cbranch_execnz .LBB21_31
; %bb.16:                               ;   in Loop: Header=BB21_11 Depth=1
	s_or_b32 exec_lo, exec_lo, s12
	s_and_saveexec_b32 s12, s1
	s_cbranch_execnz .LBB21_32
.LBB21_17:                              ;   in Loop: Header=BB21_11 Depth=1
	s_or_b32 exec_lo, exec_lo, s12
	s_and_saveexec_b32 s12, s2
	s_cbranch_execz .LBB21_19
.LBB21_18:                              ;   in Loop: Header=BB21_11 Depth=1
	v_add_co_u32 v9, s9, s10, v76
	v_add_co_ci_u32_e64 v10, null, s11, v77, s9
	v_add_co_u32 v9, s9, v9, v106
	v_add_co_ci_u32_e64 v10, null, 0, v10, s9
	global_load_dwordx4 v[9:12], v[9:10], off offset:112
	s_waitcnt vmcnt(0)
	ds_write_b128 v99, v[9:12]
.LBB21_19:                              ;   in Loop: Header=BB21_11 Depth=1
	s_or_b32 exec_lo, exec_lo, s12
	s_waitcnt lgkmcnt(0)
	s_barrier
	buffer_gl0_inv
	ds_read_b128 v[9:12], v94
	ds_read_b128 v[13:16], v95 offset:112
	ds_read_b128 v[17:20], v95 offset:336
	;; [unrolled: 1-line block ×4, first 2 shown]
	v_xor_b32_e32 v112, 16, v87
	v_xor_b32_e32 v113, 8, v87
	;; [unrolled: 1-line block ×5, first 2 shown]
	s_mul_hi_i32 s43, s19, s28
	s_mul_i32 s42, s19, s28
	s_waitcnt lgkmcnt(3)
	;;#ASMSTART
	v_dot2_f32_f16 v1, v9, v13, v1
	;;#ASMEND
	;;#ASMSTART
	v_dot2_f32_f16 v1, v10, v14, v1
	;;#ASMEND
	;;#ASMSTART
	v_dot2_f32_f16 v1, v11, v15, v1
	;;#ASMEND
	;;#ASMSTART
	v_dot2_f32_f16 v1, v12, v16, v1
	;;#ASMEND
	s_waitcnt lgkmcnt(2)
	;;#ASMSTART
	v_dot2_f32_f16 v2, v9, v17, v2
	;;#ASMEND
	;;#ASMSTART
	v_dot2_f32_f16 v2, v10, v18, v2
	;;#ASMEND
	;;#ASMSTART
	v_dot2_f32_f16 v2, v11, v19, v2
	;;#ASMEND
	;;#ASMSTART
	v_dot2_f32_f16 v2, v12, v20, v2
	;;#ASMEND
	;; [unrolled: 13-line block ×4, first 2 shown]
	ds_read_b128 v[9:12], v94 offset:16
	ds_read_b128 v[13:16], v95 offset:128
	;; [unrolled: 1-line block ×5, first 2 shown]
	s_lshl_b64 s[42:43], s[42:43], 2
	s_waitcnt lgkmcnt(3)
	;;#ASMSTART
	v_dot2_f32_f16 v1, v9, v13, v1
	;;#ASMEND
	;;#ASMSTART
	v_dot2_f32_f16 v1, v10, v14, v1
	;;#ASMEND
	;;#ASMSTART
	v_dot2_f32_f16 v1, v11, v15, v1
	;;#ASMEND
	;;#ASMSTART
	v_dot2_f32_f16 v1, v12, v16, v1
	;;#ASMEND
	s_waitcnt lgkmcnt(2)
	;;#ASMSTART
	v_dot2_f32_f16 v2, v9, v17, v2
	;;#ASMEND
	;;#ASMSTART
	v_dot2_f32_f16 v2, v10, v18, v2
	;;#ASMEND
	;;#ASMSTART
	v_dot2_f32_f16 v2, v11, v19, v2
	;;#ASMEND
	;;#ASMSTART
	v_dot2_f32_f16 v2, v12, v20, v2
	;;#ASMEND
	;; [unrolled: 13-line block ×4, first 2 shown]
	ds_read_b128 v[9:12], v94 offset:32
	ds_read_b128 v[13:16], v95 offset:144
	;; [unrolled: 1-line block ×5, first 2 shown]
	s_add_u32 s41, s39, s42
	s_addc_u32 s42, s40, s43
	s_waitcnt lgkmcnt(3)
	;;#ASMSTART
	v_dot2_f32_f16 v1, v9, v13, v1
	;;#ASMEND
	;;#ASMSTART
	v_dot2_f32_f16 v1, v10, v14, v1
	;;#ASMEND
	;;#ASMSTART
	v_dot2_f32_f16 v1, v11, v15, v1
	;;#ASMEND
	;;#ASMSTART
	v_dot2_f32_f16 v1, v12, v16, v1
	;;#ASMEND
	s_waitcnt lgkmcnt(2)
	;;#ASMSTART
	v_dot2_f32_f16 v2, v9, v17, v2
	;;#ASMEND
	;;#ASMSTART
	v_dot2_f32_f16 v2, v10, v18, v2
	;;#ASMEND
	;;#ASMSTART
	v_dot2_f32_f16 v2, v11, v19, v2
	;;#ASMEND
	;;#ASMSTART
	v_dot2_f32_f16 v2, v12, v20, v2
	;;#ASMEND
	s_waitcnt lgkmcnt(1)
	;;#ASMSTART
	v_dot2_f32_f16 v3, v9, v21, v3
	;;#ASMEND
	;;#ASMSTART
	v_dot2_f32_f16 v3, v10, v22, v3
	;;#ASMEND
	;;#ASMSTART
	v_dot2_f32_f16 v3, v11, v23, v3
	;;#ASMEND
	;;#ASMSTART
	v_dot2_f32_f16 v3, v12, v24, v3
	;;#ASMEND
	s_waitcnt lgkmcnt(0)
	;;#ASMSTART
	v_dot2_f32_f16 v4, v9, v25, v4
	;;#ASMEND
	;;#ASMSTART
	v_dot2_f32_f16 v4, v10, v26, v4
	;;#ASMEND
	;;#ASMSTART
	v_dot2_f32_f16 v4, v11, v27, v4
	;;#ASMEND
	;;#ASMSTART
	v_dot2_f32_f16 v4, v12, v28, v4
	;;#ASMEND
	ds_read_b128 v[9:12], v94 offset:48
	ds_read_b128 v[13:16], v95 offset:160
	ds_read_b128 v[17:20], v95 offset:384
	ds_read_b128 v[21:24], v95 offset:608
	ds_read_b128 v[25:28], v95 offset:832
	s_waitcnt lgkmcnt(3)
	;;#ASMSTART
	v_dot2_f32_f16 v1, v9, v13, v1
	;;#ASMEND
	;;#ASMSTART
	v_dot2_f32_f16 v1, v10, v14, v1
	;;#ASMEND
	;;#ASMSTART
	v_dot2_f32_f16 v1, v11, v15, v1
	;;#ASMEND
	;;#ASMSTART
	v_dot2_f32_f16 v1, v12, v16, v1
	;;#ASMEND
	s_waitcnt lgkmcnt(2)
	;;#ASMSTART
	v_dot2_f32_f16 v2, v9, v17, v2
	;;#ASMEND
	;;#ASMSTART
	v_dot2_f32_f16 v2, v10, v18, v2
	;;#ASMEND
	;;#ASMSTART
	v_dot2_f32_f16 v2, v11, v19, v2
	;;#ASMEND
	;;#ASMSTART
	v_dot2_f32_f16 v2, v12, v20, v2
	;;#ASMEND
	s_waitcnt lgkmcnt(1)
	;;#ASMSTART
	v_dot2_f32_f16 v3, v9, v21, v3
	;;#ASMEND
	;;#ASMSTART
	v_dot2_f32_f16 v3, v10, v22, v3
	;;#ASMEND
	;;#ASMSTART
	v_dot2_f32_f16 v3, v11, v23, v3
	;;#ASMEND
	;;#ASMSTART
	v_dot2_f32_f16 v3, v12, v24, v3
	;;#ASMEND
	s_waitcnt lgkmcnt(0)
	;;#ASMSTART
	v_dot2_f32_f16 v4, v9, v25, v4
	;;#ASMEND
	;;#ASMSTART
	v_dot2_f32_f16 v4, v10, v26, v4
	;;#ASMEND
	;;#ASMSTART
	v_dot2_f32_f16 v4, v11, v27, v4
	;;#ASMEND
	;;#ASMSTART
	v_dot2_f32_f16 v4, v12, v28, v4
	;;#ASMEND
	ds_read_b128 v[9:12], v94 offset:64
	ds_read_b128 v[13:16], v95 offset:176
	ds_read_b128 v[17:20], v95 offset:400
	ds_read_b128 v[21:24], v95 offset:624
	ds_read_b128 v[25:28], v95 offset:848
	;; [unrolled: 57-line block ×3, first 2 shown]
	s_waitcnt lgkmcnt(3)
	;;#ASMSTART
	v_dot2_f32_f16 v1, v9, v13, v1
	;;#ASMEND
	;;#ASMSTART
	v_dot2_f32_f16 v1, v10, v14, v1
	;;#ASMEND
	;;#ASMSTART
	v_dot2_f32_f16 v1, v11, v15, v1
	;;#ASMEND
	;;#ASMSTART
	v_dot2_f32_f16 v1, v12, v16, v1
	;;#ASMEND
	s_waitcnt lgkmcnt(2)
	;;#ASMSTART
	v_dot2_f32_f16 v2, v9, v17, v2
	;;#ASMEND
	;;#ASMSTART
	v_dot2_f32_f16 v2, v10, v18, v2
	;;#ASMEND
	;;#ASMSTART
	v_dot2_f32_f16 v2, v11, v19, v2
	;;#ASMEND
	;;#ASMSTART
	v_dot2_f32_f16 v2, v12, v20, v2
	;;#ASMEND
	;; [unrolled: 13-line block ×4, first 2 shown]
	ds_read_b128 v[9:12], v94 offset:96
	ds_read_b128 v[13:16], v95 offset:208
	v_add_nc_u32_e32 v25, s19, v71
	ds_read_b128 v[17:20], v95 offset:432
	ds_read_b128 v[21:24], v95 offset:656
	v_ashrrev_i32_e32 v26, 31, v25
	v_lshlrev_b64 v[29:30], 1, v[25:26]
	ds_read_b128 v[25:28], v95 offset:880
	s_waitcnt lgkmcnt(3)
	;;#ASMSTART
	v_dot2_f32_f16 v1, v9, v13, v1
	;;#ASMEND
	;;#ASMSTART
	v_dot2_f32_f16 v1, v10, v14, v1
	;;#ASMEND
	;; [unrolled: 3-line block ×4, first 2 shown]
	s_waitcnt lgkmcnt(2)
	;;#ASMSTART
	v_dot2_f32_f16 v2, v9, v17, v2
	;;#ASMEND
	;;#ASMSTART
	v_dot2_f32_f16 v2, v10, v18, v2
	;;#ASMEND
	v_add_co_u32 v29, s9, s36, v29
	;;#ASMSTART
	v_dot2_f32_f16 v2, v11, v19, v2
	;;#ASMEND
	;;#ASMSTART
	v_dot2_f32_f16 v2, v12, v20, v2
	;;#ASMEND
	s_waitcnt lgkmcnt(1)
	;;#ASMSTART
	v_dot2_f32_f16 v3, v9, v21, v3
	;;#ASMEND
	v_add_co_ci_u32_e64 v30, null, s37, v30, s9
	;;#ASMSTART
	v_dot2_f32_f16 v3, v10, v22, v3
	;;#ASMEND
	;;#ASMSTART
	v_dot2_f32_f16 v3, v11, v23, v3
	;;#ASMEND
	;;#ASMSTART
	v_dot2_f32_f16 v3, v12, v24, v3
	;;#ASMEND
	s_waitcnt lgkmcnt(0)
	;;#ASMSTART
	v_dot2_f32_f16 v4, v9, v25, v4
	;;#ASMEND
	;;#ASMSTART
	v_dot2_f32_f16 v4, v10, v26, v4
	;;#ASMEND
	;;#ASMSTART
	v_dot2_f32_f16 v4, v11, v27, v4
	;;#ASMEND
	;;#ASMSTART
	v_dot2_f32_f16 v4, v12, v28, v4
	;;#ASMEND
	global_load_ushort v9, v[29:30], off
	v_cmp_gt_i32_e64 s9, 32, v112
	v_max_f32_e32 v10, v5, v5
	v_max_f32_e32 v11, v7, v7
	;; [unrolled: 1-line block ×4, first 2 shown]
	s_waitcnt vmcnt(0)
	s_barrier
	buffer_gl0_inv
	v_cvt_f32_f16_e32 v9, v9
	v_add_f32_e32 v14, v1, v9
	v_cndmask_b32_e64 v1, v87, v112, s9
	v_add_f32_e32 v15, v2, v9
	v_add_f32_e32 v16, v3, v9
	;; [unrolled: 1-line block ×4, first 2 shown]
	v_lshlrev_b32_e32 v1, 2, v1
	v_add_f32_e32 v3, 0x40051340, v15
	v_add_f32_e32 v4, 0x40051340, v16
	;; [unrolled: 1-line block ×3, first 2 shown]
	v_max_f32_e32 v2, v10, v2
	v_cmp_gt_i32_e64 s9, 32, v113
	v_max_f32_e32 v3, v11, v3
	v_max_f32_e32 v4, v12, v4
	v_max_f32_e32 v10, v13, v17
	ds_bpermute_b32 v11, v1, v2
	v_cndmask_b32_e64 v17, v87, v113, s9
	ds_bpermute_b32 v12, v1, v3
	ds_bpermute_b32 v13, v1, v4
	;; [unrolled: 1-line block ×3, first 2 shown]
	v_cmp_gt_i32_e64 s9, 32, v114
	v_lshlrev_b32_e32 v17, 2, v17
	s_waitcnt lgkmcnt(3)
	v_max_f32_e32 v11, v11, v11
	s_waitcnt lgkmcnt(2)
	v_max_f32_e32 v12, v12, v12
	s_waitcnt lgkmcnt(1)
	v_max_f32_e32 v13, v13, v13
	s_waitcnt lgkmcnt(0)
	v_max_f32_e32 v1, v1, v1
	v_max_f32_e32 v2, v2, v11
	v_max_f32_e32 v3, v3, v12
	v_max_f32_e32 v4, v4, v13
	v_max_f32_e32 v1, v10, v1
	ds_bpermute_b32 v10, v17, v2
	ds_bpermute_b32 v11, v17, v3
	ds_bpermute_b32 v12, v17, v4
	ds_bpermute_b32 v13, v17, v1
	v_cndmask_b32_e64 v17, v87, v114, s9
	v_cmp_gt_i32_e64 s9, 32, v115
	v_lshlrev_b32_e32 v17, 2, v17
	s_waitcnt lgkmcnt(3)
	v_max_f32_e32 v10, v10, v10
	s_waitcnt lgkmcnt(2)
	v_max_f32_e32 v11, v11, v11
	s_waitcnt lgkmcnt(1)
	v_max_f32_e32 v12, v12, v12
	s_waitcnt lgkmcnt(0)
	v_max_f32_e32 v13, v13, v13
	v_max_f32_e32 v2, v2, v10
	v_max_f32_e32 v3, v3, v11
	v_max_f32_e32 v4, v4, v12
	v_max_f32_e32 v1, v1, v13
	ds_bpermute_b32 v10, v17, v2
	ds_bpermute_b32 v11, v17, v3
	ds_bpermute_b32 v12, v17, v4
	ds_bpermute_b32 v13, v17, v1
	v_cndmask_b32_e64 v17, v87, v115, s9
	;; [unrolled: 19-line block ×3, first 2 shown]
	v_lshlrev_b32_e32 v17, 2, v17
	s_waitcnt lgkmcnt(3)
	v_max_f32_e32 v10, v10, v10
	s_waitcnt lgkmcnt(2)
	v_max_f32_e32 v11, v11, v11
	;; [unrolled: 2-line block ×4, first 2 shown]
	v_max_f32_e32 v2, v2, v10
	v_max_f32_e32 v3, v3, v11
	v_max_f32_e32 v4, v4, v12
	v_max_f32_e32 v10, v1, v13
	ds_bpermute_b32 v1, v17, v2
	ds_bpermute_b32 v11, v17, v3
	;; [unrolled: 1-line block ×4, first 2 shown]
	v_add_nc_u32_e32 v17, v100, v84
	s_waitcnt lgkmcnt(3)
	v_max_f32_e32 v1, v1, v1
	s_waitcnt lgkmcnt(2)
	v_max_f32_e32 v11, v11, v11
	;; [unrolled: 2-line block ×4, first 2 shown]
	v_max_f32_e32 v1, v2, v1
	v_max_f32_e32 v2, v3, v11
	;; [unrolled: 1-line block ×4, first 2 shown]
	v_sub_f32_e32 v127, v5, v1
	v_sub_f32_e32 v5, v14, v1
	;; [unrolled: 1-line block ×6, first 2 shown]
	v_mul_f32_e32 v10, 0x3fb8aa3b, v5
	v_sub_f32_e32 v126, v6, v4
	v_mul_f32_e32 v6, 0x3fb8aa3b, v7
	v_sub_f32_e32 v9, v9, v4
	v_mul_f32_e32 v11, 0x3fb8aa3b, v8
	v_fma_f32 v13, 0x3fb8aa3b, v5, -v10
	v_rndne_f32_e32 v14, v10
	v_fma_f32 v15, 0x3fb8aa3b, v7, -v6
	v_rndne_f32_e32 v16, v6
	v_mul_f32_e32 v12, 0x3fb8aa3b, v9
	v_fmac_f32_e32 v13, 0x32a5705f, v5
	v_sub_f32_e32 v10, v10, v14
	v_fma_f32 v18, 0x3fb8aa3b, v8, -v11
	v_rndne_f32_e32 v19, v11
	v_fmac_f32_e32 v15, 0x32a5705f, v7
	v_sub_f32_e32 v6, v6, v16
	v_add_f32_e32 v10, v10, v13
	v_fma_f32 v20, 0x3fb8aa3b, v9, -v12
	v_rndne_f32_e32 v21, v12
	v_fmac_f32_e32 v18, 0x32a5705f, v8
	v_sub_f32_e32 v11, v11, v19
	v_add_f32_e32 v6, v6, v15
	v_exp_f32_e32 v10, v10
	v_fmac_f32_e32 v20, 0x32a5705f, v9
	v_sub_f32_e32 v12, v12, v21
	v_add_f32_e32 v11, v11, v18
	v_exp_f32_e32 v6, v6
	v_cvt_i32_f32_e32 v13, v14
	v_cvt_i32_f32_e32 v14, v16
	v_add_f32_e32 v12, v12, v20
	v_exp_f32_e32 v11, v11
	v_cmp_ngt_f32_e64 s13, 0xc2ce8ed0, v5
	v_ldexp_f32 v10, v10, v13
	v_cvt_i32_f32_e32 v15, v19
	v_exp_f32_e32 v12, v12
	v_cvt_i32_f32_e32 v16, v21
	v_ldexp_f32 v6, v6, v14
	v_cndmask_b32_e64 v10, 0, v10, s13
	v_cmp_ngt_f32_e64 s13, 0xc2ce8ed0, v7
	v_cmp_ngt_f32_e64 s9, 0xc2ce8ed0, v127
	v_ldexp_f32 v11, v11, v15
	v_cmp_nlt_f32_e64 s10, 0x42b17218, v127
	v_cmp_ngt_f32_e64 s11, 0xc2ce8ed0, v128
	v_cndmask_b32_e64 v6, 0, v6, s13
	v_cmp_ngt_f32_e64 s13, 0xc2ce8ed0, v8
	v_ldexp_f32 v12, v12, v16
	v_cmp_nlt_f32_e64 s12, 0x42b17218, v128
	v_cmp_nlt_f32_e64 s14, 0x42b17218, v125
	v_cmp_ngt_f32_e64 s16, 0xc2ce8ed0, v126
	v_cndmask_b32_e64 v11, 0, v11, s13
	v_cmp_ngt_f32_e64 s13, 0xc2ce8ed0, v9
	v_cmp_nlt_f32_e64 s15, 0x42b17218, v126
	v_cndmask_b32_e64 v12, 0, v12, s13
	v_cmp_nlt_f32_e64 s13, 0x42b17218, v5
	v_cndmask_b32_e64 v119, 0x7f800000, v10, s13
	v_cmp_nlt_f32_e64 s13, 0x42b17218, v8
	v_cvt_f16_f32_e32 v5, v119
	v_cndmask_b32_e64 v118, 0x7f800000, v11, s13
	v_cmp_nlt_f32_e64 s13, 0x42b17218, v9
	v_cndmask_b32_e64 v117, 0x7f800000, v12, s13
	v_cmp_nlt_f32_e64 s13, 0x42b17218, v7
	v_cvt_f16_f32_e32 v7, v117
	v_cndmask_b32_e64 v120, 0x7f800000, v6, s13
	v_cvt_f16_f32_e32 v6, v118
	v_cmp_ngt_f32_e64 s13, 0xc2ce8ed0, v125
	v_cvt_f16_f32_e32 v8, v120
	v_pack_b32_f16 v6, v6, v7
	v_pack_b32_f16 v5, v5, v8
	ds_write_b64 v17, v[5:6]
	s_and_saveexec_b32 s43, s3
	s_cbranch_execnz .LBB21_33
; %bb.20:                               ;   in Loop: Header=BB21_11 Depth=1
	s_or_b32 exec_lo, exec_lo, s43
	s_and_saveexec_b32 s43, s6
	s_cbranch_execnz .LBB21_34
.LBB21_21:                              ;   in Loop: Header=BB21_11 Depth=1
	s_or_b32 exec_lo, exec_lo, s43
	v_lshlrev_b32_e32 v129, 2, v101
	s_and_saveexec_b32 s43, s8
	s_cbranch_execz .LBB21_23
.LBB21_22:                              ;   in Loop: Header=BB21_11 Depth=1
	v_add_co_u32 v5, s17, s41, v82
	v_add_co_ci_u32_e64 v6, null, s42, v83, s17
	v_add_co_u32 v5, s17, v5, v129
	v_add_co_ci_u32_e64 v6, null, 0, v6, s17
	global_load_dwordx4 v[5:8], v[5:6], off
	s_waitcnt vmcnt(0)
	ds_write_b128 v104, v[5:8]
.LBB21_23:                              ;   in Loop: Header=BB21_11 Depth=1
	s_or_b32 exec_lo, exec_lo, s43
	v_add_nc_u32_e32 v124, 0x1800, v84
	v_add_nc_u32_e32 v122, 0x2000, v84
	v_add_nc_u32_e32 v123, 0x1c00, v84
	v_add_nc_u32_e32 v121, 0x2800, v84
	s_waitcnt lgkmcnt(0)
	s_barrier
	buffer_gl0_inv
	ds_read2_b64 v[29:32], v124 offset0:128 offset1:156
	ds_read_b128 v[61:64], v100
	ds_read_b128 v[49:52], v100 offset:16
	ds_read_b128 v[57:60], v100 offset:32
	;; [unrolled: 1-line block ×3, first 2 shown]
	ds_read2_b64 v[33:36], v124 offset0:184 offset1:212
	ds_read2_b64 v[25:28], v123 offset0:112 offset1:140
	ds_read2_b64 v[21:24], v122 offset0:40 offset1:68
	ds_read2_b64 v[17:20], v122 offset0:96 offset1:124
	ds_read2_b64 v[13:16], v122 offset0:152 offset1:180
	ds_read_b128 v[65:68], v100 offset:64
	ds_read_b128 v[53:56], v100 offset:80
	ds_read2_b64 v[9:12], v122 offset0:208 offset1:236
	ds_read2_b64 v[5:8], v121 offset0:8 offset1:36
	ds_read_b128 v[45:48], v100 offset:96
	ds_read_b128 v[37:40], v100 offset:112
	s_or_b32 s17, s19, 16
	s_waitcnt lgkmcnt(0)
	s_mul_hi_i32 s43, s17, s28
	s_mul_i32 s42, s17, s28
	s_barrier
	s_lshl_b64 s[42:43], s[42:43], 2
	buffer_gl0_inv
	s_add_u32 s41, s39, s42
	s_addc_u32 s42, s40, s43
	s_and_saveexec_b32 s43, s3
	s_cbranch_execnz .LBB21_35
; %bb.24:                               ;   in Loop: Header=BB21_11 Depth=1
	s_or_b32 exec_lo, exec_lo, s43
	s_and_saveexec_b32 s43, s6
	s_cbranch_execnz .LBB21_36
.LBB21_25:                              ;   in Loop: Header=BB21_11 Depth=1
	s_or_b32 exec_lo, exec_lo, s43
	s_and_saveexec_b32 s43, s8
	s_cbranch_execz .LBB21_27
.LBB21_26:                              ;   in Loop: Header=BB21_11 Depth=1
	v_add_co_u32 v130, s17, s41, v82
	v_add_co_ci_u32_e64 v131, null, s42, v83, s17
	v_add_co_u32 v129, s17, v130, v129
	v_add_co_ci_u32_e64 v130, null, 0, v131, s17
	global_load_dwordx4 v[129:132], v[129:130], off
	s_waitcnt vmcnt(0)
	ds_write_b128 v104, v[129:132]
.LBB21_27:                              ;   in Loop: Header=BB21_11 Depth=1
	s_or_b32 exec_lo, exec_lo, s43
	v_mul_f32_e32 v129, 0x3fb8aa3b, v127
	v_mul_f32_e32 v130, 0x3fb8aa3b, v128
	;; [unrolled: 1-line block ×4, first 2 shown]
	v_mul_u32_u24_sdwa v139, v43, v107 dst_sel:DWORD dst_unused:UNUSED_PAD src0_sel:WORD_0 src1_sel:DWORD
	v_fma_f32 v132, 0x3fb8aa3b, v127, -v129
	v_rndne_f32_e32 v133, v129
	v_fma_f32 v134, 0x3fb8aa3b, v128, -v130
	v_rndne_f32_e32 v136, v130
	v_fma_f32 v137, 0x3fb8aa3b, v126, -v135
	v_fmac_f32_e32 v132, 0x32a5705f, v127
	v_sub_f32_e32 v127, v129, v133
	v_fmac_f32_e32 v134, 0x32a5705f, v128
	v_fma_f32 v128, 0x3fb8aa3b, v125, -v131
	v_rndne_f32_e32 v129, v131
	v_rndne_f32_e32 v138, v135
	v_sub_f32_e32 v130, v130, v136
	v_fmac_f32_e32 v137, 0x32a5705f, v126
	v_fmac_f32_e32 v128, 0x32a5705f, v125
	v_sub_f32_e32 v125, v131, v129
	v_sub_f32_e32 v126, v135, v138
	v_add_f32_e32 v127, v127, v132
	v_add_f32_e32 v130, v130, v134
	v_cvt_i32_f32_e32 v131, v136
	v_add_f32_e32 v125, v125, v128
	v_add_f32_e32 v126, v126, v137
	v_exp_f32_e32 v127, v127
	v_exp_f32_e32 v128, v130
	v_cvt_i32_f32_e32 v130, v133
	v_exp_f32_e32 v125, v125
	v_exp_f32_e32 v126, v126
	v_cvt_i32_f32_e32 v129, v129
	v_cvt_i32_f32_e32 v132, v138
	v_mul_u32_u24_sdwa v133, v57, v107 dst_sel:DWORD dst_unused:UNUSED_PAD src0_sel:WORD_0 src1_sel:DWORD
	v_mul_u32_u24_sdwa v57, v57, v107 dst_sel:DWORD dst_unused:UNUSED_PAD src0_sel:WORD_1 src1_sel:DWORD
	v_mul_u32_u24_sdwa v134, v58, v107 dst_sel:DWORD dst_unused:UNUSED_PAD src0_sel:WORD_0 src1_sel:DWORD
	v_ldexp_f32 v127, v127, v130
	v_ldexp_f32 v128, v128, v131
	v_mul_u32_u24_sdwa v130, v50, v107 dst_sel:DWORD dst_unused:UNUSED_PAD src0_sel:WORD_0 src1_sel:DWORD
	v_ldexp_f32 v125, v125, v129
	v_ldexp_f32 v126, v126, v132
	v_cndmask_b32_e64 v127, 0, v127, s9
	v_cndmask_b32_e64 v128, 0, v128, s11
	v_mul_u32_u24_sdwa v129, v49, v107 dst_sel:DWORD dst_unused:UNUSED_PAD src0_sel:WORD_0 src1_sel:DWORD
	v_cndmask_b32_e64 v125, 0, v125, s13
	v_cndmask_b32_e64 v126, 0, v126, s16
	;; [unrolled: 1-line block ×4, first 2 shown]
	v_mul_u32_u24_sdwa v49, v49, v107 dst_sel:DWORD dst_unused:UNUSED_PAD src0_sel:WORD_1 src1_sel:DWORD
	v_cndmask_b32_e64 v125, 0x7f800000, v125, s14
	v_cndmask_b32_e64 v126, 0x7f800000, v126, s15
	v_fmac_f32_e32 v119, v109, v127
	v_fmac_f32_e32 v120, v110, v128
	v_cvt_f16_f32_e32 v109, v127
	v_fmac_f32_e32 v118, v111, v125
	v_cvt_f16_f32_e32 v110, v128
	v_cvt_f16_f32_e32 v111, v125
	;; [unrolled: 1-line block ×3, first 2 shown]
	v_fmac_f32_e32 v117, v108, v126
	v_mul_u32_u24_sdwa v108, v109, v107 dst_sel:DWORD dst_unused:UNUSED_PAD src0_sel:WORD_0 src1_sel:DWORD
	v_mul_u32_u24_sdwa v109, v110, v107 dst_sel:DWORD dst_unused:UNUSED_PAD src0_sel:WORD_0 src1_sel:DWORD
	;; [unrolled: 1-line block ×5, first 2 shown]
	v_mul_u32_u24_sdwa v61, v61, v107 dst_sel:DWORD dst_unused:UNUSED_PAD src0_sel:WORD_1 src1_sel:DWORD
	v_mul_u32_u24_sdwa v126, v62, v107 dst_sel:DWORD dst_unused:UNUSED_PAD src0_sel:WORD_0 src1_sel:DWORD
	v_mul_u32_u24_sdwa v62, v62, v107 dst_sel:DWORD dst_unused:UNUSED_PAD src0_sel:WORD_1 src1_sel:DWORD
	v_pk_mul_f16 v98, v98, v108
	v_pk_mul_f16 v92, v92, v109
	;; [unrolled: 1-line block ×6, first 2 shown]
	v_mul_u32_u24_sdwa v127, v63, v107 dst_sel:DWORD dst_unused:UNUSED_PAD src0_sel:WORD_0 src1_sel:DWORD
	v_mul_u32_u24_sdwa v63, v63, v107 dst_sel:DWORD dst_unused:UNUSED_PAD src0_sel:WORD_1 src1_sel:DWORD
	v_mul_u32_u24_sdwa v128, v64, v107 dst_sel:DWORD dst_unused:UNUSED_PAD src0_sel:WORD_0 src1_sel:DWORD
	v_mul_u32_u24_sdwa v64, v64, v107 dst_sel:DWORD dst_unused:UNUSED_PAD src0_sel:WORD_1 src1_sel:DWORD
	v_pk_mul_f16 v89, v89, v110
	v_pk_mul_f16 v85, v85, v111
	v_pk_fma_f16 v93, v93, v108, v157
	v_pk_fma_f16 v91, v91, v109, v158
	;; [unrolled: 1-line block ×6, first 2 shown]
	v_mul_u32_u24_sdwa v50, v50, v107 dst_sel:DWORD dst_unused:UNUSED_PAD src0_sel:WORD_1 src1_sel:DWORD
	v_pk_fma_f16 v89, v30, v126, v89
	v_pk_fma_f16 v30, v30, v62, v85
	;; [unrolled: 1-line block ×8, first 2 shown]
	v_mul_u32_u24_sdwa v131, v51, v107 dst_sel:DWORD dst_unused:UNUSED_PAD src0_sel:WORD_0 src1_sel:DWORD
	v_mul_u32_u24_sdwa v51, v51, v107 dst_sel:DWORD dst_unused:UNUSED_PAD src0_sel:WORD_1 src1_sel:DWORD
	v_mul_u32_u24_sdwa v132, v52, v107 dst_sel:DWORD dst_unused:UNUSED_PAD src0_sel:WORD_0 src1_sel:DWORD
	v_mul_u32_u24_sdwa v52, v52, v107 dst_sel:DWORD dst_unused:UNUSED_PAD src0_sel:WORD_1 src1_sel:DWORD
	v_pk_fma_f16 v63, v32, v128, v89
	v_pk_fma_f16 v30, v32, v64, v30
	;; [unrolled: 1-line block ×8, first 2 shown]
	v_mul_u32_u24_sdwa v58, v58, v107 dst_sel:DWORD dst_unused:UNUSED_PAD src0_sel:WORD_1 src1_sel:DWORD
	v_pk_fma_f16 v49, v34, v130, v63
	v_pk_fma_f16 v30, v34, v50, v30
	;; [unrolled: 1-line block ×8, first 2 shown]
	v_mul_u32_u24_sdwa v135, v59, v107 dst_sel:DWORD dst_unused:UNUSED_PAD src0_sel:WORD_0 src1_sel:DWORD
	v_mul_u32_u24_sdwa v59, v59, v107 dst_sel:DWORD dst_unused:UNUSED_PAD src0_sel:WORD_1 src1_sel:DWORD
	v_mul_u32_u24_sdwa v136, v60, v107 dst_sel:DWORD dst_unused:UNUSED_PAD src0_sel:WORD_0 src1_sel:DWORD
	v_mul_u32_u24_sdwa v60, v60, v107 dst_sel:DWORD dst_unused:UNUSED_PAD src0_sel:WORD_1 src1_sel:DWORD
	v_pk_fma_f16 v35, v36, v132, v49
	v_pk_fma_f16 v30, v36, v52, v30
	;; [unrolled: 1-line block ×8, first 2 shown]
	v_mul_u32_u24_sdwa v137, v41, v107 dst_sel:DWORD dst_unused:UNUSED_PAD src0_sel:WORD_0 src1_sel:DWORD
	v_mul_u32_u24_sdwa v41, v41, v107 dst_sel:DWORD dst_unused:UNUSED_PAD src0_sel:WORD_1 src1_sel:DWORD
	v_mul_u32_u24_sdwa v138, v42, v107 dst_sel:DWORD dst_unused:UNUSED_PAD src0_sel:WORD_0 src1_sel:DWORD
	v_mul_u32_u24_sdwa v42, v42, v107 dst_sel:DWORD dst_unused:UNUSED_PAD src0_sel:WORD_1 src1_sel:DWORD
	v_pk_fma_f16 v33, v26, v134, v35
	v_pk_fma_f16 v26, v26, v58, v30
	;; [unrolled: 1-line block ×8, first 2 shown]
	v_mul_u32_u24_sdwa v43, v43, v107 dst_sel:DWORD dst_unused:UNUSED_PAD src0_sel:WORD_1 src1_sel:DWORD
	v_mul_u32_u24_sdwa v140, v44, v107 dst_sel:DWORD dst_unused:UNUSED_PAD src0_sel:WORD_0 src1_sel:DWORD
	v_mul_u32_u24_sdwa v44, v44, v107 dst_sel:DWORD dst_unused:UNUSED_PAD src0_sel:WORD_1 src1_sel:DWORD
	v_pk_fma_f16 v31, v28, v136, v33
	v_pk_fma_f16 v26, v28, v60, v26
	v_pk_fma_f16 v28, v21, v137, v30
	v_pk_fma_f16 v30, v21, v41, v32
	v_pk_fma_f16 v32, v21, v138, v34
	v_pk_fma_f16 v21, v21, v42, v25
	v_pk_fma_f16 v25, v22, v137, v27
	v_pk_fma_f16 v27, v22, v41, v29
	v_mul_u32_u24_sdwa v141, v65, v107 dst_sel:DWORD dst_unused:UNUSED_PAD src0_sel:WORD_0 src1_sel:DWORD
	v_mul_u32_u24_sdwa v65, v65, v107 dst_sel:DWORD dst_unused:UNUSED_PAD src0_sel:WORD_1 src1_sel:DWORD
	v_mul_u32_u24_sdwa v142, v66, v107 dst_sel:DWORD dst_unused:UNUSED_PAD src0_sel:WORD_0 src1_sel:DWORD
	v_mul_u32_u24_sdwa v66, v66, v107 dst_sel:DWORD dst_unused:UNUSED_PAD src0_sel:WORD_1 src1_sel:DWORD
	v_pk_fma_f16 v29, v22, v138, v31
	v_pk_fma_f16 v22, v22, v42, v26
	v_pk_fma_f16 v26, v23, v139, v28
	v_pk_fma_f16 v28, v23, v43, v30
	v_pk_fma_f16 v30, v23, v140, v32
	v_pk_fma_f16 v21, v23, v44, v21
	v_pk_fma_f16 v23, v24, v139, v25
	v_pk_fma_f16 v25, v24, v43, v27
	v_mul_u32_u24_sdwa v143, v67, v107 dst_sel:DWORD dst_unused:UNUSED_PAD src0_sel:WORD_0 src1_sel:DWORD
	;; [unrolled: 12-line block ×7, first 2 shown]
	v_mul_u32_u24_sdwa v37, v37, v107 dst_sel:DWORD dst_unused:UNUSED_PAD src0_sel:WORD_1 src1_sel:DWORD
	v_mul_u32_u24_sdwa v154, v38, v107 dst_sel:DWORD dst_unused:UNUSED_PAD src0_sel:WORD_0 src1_sel:DWORD
	v_mul_u32_u24_sdwa v38, v38, v107 dst_sel:DWORD dst_unused:UNUSED_PAD src0_sel:WORD_1 src1_sel:DWORD
	v_pk_fma_f16 v17, v10, v150, v19
	v_pk_fma_f16 v10, v10, v46, v14
	;; [unrolled: 1-line block ×8, first 2 shown]
	s_waitcnt lgkmcnt(0)
	s_barrier
	buffer_gl0_inv
	ds_read_b128 v[13:16], v100 offset:128
	v_pk_fma_f16 v17, v12, v152, v17
	v_pk_fma_f16 v23, v12, v48, v10
	v_pk_fma_f16 v19, v5, v153, v19
	v_pk_fma_f16 v18, v5, v37, v18
	v_pk_fma_f16 v20, v5, v154, v20
	v_pk_fma_f16 v5, v5, v38, v9
	ds_read2_b64 v[9:12], v124 offset0:128 offset1:156
	v_mul_u32_u24_sdwa v155, v39, v107 dst_sel:DWORD dst_unused:UNUSED_PAD src0_sel:WORD_0 src1_sel:DWORD
	v_mul_u32_u24_sdwa v39, v39, v107 dst_sel:DWORD dst_unused:UNUSED_PAD src0_sel:WORD_1 src1_sel:DWORD
	v_mul_u32_u24_sdwa v156, v40, v107 dst_sel:DWORD dst_unused:UNUSED_PAD src0_sel:WORD_0 src1_sel:DWORD
	v_mul_u32_u24_sdwa v40, v40, v107 dst_sel:DWORD dst_unused:UNUSED_PAD src0_sel:WORD_1 src1_sel:DWORD
	v_pk_fma_f16 v21, v6, v153, v21
	v_pk_fma_f16 v22, v6, v37, v22
	;; [unrolled: 1-line block ×12, first 2 shown]
	ds_read_b128 v[5:8], v100 offset:144
	s_waitcnt lgkmcnt(2)
	v_mul_u32_u24_sdwa v33, v13, v107 dst_sel:DWORD dst_unused:UNUSED_PAD src0_sel:WORD_0 src1_sel:DWORD
	v_mul_u32_u24_sdwa v13, v13, v107 dst_sel:DWORD dst_unused:UNUSED_PAD src0_sel:WORD_1 src1_sel:DWORD
	v_mul_u32_u24_sdwa v34, v14, v107 dst_sel:DWORD dst_unused:UNUSED_PAD src0_sel:WORD_0 src1_sel:DWORD
	v_mul_u32_u24_sdwa v14, v14, v107 dst_sel:DWORD dst_unused:UNUSED_PAD src0_sel:WORD_1 src1_sel:DWORD
	ds_read_b128 v[17:20], v100 offset:160
	ds_read_b128 v[21:24], v100 offset:176
	s_waitcnt lgkmcnt(3)
	v_pk_fma_f16 v35, v9, v33, v25
	v_pk_fma_f16 v36, v9, v13, v26
	;; [unrolled: 1-line block ×4, first 2 shown]
	ds_read2_b64 v[25:28], v124 offset0:184 offset1:212
	v_pk_fma_f16 v29, v10, v33, v29
	v_pk_fma_f16 v13, v10, v13, v30
	v_pk_fma_f16 v30, v10, v34, v31
	v_mul_u32_u24_sdwa v31, v15, v107 dst_sel:DWORD dst_unused:UNUSED_PAD src0_sel:WORD_0 src1_sel:DWORD
	v_mul_u32_u24_sdwa v15, v15, v107 dst_sel:DWORD dst_unused:UNUSED_PAD src0_sel:WORD_1 src1_sel:DWORD
	v_mul_u32_u24_sdwa v33, v16, v107 dst_sel:DWORD dst_unused:UNUSED_PAD src0_sel:WORD_0 src1_sel:DWORD
	v_mul_u32_u24_sdwa v16, v16, v107 dst_sel:DWORD dst_unused:UNUSED_PAD src0_sel:WORD_1 src1_sel:DWORD
	v_pk_fma_f16 v10, v10, v14, v32
	v_pk_fma_f16 v14, v11, v31, v35
	v_pk_fma_f16 v32, v11, v15, v36
	v_pk_fma_f16 v34, v11, v33, v37
	v_pk_fma_f16 v9, v11, v16, v9
	v_pk_fma_f16 v11, v12, v31, v29
	v_pk_fma_f16 v13, v12, v15, v13
	v_pk_fma_f16 v15, v12, v33, v30
	s_waitcnt lgkmcnt(3)
	v_mul_u32_u24_sdwa v29, v5, v107 dst_sel:DWORD dst_unused:UNUSED_PAD src0_sel:WORD_0 src1_sel:DWORD
	v_mul_u32_u24_sdwa v5, v5, v107 dst_sel:DWORD dst_unused:UNUSED_PAD src0_sel:WORD_1 src1_sel:DWORD
	v_mul_u32_u24_sdwa v30, v6, v107 dst_sel:DWORD dst_unused:UNUSED_PAD src0_sel:WORD_0 src1_sel:DWORD
	v_mul_u32_u24_sdwa v6, v6, v107 dst_sel:DWORD dst_unused:UNUSED_PAD src0_sel:WORD_1 src1_sel:DWORD
	v_pk_fma_f16 v16, v12, v16, v10
	s_waitcnt lgkmcnt(0)
	v_pk_fma_f16 v14, v25, v29, v14
	v_pk_fma_f16 v31, v25, v5, v32
	;; [unrolled: 1-line block ×5, first 2 shown]
	ds_read2_b64 v[9:12], v123 offset0:112 offset1:140
	v_pk_fma_f16 v5, v26, v5, v13
	v_pk_fma_f16 v13, v26, v30, v15
	v_mul_u32_u24_sdwa v15, v7, v107 dst_sel:DWORD dst_unused:UNUSED_PAD src0_sel:WORD_0 src1_sel:DWORD
	v_mul_u32_u24_sdwa v7, v7, v107 dst_sel:DWORD dst_unused:UNUSED_PAD src0_sel:WORD_1 src1_sel:DWORD
	v_mul_u32_u24_sdwa v30, v8, v107 dst_sel:DWORD dst_unused:UNUSED_PAD src0_sel:WORD_0 src1_sel:DWORD
	v_mul_u32_u24_sdwa v8, v8, v107 dst_sel:DWORD dst_unused:UNUSED_PAD src0_sel:WORD_1 src1_sel:DWORD
	v_pk_fma_f16 v6, v26, v6, v16
	v_pk_fma_f16 v14, v27, v15, v14
	;; [unrolled: 1-line block ×7, first 2 shown]
	v_mul_u32_u24_sdwa v5, v17, v107 dst_sel:DWORD dst_unused:UNUSED_PAD src0_sel:WORD_0 src1_sel:DWORD
	v_pk_fma_f16 v13, v28, v30, v13
	v_pk_fma_f16 v28, v28, v8, v6
	v_mul_u32_u24_sdwa v17, v17, v107 dst_sel:DWORD dst_unused:UNUSED_PAD src0_sel:WORD_1 src1_sel:DWORD
	v_mul_u32_u24_sdwa v29, v18, v107 dst_sel:DWORD dst_unused:UNUSED_PAD src0_sel:WORD_0 src1_sel:DWORD
	v_mul_u32_u24_sdwa v18, v18, v107 dst_sel:DWORD dst_unused:UNUSED_PAD src0_sel:WORD_1 src1_sel:DWORD
	s_waitcnt lgkmcnt(0)
	v_pk_fma_f16 v14, v9, v5, v14
	v_pk_fma_f16 v15, v10, v5, v15
	ds_read2_b64 v[5:8], v122 offset0:40 offset1:68
	v_pk_fma_f16 v16, v9, v17, v16
	v_pk_fma_f16 v26, v9, v29, v26
	;; [unrolled: 1-line block ×5, first 2 shown]
	v_mul_u32_u24_sdwa v25, v19, v107 dst_sel:DWORD dst_unused:UNUSED_PAD src0_sel:WORD_0 src1_sel:DWORD
	v_mul_u32_u24_sdwa v19, v19, v107 dst_sel:DWORD dst_unused:UNUSED_PAD src0_sel:WORD_1 src1_sel:DWORD
	v_mul_u32_u24_sdwa v27, v20, v107 dst_sel:DWORD dst_unused:UNUSED_PAD src0_sel:WORD_0 src1_sel:DWORD
	v_mul_u32_u24_sdwa v20, v20, v107 dst_sel:DWORD dst_unused:UNUSED_PAD src0_sel:WORD_1 src1_sel:DWORD
	v_pk_fma_f16 v10, v10, v18, v28
	v_pk_fma_f16 v14, v11, v25, v14
	;; [unrolled: 1-line block ×8, first 2 shown]
	v_mul_u32_u24_sdwa v13, v21, v107 dst_sel:DWORD dst_unused:UNUSED_PAD src0_sel:WORD_0 src1_sel:DWORD
	v_mul_u32_u24_sdwa v21, v21, v107 dst_sel:DWORD dst_unused:UNUSED_PAD src0_sel:WORD_1 src1_sel:DWORD
	v_pk_fma_f16 v20, v12, v20, v10
	v_mul_u32_u24_sdwa v25, v22, v107 dst_sel:DWORD dst_unused:UNUSED_PAD src0_sel:WORD_0 src1_sel:DWORD
	v_mul_u32_u24_sdwa v22, v22, v107 dst_sel:DWORD dst_unused:UNUSED_PAD src0_sel:WORD_1 src1_sel:DWORD
	ds_read_b128 v[9:12], v100 offset:192
	s_waitcnt lgkmcnt(1)
	v_pk_fma_f16 v27, v5, v13, v14
	v_pk_fma_f16 v28, v5, v21, v16
	v_pk_fma_f16 v18, v5, v25, v18
	v_pk_fma_f16 v5, v5, v22, v26
	v_pk_fma_f16 v26, v6, v13, v15
	ds_read2_b64 v[13:16], v122 offset0:96 offset1:124
	v_pk_fma_f16 v17, v6, v21, v17
	v_pk_fma_f16 v19, v6, v25, v19
	v_mul_u32_u24_sdwa v21, v23, v107 dst_sel:DWORD dst_unused:UNUSED_PAD src0_sel:WORD_0 src1_sel:DWORD
	v_mul_u32_u24_sdwa v23, v23, v107 dst_sel:DWORD dst_unused:UNUSED_PAD src0_sel:WORD_1 src1_sel:DWORD
	v_mul_u32_u24_sdwa v25, v24, v107 dst_sel:DWORD dst_unused:UNUSED_PAD src0_sel:WORD_0 src1_sel:DWORD
	v_mul_u32_u24_sdwa v24, v24, v107 dst_sel:DWORD dst_unused:UNUSED_PAD src0_sel:WORD_1 src1_sel:DWORD
	v_pk_fma_f16 v6, v6, v22, v20
	v_pk_fma_f16 v22, v7, v21, v27
	;; [unrolled: 1-line block ×8, first 2 shown]
	ds_read_b128 v[17:20], v100 offset:208
	s_waitcnt lgkmcnt(2)
	v_mul_u32_u24_sdwa v25, v9, v107 dst_sel:DWORD dst_unused:UNUSED_PAD src0_sel:WORD_0 src1_sel:DWORD
	v_mul_u32_u24_sdwa v9, v9, v107 dst_sel:DWORD dst_unused:UNUSED_PAD src0_sel:WORD_1 src1_sel:DWORD
	v_mul_u32_u24_sdwa v26, v10, v107 dst_sel:DWORD dst_unused:UNUSED_PAD src0_sel:WORD_0 src1_sel:DWORD
	v_mul_u32_u24_sdwa v10, v10, v107 dst_sel:DWORD dst_unused:UNUSED_PAD src0_sel:WORD_1 src1_sel:DWORD
	v_pk_fma_f16 v24, v8, v24, v6
	s_waitcnt lgkmcnt(1)
	v_pk_fma_f16 v22, v13, v25, v22
	v_pk_fma_f16 v27, v13, v9, v27
	;; [unrolled: 1-line block ×5, first 2 shown]
	ds_read2_b64 v[5:8], v122 offset0:152 offset1:180
	v_pk_fma_f16 v9, v14, v9, v21
	v_pk_fma_f16 v21, v14, v26, v23
	v_mul_u32_u24_sdwa v23, v11, v107 dst_sel:DWORD dst_unused:UNUSED_PAD src0_sel:WORD_0 src1_sel:DWORD
	v_mul_u32_u24_sdwa v11, v11, v107 dst_sel:DWORD dst_unused:UNUSED_PAD src0_sel:WORD_1 src1_sel:DWORD
	v_mul_u32_u24_sdwa v26, v12, v107 dst_sel:DWORD dst_unused:UNUSED_PAD src0_sel:WORD_0 src1_sel:DWORD
	v_mul_u32_u24_sdwa v12, v12, v107 dst_sel:DWORD dst_unused:UNUSED_PAD src0_sel:WORD_1 src1_sel:DWORD
	v_pk_fma_f16 v10, v14, v10, v24
	v_pk_fma_f16 v14, v15, v23, v22
	;; [unrolled: 1-line block ×8, first 2 shown]
	s_waitcnt lgkmcnt(1)
	v_mul_u32_u24_sdwa v25, v17, v107 dst_sel:DWORD dst_unused:UNUSED_PAD src0_sel:WORD_0 src1_sel:DWORD
	v_mul_u32_u24_sdwa v17, v17, v107 dst_sel:DWORD dst_unused:UNUSED_PAD src0_sel:WORD_1 src1_sel:DWORD
	v_pk_fma_f16 v26, v16, v12, v10
	v_mul_u32_u24_sdwa v27, v18, v107 dst_sel:DWORD dst_unused:UNUSED_PAD src0_sel:WORD_0 src1_sel:DWORD
	v_mul_u32_u24_sdwa v18, v18, v107 dst_sel:DWORD dst_unused:UNUSED_PAD src0_sel:WORD_1 src1_sel:DWORD
	ds_read_b128 v[9:12], v100 offset:224
	s_waitcnt lgkmcnt(1)
	v_pk_fma_f16 v28, v5, v25, v14
	v_pk_fma_f16 v22, v5, v17, v22
	;; [unrolled: 1-line block ×5, first 2 shown]
	ds_read2_b64 v[13:16], v122 offset0:208 offset1:236
	v_pk_fma_f16 v17, v6, v17, v23
	v_pk_fma_f16 v21, v6, v27, v21
	v_mul_u32_u24_sdwa v23, v19, v107 dst_sel:DWORD dst_unused:UNUSED_PAD src0_sel:WORD_0 src1_sel:DWORD
	v_mul_u32_u24_sdwa v19, v19, v107 dst_sel:DWORD dst_unused:UNUSED_PAD src0_sel:WORD_1 src1_sel:DWORD
	v_mul_u32_u24_sdwa v27, v20, v107 dst_sel:DWORD dst_unused:UNUSED_PAD src0_sel:WORD_0 src1_sel:DWORD
	v_mul_u32_u24_sdwa v29, v20, v107 dst_sel:DWORD dst_unused:UNUSED_PAD src0_sel:WORD_1 src1_sel:DWORD
	v_pk_fma_f16 v6, v6, v18, v26
	v_pk_fma_f16 v26, v7, v23, v28
	;; [unrolled: 1-line block ×8, first 2 shown]
	ds_read_b128 v[17:20], v100 offset:240
	s_waitcnt lgkmcnt(2)
	v_mul_u32_u24_sdwa v25, v9, v107 dst_sel:DWORD dst_unused:UNUSED_PAD src0_sel:WORD_0 src1_sel:DWORD
	v_mul_u32_u24_sdwa v9, v9, v107 dst_sel:DWORD dst_unused:UNUSED_PAD src0_sel:WORD_1 src1_sel:DWORD
	v_mul_u32_u24_sdwa v27, v10, v107 dst_sel:DWORD dst_unused:UNUSED_PAD src0_sel:WORD_0 src1_sel:DWORD
	v_mul_u32_u24_sdwa v10, v10, v107 dst_sel:DWORD dst_unused:UNUSED_PAD src0_sel:WORD_1 src1_sel:DWORD
	v_pk_fma_f16 v28, v8, v29, v6
	s_waitcnt lgkmcnt(1)
	v_pk_fma_f16 v26, v13, v25, v26
	v_pk_fma_f16 v22, v13, v9, v22
	;; [unrolled: 1-line block ×5, first 2 shown]
	ds_read2_b64 v[5:8], v121 offset0:8 offset1:36
	s_waitcnt lgkmcnt(0)
	s_barrier
	buffer_gl0_inv
	s_load_dword s9, s[22:23], 0x4
	v_pk_fma_f16 v9, v14, v9, v23
	v_pk_fma_f16 v21, v14, v27, v21
	v_mul_u32_u24_sdwa v23, v11, v107 dst_sel:DWORD dst_unused:UNUSED_PAD src0_sel:WORD_0 src1_sel:DWORD
	v_mul_u32_u24_sdwa v11, v11, v107 dst_sel:DWORD dst_unused:UNUSED_PAD src0_sel:WORD_1 src1_sel:DWORD
	v_mul_u32_u24_sdwa v27, v12, v107 dst_sel:DWORD dst_unused:UNUSED_PAD src0_sel:WORD_0 src1_sel:DWORD
	v_mul_u32_u24_sdwa v12, v12, v107 dst_sel:DWORD dst_unused:UNUSED_PAD src0_sel:WORD_1 src1_sel:DWORD
	v_pk_fma_f16 v10, v14, v10, v28
	v_pk_fma_f16 v14, v15, v23, v26
	v_pk_fma_f16 v22, v15, v11, v22
	v_pk_fma_f16 v24, v15, v27, v24
	v_pk_fma_f16 v13, v15, v12, v13
	v_pk_fma_f16 v15, v16, v23, v25
	v_pk_fma_f16 v9, v16, v11, v9
	v_pk_fma_f16 v11, v16, v27, v21
	v_pk_fma_f16 v10, v16, v12, v10
	v_mul_u32_u24_sdwa v12, v17, v107 dst_sel:DWORD dst_unused:UNUSED_PAD src0_sel:WORD_0 src1_sel:DWORD
	v_mul_u32_u24_sdwa v16, v17, v107 dst_sel:DWORD dst_unused:UNUSED_PAD src0_sel:WORD_1 src1_sel:DWORD
	v_mul_u32_u24_sdwa v17, v18, v107 dst_sel:DWORD dst_unused:UNUSED_PAD src0_sel:WORD_0 src1_sel:DWORD
	v_mul_u32_u24_sdwa v18, v18, v107 dst_sel:DWORD dst_unused:UNUSED_PAD src0_sel:WORD_1 src1_sel:DWORD
	s_waitcnt lgkmcnt(0)
	s_lshl_b32 s9, s9, 5
	v_pk_fma_f16 v14, v5, v12, v14
	v_pk_fma_f16 v21, v5, v16, v22
	;; [unrolled: 1-line block ×7, first 2 shown]
	v_mul_u32_u24_sdwa v13, v19, v107 dst_sel:DWORD dst_unused:UNUSED_PAD src0_sel:WORD_0 src1_sel:DWORD
	v_mul_u32_u24_sdwa v15, v19, v107 dst_sel:DWORD dst_unused:UNUSED_PAD src0_sel:WORD_1 src1_sel:DWORD
	v_mul_u32_u24_sdwa v16, v20, v107 dst_sel:DWORD dst_unused:UNUSED_PAD src0_sel:WORD_0 src1_sel:DWORD
	v_mul_u32_u24_sdwa v17, v20, v107 dst_sel:DWORD dst_unused:UNUSED_PAD src0_sel:WORD_1 src1_sel:DWORD
	v_pk_fma_f16 v6, v6, v18, v10
	v_pk_fma_f16 v93, v7, v13, v14
	;; [unrolled: 1-line block ×9, first 2 shown]
	s_add_i32 s19, s9, s19
	s_cmp_ge_i32 s19, s34
	s_cbranch_scc1 .LBB21_37
; %bb.28:                               ;   in Loop: Header=BB21_11 Depth=1
	v_mov_b32_e32 v5, v1
	v_mov_b32_e32 v7, v2
	;; [unrolled: 1-line block ×8, first 2 shown]
	s_branch .LBB21_11
.LBB21_29:                              ;   in Loop: Header=BB21_11 Depth=1
	v_add_co_u32 v1, s9, s10, v72
	v_add_co_ci_u32_e64 v2, null, s11, v73, s9
	global_load_dwordx4 v[1:4], v[1:2], off offset:96
	s_waitcnt vmcnt(0)
	ds_write_b128 v96, v[1:4]
	s_or_b32 exec_lo, exec_lo, s12
	s_and_saveexec_b32 s12, s1
	s_cbranch_execz .LBB21_13
.LBB21_30:                              ;   in Loop: Header=BB21_11 Depth=1
	v_add_co_u32 v1, s9, s10, v74
	v_add_co_ci_u32_e64 v2, null, s11, v75, s9
	v_add_co_u32 v1, s9, v1, v105
	v_add_co_ci_u32_e64 v2, null, 0, v2, s9
	global_load_dwordx4 v[1:4], v[1:2], off offset:64
	s_waitcnt vmcnt(0)
	ds_write_b128 v97, v[1:4]
	s_or_b32 exec_lo, exec_lo, s12
	s_and_saveexec_b32 s12, s2
	s_cbranch_execnz .LBB21_14
	s_branch .LBB21_15
.LBB21_31:                              ;   in Loop: Header=BB21_11 Depth=1
	v_add_co_u32 v9, s9, s10, v72
	v_add_co_ci_u32_e64 v10, null, s11, v73, s9
	global_load_dwordx4 v[9:12], v[9:10], off offset:208
	s_waitcnt vmcnt(0)
	ds_write_b128 v96, v[9:12]
	s_or_b32 exec_lo, exec_lo, s12
	s_and_saveexec_b32 s12, s1
	s_cbranch_execz .LBB21_17
.LBB21_32:                              ;   in Loop: Header=BB21_11 Depth=1
	v_add_co_u32 v9, s9, s10, v74
	v_add_co_ci_u32_e64 v10, null, s11, v75, s9
	v_add_co_u32 v9, s9, v9, v105
	v_add_co_ci_u32_e64 v10, null, 0, v10, s9
	global_load_dwordx4 v[9:12], v[9:10], off offset:176
	s_waitcnt vmcnt(0)
	ds_write_b128 v97, v[9:12]
	s_or_b32 exec_lo, exec_lo, s12
	s_and_saveexec_b32 s12, s2
	s_cbranch_execnz .LBB21_18
	s_branch .LBB21_19
.LBB21_33:                              ;   in Loop: Header=BB21_11 Depth=1
	v_add_co_u32 v5, s17, s41, v78
	v_add_co_ci_u32_e64 v6, null, s42, v79, s17
	v_add_co_u32 v5, s17, v5, v105
	v_add_co_ci_u32_e64 v6, null, 0, v6, s17
	global_load_dwordx4 v[5:8], v[5:6], off offset:192
	s_waitcnt vmcnt(0)
	ds_write_b128 v102, v[5:8]
	s_or_b32 exec_lo, exec_lo, s43
	s_and_saveexec_b32 s43, s6
	s_cbranch_execz .LBB21_21
.LBB21_34:                              ;   in Loop: Header=BB21_11 Depth=1
	v_add_co_u32 v5, s17, s41, v80
	v_add_co_ci_u32_e64 v6, null, s42, v81, s17
	v_add_co_u32 v5, s17, v5, v106
	v_add_co_ci_u32_e64 v6, null, 0, v6, s17
	global_load_dwordx4 v[5:8], v[5:6], off offset:128
	s_waitcnt vmcnt(0)
	ds_write_b128 v103, v[5:8]
	s_or_b32 exec_lo, exec_lo, s43
	v_lshlrev_b32_e32 v129, 2, v101
	s_and_saveexec_b32 s43, s8
	s_cbranch_execnz .LBB21_22
	s_branch .LBB21_23
.LBB21_35:                              ;   in Loop: Header=BB21_11 Depth=1
	v_add_co_u32 v130, s17, s41, v78
	v_add_co_ci_u32_e64 v131, null, s42, v79, s17
	v_add_co_u32 v130, s17, v130, v105
	v_add_co_ci_u32_e64 v131, null, 0, v131, s17
	global_load_dwordx4 v[130:133], v[130:131], off offset:192
	s_waitcnt vmcnt(0)
	ds_write_b128 v102, v[130:133]
	s_or_b32 exec_lo, exec_lo, s43
	s_and_saveexec_b32 s43, s6
	s_cbranch_execz .LBB21_25
.LBB21_36:                              ;   in Loop: Header=BB21_11 Depth=1
	v_add_co_u32 v130, s17, s41, v80
	v_add_co_ci_u32_e64 v131, null, s42, v81, s17
	v_add_co_u32 v130, s17, v130, v106
	v_add_co_ci_u32_e64 v131, null, 0, v131, s17
	global_load_dwordx4 v[130:133], v[130:131], off offset:128
	s_waitcnt vmcnt(0)
	ds_write_b128 v103, v[130:133]
	s_or_b32 exec_lo, exec_lo, s43
	s_and_saveexec_b32 s43, s8
	s_cbranch_execnz .LBB21_26
	s_branch .LBB21_27
.LBB21_37:
	v_mov_b32_e32 v5, v87
.LBB21_38:
	v_cmp_lt_i32_e32 vcc_lo, v112, v90
	s_cmp_lg_u64 s[20:21], 0
	s_cselect_b32 s1, -1, 0
	s_cmp_eq_u32 s7, 0
	v_cndmask_b32_e32 v6, v5, v112, vcc_lo
	v_cmp_lt_i32_e32 vcc_lo, v113, v90
	s_cselect_b32 s2, -1, 0
	s_and_b32 s1, s2, s1
	v_lshlrev_b32_e32 v6, 2, v6
	v_cndmask_b32_e32 v10, v5, v113, vcc_lo
	v_cmp_lt_i32_e32 vcc_lo, v114, v90
	ds_bpermute_b32 v7, v6, v119
	ds_bpermute_b32 v8, v6, v120
	;; [unrolled: 1-line block ×4, first 2 shown]
	v_lshlrev_b32_e32 v10, 2, v10
	v_cndmask_b32_e32 v14, v5, v114, vcc_lo
	v_cmp_lt_i32_e32 vcc_lo, v115, v90
	v_lshlrev_b32_e32 v14, 2, v14
	s_waitcnt lgkmcnt(3)
	v_add_f32_e32 v7, v119, v7
	s_waitcnt lgkmcnt(2)
	v_add_f32_e32 v8, v120, v8
	;; [unrolled: 2-line block ×4, first 2 shown]
	ds_bpermute_b32 v11, v10, v7
	ds_bpermute_b32 v12, v10, v8
	;; [unrolled: 1-line block ×4, first 2 shown]
	s_waitcnt lgkmcnt(3)
	v_add_f32_e32 v7, v7, v11
	s_waitcnt lgkmcnt(2)
	v_add_f32_e32 v8, v8, v12
	s_waitcnt lgkmcnt(1)
	v_add_f32_e32 v9, v9, v13
	s_waitcnt lgkmcnt(0)
	v_add_f32_e32 v6, v6, v10
	ds_bpermute_b32 v10, v14, v7
	ds_bpermute_b32 v11, v14, v8
	ds_bpermute_b32 v12, v14, v9
	ds_bpermute_b32 v13, v14, v6
	v_cndmask_b32_e32 v14, v5, v115, vcc_lo
	v_cmp_lt_i32_e32 vcc_lo, v116, v90
	v_lshlrev_b32_e32 v14, 2, v14
	v_cndmask_b32_e32 v5, v5, v116, vcc_lo
	s_and_b32 vcc_lo, exec_lo, s1
	v_lshlrev_b32_e32 v5, 2, v5
	s_waitcnt lgkmcnt(3)
	v_add_f32_e32 v7, v7, v10
	s_waitcnt lgkmcnt(2)
	v_add_f32_e32 v8, v8, v11
	;; [unrolled: 2-line block ×4, first 2 shown]
	ds_bpermute_b32 v10, v14, v7
	ds_bpermute_b32 v11, v14, v8
	;; [unrolled: 1-line block ×4, first 2 shown]
	s_waitcnt lgkmcnt(3)
	v_add_f32_e32 v7, v7, v10
	s_waitcnt lgkmcnt(2)
	v_add_f32_e32 v8, v8, v11
	;; [unrolled: 2-line block ×4, first 2 shown]
	ds_bpermute_b32 v6, v5, v7
	ds_bpermute_b32 v11, v5, v8
	;; [unrolled: 1-line block ×4, first 2 shown]
	s_waitcnt lgkmcnt(3)
	v_add_f32_e32 v5, v7, v6
	s_waitcnt lgkmcnt(2)
	v_add_f32_e32 v6, v8, v11
	;; [unrolled: 2-line block ×4, first 2 shown]
	s_cbranch_vccz .LBB21_41
; %bb.39:
	s_ashr_i32 s19, s18, 31
	v_mov_b32_e32 v9, 0
	s_lshl_b64 s[2:3], s[18:19], 2
	v_max_f32_e32 v13, v1, v1
	s_add_u32 s2, s20, s2
	s_addc_u32 s3, s21, s3
	v_max_f32_e32 v14, v2, v2
	global_load_dwordx4 v[9:12], v9, s[2:3]
	v_max_f32_e32 v15, v3, v3
	v_max_f32_e32 v17, v4, v4
	v_mov_b32_e32 v21, 0x10001
	s_waitcnt vmcnt(0)
	v_max_f32_e32 v16, v9, v9
	v_max_f32_e32 v18, v10, v10
	;; [unrolled: 1-line block ×8, first 2 shown]
	v_sub_f32_e32 v17, v1, v13
	v_sub_f32_e32 v18, v2, v14
	;; [unrolled: 1-line block ×4, first 2 shown]
	v_mov_b32_e32 v1, v13
	v_sub_f32_e32 v9, v9, v13
	v_mov_b32_e32 v2, v14
	v_mov_b32_e32 v3, v15
	;; [unrolled: 1-line block ×3, first 2 shown]
	v_mul_f32_e32 v13, 0x3fb8aa3b, v17
	v_sub_f32_e32 v10, v10, v14
	v_mul_f32_e32 v14, 0x3fb8aa3b, v9
	v_sub_f32_e32 v11, v11, v15
	v_mul_f32_e32 v15, 0x3fb8aa3b, v18
	v_fma_f32 v26, 0x3fb8aa3b, v17, -v13
	v_rndne_f32_e32 v27, v13
	v_fma_f32 v28, 0x3fb8aa3b, v9, -v14
	v_rndne_f32_e32 v29, v14
	v_sub_f32_e32 v12, v12, v16
	v_fmac_f32_e32 v26, 0x32a5705f, v17
	v_sub_f32_e32 v13, v13, v27
	v_mul_f32_e32 v16, 0x3fb8aa3b, v10
	v_fma_f32 v30, 0x3fb8aa3b, v18, -v15
	v_rndne_f32_e32 v31, v15
	v_fmac_f32_e32 v28, 0x32a5705f, v9
	v_sub_f32_e32 v14, v14, v29
	v_add_f32_e32 v13, v13, v26
	v_mul_f32_e32 v22, 0x3fb8aa3b, v19
	v_fma_f32 v32, 0x3fb8aa3b, v10, -v16
	v_rndne_f32_e32 v33, v16
	v_fmac_f32_e32 v30, 0x32a5705f, v18
	v_sub_f32_e32 v15, v15, v31
	v_add_f32_e32 v14, v14, v28
	v_exp_f32_e32 v13, v13
	v_mul_f32_e32 v23, 0x3fb8aa3b, v11
	v_fma_f32 v34, 0x3fb8aa3b, v19, -v22
	v_rndne_f32_e32 v35, v22
	v_cvt_i32_f32_e32 v27, v27
	v_fmac_f32_e32 v32, 0x32a5705f, v10
	v_sub_f32_e32 v16, v16, v33
	v_add_f32_e32 v15, v15, v30
	v_exp_f32_e32 v14, v14
	v_mul_f32_e32 v24, 0x3fb8aa3b, v20
	v_fma_f32 v36, 0x3fb8aa3b, v11, -v23
	v_rndne_f32_e32 v37, v23
	v_cvt_i32_f32_e32 v29, v29
	v_fmac_f32_e32 v34, 0x32a5705f, v19
	v_sub_f32_e32 v22, v22, v35
	v_add_f32_e32 v16, v16, v32
	v_exp_f32_e32 v15, v15
	v_ldexp_f32 v13, v13, v27
	v_cmp_ngt_f32_e32 vcc_lo, 0xc2ce8ed0, v17
	v_mul_f32_e32 v25, 0x3fb8aa3b, v12
	v_fma_f32 v38, 0x3fb8aa3b, v20, -v24
	v_rndne_f32_e32 v39, v24
	v_cvt_i32_f32_e32 v31, v31
	v_fmac_f32_e32 v36, 0x32a5705f, v11
	v_sub_f32_e32 v23, v23, v37
	v_add_f32_e32 v22, v22, v34
	v_exp_f32_e32 v16, v16
	v_ldexp_f32 v14, v14, v29
	v_cndmask_b32_e32 v13, 0, v13, vcc_lo
	v_cmp_ngt_f32_e32 vcc_lo, 0xc2ce8ed0, v9
	v_fma_f32 v40, 0x3fb8aa3b, v12, -v25
	v_rndne_f32_e32 v41, v25
	v_cvt_i32_f32_e32 v33, v33
	v_fmac_f32_e32 v38, 0x32a5705f, v20
	v_sub_f32_e32 v24, v24, v39
	v_add_f32_e32 v23, v23, v36
	v_exp_f32_e32 v22, v22
	v_ldexp_f32 v15, v15, v31
	v_cndmask_b32_e32 v14, 0, v14, vcc_lo
	v_cmp_ngt_f32_e32 vcc_lo, 0xc2ce8ed0, v18
	v_cvt_i32_f32_e32 v35, v35
	v_fmac_f32_e32 v40, 0x32a5705f, v12
	v_sub_f32_e32 v25, v25, v41
	v_add_f32_e32 v24, v24, v38
	v_exp_f32_e32 v23, v23
	v_ldexp_f32 v16, v16, v33
	v_cndmask_b32_e32 v15, 0, v15, vcc_lo
	v_cmp_ngt_f32_e32 vcc_lo, 0xc2ce8ed0, v10
	v_cvt_i32_f32_e32 v37, v37
	v_add_f32_e32 v25, v25, v40
	v_exp_f32_e32 v24, v24
	v_ldexp_f32 v22, v22, v35
	v_cndmask_b32_e32 v16, 0, v16, vcc_lo
	v_cmp_ngt_f32_e32 vcc_lo, 0xc2ce8ed0, v19
	v_exp_f32_e32 v25, v25
	v_cvt_i32_f32_e32 v26, v39
	v_ldexp_f32 v23, v23, v37
	v_cvt_i32_f32_e32 v28, v41
	v_cndmask_b32_e32 v22, 0, v22, vcc_lo
	v_cmp_ngt_f32_e32 vcc_lo, 0xc2ce8ed0, v11
	v_ldexp_f32 v24, v24, v26
	v_cndmask_b32_e32 v23, 0, v23, vcc_lo
	v_cmp_ngt_f32_e32 vcc_lo, 0xc2ce8ed0, v20
	v_ldexp_f32 v25, v25, v28
	v_cndmask_b32_e32 v24, 0, v24, vcc_lo
	v_cmp_ngt_f32_e32 vcc_lo, 0xc2ce8ed0, v12
	v_cndmask_b32_e32 v25, 0, v25, vcc_lo
	v_cmp_nlt_f32_e32 vcc_lo, 0x42b17218, v17
	v_cndmask_b32_e32 v13, 0x7f800000, v13, vcc_lo
	v_cmp_nlt_f32_e32 vcc_lo, 0x42b17218, v9
	;; [unrolled: 2-line block ×3, first 2 shown]
	v_fmac_f32_e32 v9, v5, v13
	v_cndmask_b32_e32 v14, 0x7f800000, v15, vcc_lo
	v_cmp_nlt_f32_e32 vcc_lo, 0x42b17218, v10
	v_cvt_f16_f32_e32 v5, v13
	v_cndmask_b32_e32 v10, 0x7f800000, v16, vcc_lo
	v_cmp_nlt_f32_e32 vcc_lo, 0x42b17218, v19
	v_fmac_f32_e32 v10, v6, v14
	v_cndmask_b32_e32 v15, 0x7f800000, v22, vcc_lo
	v_cmp_nlt_f32_e32 vcc_lo, 0x42b17218, v11
	v_cvt_f16_f32_e32 v6, v14
	v_cndmask_b32_e32 v11, 0x7f800000, v23, vcc_lo
	v_cmp_nlt_f32_e32 vcc_lo, 0x42b17218, v20
	v_mul_u32_u24_sdwa v14, v6, v21 dst_sel:DWORD dst_unused:UNUSED_PAD src0_sel:WORD_0 src1_sel:DWORD
	v_mov_b32_e32 v6, v10
	v_fmac_f32_e32 v11, v7, v15
	v_cndmask_b32_e32 v16, 0x7f800000, v24, vcc_lo
	v_cmp_nlt_f32_e32 vcc_lo, 0x42b17218, v12
	v_cvt_f16_f32_e32 v7, v15
	v_pk_mul_f16 v91, v91, v14
	v_pk_mul_f16 v92, v92, v14
	v_cvt_f16_f32_e32 v13, v16
	v_cndmask_b32_e32 v12, 0x7f800000, v25, vcc_lo
	v_mul_u32_u24_sdwa v15, v7, v21 dst_sel:DWORD dst_unused:UNUSED_PAD src0_sel:WORD_0 src1_sel:DWORD
	v_mov_b32_e32 v7, v11
	v_mul_u32_u24_sdwa v13, v13, v21 dst_sel:DWORD dst_unused:UNUSED_PAD src0_sel:WORD_0 src1_sel:DWORD
	v_fmac_f32_e32 v12, v8, v16
	v_mul_u32_u24_sdwa v8, v5, v21 dst_sel:DWORD dst_unused:UNUSED_PAD src0_sel:WORD_0 src1_sel:DWORD
	v_mov_b32_e32 v5, v9
	v_pk_mul_f16 v88, v88, v15
	v_pk_mul_f16 v89, v89, v15
	;; [unrolled: 1-line block ×6, first 2 shown]
	v_mov_b32_e32 v8, v12
	s_mov_b32 s1, exec_lo
	v_cmpx_gt_i32_e64 s30, v70
	s_cbranch_execnz .LBB21_42
.LBB21_40:
	s_endpgm
.LBB21_41:
	v_mov_b32_e32 v12, v8
	v_mov_b32_e32 v11, v7
	v_mov_b32_e32 v10, v6
	v_mov_b32_e32 v9, v5
	s_mov_b32 s1, exec_lo
	v_cmpx_gt_i32_e64 s30, v70
	s_cbranch_execz .LBB21_40
.LBB21_42:
	s_load_dword s1, s[4:5], 0xd4
	v_mov_b32_e32 v14, 1.0
	s_waitcnt lgkmcnt(0)
	s_cmp_lg_u32 s1, 1
	s_cselect_b32 s2, -1, 0
	s_cmp_eq_u32 s1, 1
	s_cselect_b32 s3, -1, 0
	s_and_b32 vcc_lo, exec_lo, s2
	s_cbranch_vccnz .LBB21_44
; %bb.43:
	v_div_scale_f32 v13, null, v5, v5, 1.0
	v_rcp_f32_e32 v14, v13
	v_fma_f32 v15, -v13, v14, 1.0
	v_fmac_f32_e32 v14, v15, v14
	v_div_scale_f32 v15, vcc_lo, 1.0, v5, 1.0
	v_mul_f32_e32 v16, v15, v14
	v_fma_f32 v17, -v13, v16, v15
	v_fmac_f32_e32 v16, v17, v14
	v_fma_f32 v13, -v13, v16, v15
	v_div_fmas_f32 v13, v13, v14, v16
	v_div_fixup_f32 v14, v13, v5, 1.0
.LBB21_44:
	v_mad_u64_u32 v[15:16], null, s33, s30, v[70:71]
	v_mad_u64_u32 v[15:16], null, v15, s31, s[18:19]
	v_mul_lo_u32 v15, s1, v15
	v_add_nc_u32_e32 v13, s7, v15
	s_and_saveexec_b32 s4, s0
	s_cbranch_execz .LBB21_46
; %bb.45:
	v_mad_u64_u32 v[16:17], null, 0x70, v13, v[69:70]
	v_mov_b32_e32 v17, 0
	v_cvt_f32_f16_sdwa v5, v98 dst_sel:DWORD dst_unused:UNUSED_PAD src0_sel:WORD_1
	v_cvt_f32_f16_e32 v18, v98
	v_cvt_f32_f16_sdwa v22, v93 dst_sel:DWORD dst_unused:UNUSED_PAD src0_sel:WORD_1
	v_mul_f32_e32 v19, v14, v5
	v_lshlrev_b64 v[20:21], 2, v[16:17]
	v_cvt_f32_f16_e32 v16, v93
	v_mul_f32_e32 v18, v14, v18
	v_mul_f32_e32 v17, v14, v22
	;; [unrolled: 1-line block ×3, first 2 shown]
	v_add_co_u32 v20, vcc_lo, s24, v20
	v_add_co_ci_u32_e64 v21, null, s25, v21, vcc_lo
	global_store_dwordx4 v[20:21], v[16:19], off
.LBB21_46:
	s_or_b32 exec_lo, exec_lo, s4
	v_cmp_eq_u32_e32 vcc_lo, 0, v0
	s_and_b32 s2, vcc_lo, s2
	s_and_saveexec_b32 s4, s2
	s_cbranch_execz .LBB21_48
; %bb.47:
	v_ashrrev_i32_e32 v14, 31, v13
	v_mov_b32_e32 v0, v1
	v_mov_b32_e32 v1, v9
	v_lshlrev_b64 v[13:14], 3, v[13:14]
	v_add_co_u32 v13, vcc_lo, s26, v13
	v_add_co_ci_u32_e64 v14, null, s27, v14, vcc_lo
	global_store_dwordx2 v[13:14], v[0:1], off
.LBB21_48:
	s_or_b32 exec_lo, exec_lo, s4
	v_cndmask_b32_e64 v5, 0, 1, s3
	v_mov_b32_e32 v1, 1.0
	s_andn2_b32 vcc_lo, exec_lo, s3
	s_cbranch_vccz .LBB21_59
; %bb.49:
	v_add_nc_u32_e32 v6, s1, v15
	v_add_nc_u32_e32 v0, s7, v6
	s_and_saveexec_b32 s3, s0
	s_cbranch_execnz .LBB21_60
.LBB21_50:
	s_or_b32 exec_lo, exec_lo, s3
	s_and_saveexec_b32 s3, s2
	s_cbranch_execz .LBB21_52
.LBB21_51:
	v_ashrrev_i32_e32 v1, 31, v0
	v_mov_b32_e32 v9, v2
	v_lshlrev_b64 v[0:1], 3, v[0:1]
	v_add_co_u32 v0, vcc_lo, s26, v0
	v_add_co_ci_u32_e64 v1, null, s27, v1, vcc_lo
	global_store_dwordx2 v[0:1], v[9:10], off
.LBB21_52:
	s_or_b32 exec_lo, exec_lo, s3
	v_cmp_ne_u32_e32 vcc_lo, 1, v5
	v_mov_b32_e32 v1, 1.0
	s_cbranch_vccz .LBB21_61
; %bb.53:
	v_add_nc_u32_e32 v2, s1, v6
	v_add_nc_u32_e32 v0, s7, v2
	s_and_saveexec_b32 s3, s0
	s_cbranch_execnz .LBB21_62
.LBB21_54:
	s_or_b32 exec_lo, exec_lo, s3
	s_and_saveexec_b32 s3, s2
	s_cbranch_execz .LBB21_56
.LBB21_55:
	v_ashrrev_i32_e32 v1, 31, v0
	v_mov_b32_e32 v10, v3
	v_lshlrev_b64 v[0:1], 3, v[0:1]
	v_add_co_u32 v0, vcc_lo, s26, v0
	v_add_co_ci_u32_e64 v1, null, s27, v1, vcc_lo
	global_store_dwordx2 v[0:1], v[10:11], off
.LBB21_56:
	s_or_b32 exec_lo, exec_lo, s3
	v_cmp_ne_u32_e32 vcc_lo, 1, v5
	v_mov_b32_e32 v1, 1.0
	s_cbranch_vccz .LBB21_63
; %bb.57:
	v_add3_u32 v0, s7, s1, v2
	s_and_saveexec_b32 s1, s0
	s_cbranch_execnz .LBB21_64
.LBB21_58:
	s_or_b32 exec_lo, exec_lo, s1
	s_and_b32 exec_lo, exec_lo, s2
	s_cbranch_execz .LBB21_40
	s_branch .LBB21_65
.LBB21_59:
	v_div_scale_f32 v0, null, v6, v6, 1.0
	v_rcp_f32_e32 v1, v0
	v_fma_f32 v9, -v0, v1, 1.0
	v_fmac_f32_e32 v1, v9, v1
	v_div_scale_f32 v9, vcc_lo, 1.0, v6, 1.0
	v_mul_f32_e32 v13, v9, v1
	v_fma_f32 v14, -v0, v13, v9
	v_fmac_f32_e32 v13, v14, v1
	v_fma_f32 v0, -v0, v13, v9
	v_div_fmas_f32 v0, v0, v1, v13
	v_div_fixup_f32 v1, v0, v6, 1.0
	v_add_nc_u32_e32 v6, s1, v15
	v_add_nc_u32_e32 v0, s7, v6
	s_and_saveexec_b32 s3, s0
	s_cbranch_execz .LBB21_50
.LBB21_60:
	v_mad_u64_u32 v[13:14], null, 0x70, v0, v[69:70]
	v_mov_b32_e32 v14, 0
	v_cvt_f32_f16_sdwa v9, v92 dst_sel:DWORD dst_unused:UNUSED_PAD src0_sel:WORD_1
	v_cvt_f32_f16_e32 v15, v92
	v_cvt_f32_f16_sdwa v19, v91 dst_sel:DWORD dst_unused:UNUSED_PAD src0_sel:WORD_1
	v_mul_f32_e32 v16, v1, v9
	v_lshlrev_b64 v[17:18], 2, v[13:14]
	v_cvt_f32_f16_e32 v13, v91
	v_mul_f32_e32 v15, v1, v15
	v_mul_f32_e32 v14, v1, v19
	;; [unrolled: 1-line block ×3, first 2 shown]
	v_add_co_u32 v17, vcc_lo, s24, v17
	v_add_co_ci_u32_e64 v18, null, s25, v18, vcc_lo
	global_store_dwordx4 v[17:18], v[13:16], off
	s_or_b32 exec_lo, exec_lo, s3
	s_and_saveexec_b32 s3, s2
	s_cbranch_execnz .LBB21_51
	s_branch .LBB21_52
.LBB21_61:
	v_div_scale_f32 v0, null, v7, v7, 1.0
	v_rcp_f32_e32 v1, v0
	v_fma_f32 v2, -v0, v1, 1.0
	v_fmac_f32_e32 v1, v2, v1
	v_div_scale_f32 v2, vcc_lo, 1.0, v7, 1.0
	v_mul_f32_e32 v9, v2, v1
	v_fma_f32 v10, -v0, v9, v2
	v_fmac_f32_e32 v9, v10, v1
	v_fma_f32 v0, -v0, v9, v2
	v_div_fmas_f32 v0, v0, v1, v9
	v_div_fixup_f32 v1, v0, v7, 1.0
	v_add_nc_u32_e32 v2, s1, v6
	v_add_nc_u32_e32 v0, s7, v2
	s_and_saveexec_b32 s3, s0
	s_cbranch_execz .LBB21_54
.LBB21_62:
	v_mad_u64_u32 v[6:7], null, 0x70, v0, v[69:70]
	v_mov_b32_e32 v7, 0
	v_cvt_f32_f16_sdwa v9, v89 dst_sel:DWORD dst_unused:UNUSED_PAD src0_sel:WORD_1
	v_cvt_f32_f16_e32 v10, v89
	v_cvt_f32_f16_sdwa v13, v88 dst_sel:DWORD dst_unused:UNUSED_PAD src0_sel:WORD_1
	v_cvt_f32_f16_e32 v17, v88
	v_mul_f32_e32 v16, v1, v9
	v_lshlrev_b64 v[6:7], 2, v[6:7]
	v_mul_f32_e32 v15, v1, v10
	v_mul_f32_e32 v14, v1, v13
	;; [unrolled: 1-line block ×3, first 2 shown]
	v_add_co_u32 v6, vcc_lo, s24, v6
	v_add_co_ci_u32_e64 v7, null, s25, v7, vcc_lo
	global_store_dwordx4 v[6:7], v[13:16], off
	s_or_b32 exec_lo, exec_lo, s3
	s_and_saveexec_b32 s3, s2
	s_cbranch_execnz .LBB21_55
	s_branch .LBB21_56
.LBB21_63:
	v_div_scale_f32 v0, null, v8, v8, 1.0
	v_rcp_f32_e32 v1, v0
	v_fma_f32 v3, -v0, v1, 1.0
	v_fmac_f32_e32 v1, v3, v1
	v_div_scale_f32 v3, vcc_lo, 1.0, v8, 1.0
	v_mul_f32_e32 v5, v3, v1
	v_fma_f32 v6, -v0, v5, v3
	v_fmac_f32_e32 v5, v6, v1
	v_fma_f32 v0, -v0, v5, v3
	v_div_fmas_f32 v0, v0, v1, v5
	v_div_fixup_f32 v1, v0, v8, 1.0
	v_add3_u32 v0, s7, s1, v2
	s_and_saveexec_b32 s1, s0
	s_cbranch_execz .LBB21_58
.LBB21_64:
	v_mad_u64_u32 v[2:3], null, 0x70, v0, v[69:70]
	v_mov_b32_e32 v3, 0
	v_cvt_f32_f16_sdwa v5, v85 dst_sel:DWORD dst_unused:UNUSED_PAD src0_sel:WORD_1
	v_cvt_f32_f16_e32 v6, v85
	v_cvt_f32_f16_sdwa v9, v86 dst_sel:DWORD dst_unused:UNUSED_PAD src0_sel:WORD_1
	v_cvt_f32_f16_e32 v10, v86
	v_mul_f32_e32 v8, v1, v5
	v_lshlrev_b64 v[2:3], 2, v[2:3]
	v_mul_f32_e32 v7, v1, v6
	v_mul_f32_e32 v6, v1, v9
	;; [unrolled: 1-line block ×3, first 2 shown]
	v_add_co_u32 v2, vcc_lo, s24, v2
	v_add_co_ci_u32_e64 v3, null, s25, v3, vcc_lo
	global_store_dwordx4 v[2:3], v[5:8], off
	s_or_b32 exec_lo, exec_lo, s1
	s_and_b32 exec_lo, exec_lo, s2
	s_cbranch_execz .LBB21_40
.LBB21_65:
	v_ashrrev_i32_e32 v1, 31, v0
	v_mov_b32_e32 v11, v4
	v_lshlrev_b64 v[0:1], 3, v[0:1]
	v_add_co_u32 v0, vcc_lo, s26, v0
	v_add_co_ci_u32_e64 v1, null, s27, v1, vcc_lo
	global_store_dwordx2 v[0:1], v[11:12], off
	s_endpgm
	.section	.rodata,"a",@progbits
	.p2align	6, 0x0
	.amdhsa_kernel _ZL15flash_attn_tileILi112ELi112ELi8ELi4ELb0EEvPKcS1_S1_S1_S1_PKiPfP15HIP_vector_typeIfLj2EEffffjfiS5_IjLj3EEiiiiiiiiiiiliiliiiiil
		.amdhsa_group_segment_fixed_size 13376
		.amdhsa_private_segment_fixed_size 0
		.amdhsa_kernarg_size 464
		.amdhsa_user_sgpr_count 6
		.amdhsa_user_sgpr_private_segment_buffer 1
		.amdhsa_user_sgpr_dispatch_ptr 0
		.amdhsa_user_sgpr_queue_ptr 0
		.amdhsa_user_sgpr_kernarg_segment_ptr 1
		.amdhsa_user_sgpr_dispatch_id 0
		.amdhsa_user_sgpr_flat_scratch_init 0
		.amdhsa_user_sgpr_private_segment_size 0
		.amdhsa_wavefront_size32 1
		.amdhsa_uses_dynamic_stack 0
		.amdhsa_system_sgpr_private_segment_wavefront_offset 0
		.amdhsa_system_sgpr_workgroup_id_x 1
		.amdhsa_system_sgpr_workgroup_id_y 1
		.amdhsa_system_sgpr_workgroup_id_z 1
		.amdhsa_system_sgpr_workgroup_info 0
		.amdhsa_system_vgpr_workitem_id 1
		.amdhsa_next_free_vgpr 160
		.amdhsa_next_free_sgpr 44
		.amdhsa_reserve_vcc 1
		.amdhsa_reserve_flat_scratch 0
		.amdhsa_float_round_mode_32 0
		.amdhsa_float_round_mode_16_64 0
		.amdhsa_float_denorm_mode_32 3
		.amdhsa_float_denorm_mode_16_64 3
		.amdhsa_dx10_clamp 1
		.amdhsa_ieee_mode 1
		.amdhsa_fp16_overflow 0
		.amdhsa_workgroup_processor_mode 1
		.amdhsa_memory_ordered 1
		.amdhsa_forward_progress 1
		.amdhsa_shared_vgpr_count 0
		.amdhsa_exception_fp_ieee_invalid_op 0
		.amdhsa_exception_fp_denorm_src 0
		.amdhsa_exception_fp_ieee_div_zero 0
		.amdhsa_exception_fp_ieee_overflow 0
		.amdhsa_exception_fp_ieee_underflow 0
		.amdhsa_exception_fp_ieee_inexact 0
		.amdhsa_exception_int_div_zero 0
	.end_amdhsa_kernel
	.section	.text._ZL15flash_attn_tileILi112ELi112ELi8ELi4ELb0EEvPKcS1_S1_S1_S1_PKiPfP15HIP_vector_typeIfLj2EEffffjfiS5_IjLj3EEiiiiiiiiiiiliiliiiiil,"axG",@progbits,_ZL15flash_attn_tileILi112ELi112ELi8ELi4ELb0EEvPKcS1_S1_S1_S1_PKiPfP15HIP_vector_typeIfLj2EEffffjfiS5_IjLj3EEiiiiiiiiiiiliiliiiiil,comdat
.Lfunc_end21:
	.size	_ZL15flash_attn_tileILi112ELi112ELi8ELi4ELb0EEvPKcS1_S1_S1_S1_PKiPfP15HIP_vector_typeIfLj2EEffffjfiS5_IjLj3EEiiiiiiiiiiiliiliiiiil, .Lfunc_end21-_ZL15flash_attn_tileILi112ELi112ELi8ELi4ELb0EEvPKcS1_S1_S1_S1_PKiPfP15HIP_vector_typeIfLj2EEffffjfiS5_IjLj3EEiiiiiiiiiiiliiliiiiil
                                        ; -- End function
	.set _ZL15flash_attn_tileILi112ELi112ELi8ELi4ELb0EEvPKcS1_S1_S1_S1_PKiPfP15HIP_vector_typeIfLj2EEffffjfiS5_IjLj3EEiiiiiiiiiiiliiliiiiil.num_vgpr, 160
	.set _ZL15flash_attn_tileILi112ELi112ELi8ELi4ELb0EEvPKcS1_S1_S1_S1_PKiPfP15HIP_vector_typeIfLj2EEffffjfiS5_IjLj3EEiiiiiiiiiiiliiliiiiil.num_agpr, 0
	.set _ZL15flash_attn_tileILi112ELi112ELi8ELi4ELb0EEvPKcS1_S1_S1_S1_PKiPfP15HIP_vector_typeIfLj2EEffffjfiS5_IjLj3EEiiiiiiiiiiiliiliiiiil.numbered_sgpr, 44
	.set _ZL15flash_attn_tileILi112ELi112ELi8ELi4ELb0EEvPKcS1_S1_S1_S1_PKiPfP15HIP_vector_typeIfLj2EEffffjfiS5_IjLj3EEiiiiiiiiiiiliiliiiiil.num_named_barrier, 0
	.set _ZL15flash_attn_tileILi112ELi112ELi8ELi4ELb0EEvPKcS1_S1_S1_S1_PKiPfP15HIP_vector_typeIfLj2EEffffjfiS5_IjLj3EEiiiiiiiiiiiliiliiiiil.private_seg_size, 0
	.set _ZL15flash_attn_tileILi112ELi112ELi8ELi4ELb0EEvPKcS1_S1_S1_S1_PKiPfP15HIP_vector_typeIfLj2EEffffjfiS5_IjLj3EEiiiiiiiiiiiliiliiiiil.uses_vcc, 1
	.set _ZL15flash_attn_tileILi112ELi112ELi8ELi4ELb0EEvPKcS1_S1_S1_S1_PKiPfP15HIP_vector_typeIfLj2EEffffjfiS5_IjLj3EEiiiiiiiiiiiliiliiiiil.uses_flat_scratch, 0
	.set _ZL15flash_attn_tileILi112ELi112ELi8ELi4ELb0EEvPKcS1_S1_S1_S1_PKiPfP15HIP_vector_typeIfLj2EEffffjfiS5_IjLj3EEiiiiiiiiiiiliiliiiiil.has_dyn_sized_stack, 0
	.set _ZL15flash_attn_tileILi112ELi112ELi8ELi4ELb0EEvPKcS1_S1_S1_S1_PKiPfP15HIP_vector_typeIfLj2EEffffjfiS5_IjLj3EEiiiiiiiiiiiliiliiiiil.has_recursion, 0
	.set _ZL15flash_attn_tileILi112ELi112ELi8ELi4ELb0EEvPKcS1_S1_S1_S1_PKiPfP15HIP_vector_typeIfLj2EEffffjfiS5_IjLj3EEiiiiiiiiiiiliiliiiiil.has_indirect_call, 0
	.section	.AMDGPU.csdata,"",@progbits
; Kernel info:
; codeLenInByte = 16020
; TotalNumSgprs: 46
; NumVgprs: 160
; ScratchSize: 0
; MemoryBound: 0
; FloatMode: 240
; IeeeMode: 1
; LDSByteSize: 13376 bytes/workgroup (compile time only)
; SGPRBlocks: 0
; VGPRBlocks: 19
; NumSGPRsForWavesPerEU: 46
; NumVGPRsForWavesPerEU: 160
; Occupancy: 6
; WaveLimiterHint : 1
; COMPUTE_PGM_RSRC2:SCRATCH_EN: 0
; COMPUTE_PGM_RSRC2:USER_SGPR: 6
; COMPUTE_PGM_RSRC2:TRAP_HANDLER: 0
; COMPUTE_PGM_RSRC2:TGID_X_EN: 1
; COMPUTE_PGM_RSRC2:TGID_Y_EN: 1
; COMPUTE_PGM_RSRC2:TGID_Z_EN: 1
; COMPUTE_PGM_RSRC2:TIDIG_COMP_CNT: 1
	.section	.text._ZL33flash_attn_stream_k_fixup_uniformILi112ELi8ELi4EEvPfPK15HIP_vector_typeIfLj2EEiiiiiiS1_IjLj3EES5_S5_,"axG",@progbits,_ZL33flash_attn_stream_k_fixup_uniformILi112ELi8ELi4EEvPfPK15HIP_vector_typeIfLj2EEiiiiiiS1_IjLj3EES5_S5_,comdat
	.globl	_ZL33flash_attn_stream_k_fixup_uniformILi112ELi8ELi4EEvPfPK15HIP_vector_typeIfLj2EEiiiiiiS1_IjLj3EES5_S5_ ; -- Begin function _ZL33flash_attn_stream_k_fixup_uniformILi112ELi8ELi4EEvPfPK15HIP_vector_typeIfLj2EEiiiiiiS1_IjLj3EES5_S5_
	.p2align	8
	.type	_ZL33flash_attn_stream_k_fixup_uniformILi112ELi8ELi4EEvPfPK15HIP_vector_typeIfLj2EEiiiiiiS1_IjLj3EES5_S5_,@function
_ZL33flash_attn_stream_k_fixup_uniformILi112ELi8ELi4EEvPfPK15HIP_vector_typeIfLj2EEiiiiiiS1_IjLj3EES5_S5_: ; @_ZL33flash_attn_stream_k_fixup_uniformILi112ELi8ELi4EEvPfPK15HIP_vector_typeIfLj2EEiiiiiiS1_IjLj3EES5_S5_
; %bb.0:
	s_clause 0x2
	s_load_dwordx8 s[12:19], s[4:5], 0x1c
	s_load_dwordx4 s[20:23], s[4:5], 0x3c
	s_load_dwordx2 s[10:11], s[4:5], 0x10
	s_waitcnt lgkmcnt(0)
	s_mul_hi_u32 s0, s15, s6
	s_add_i32 s0, s6, s0
	s_lshr_b32 s0, s0, s16
	s_mul_i32 s1, s0, s17
	s_sub_i32 s1, s6, s1
	s_mul_hi_u32 s2, s1, s18
	s_add_i32 s2, s1, s2
	s_lshr_b32 s9, s2, s19
	s_mul_i32 s2, s9, s20
	s_sub_i32 s1, s1, s2
	s_mul_hi_u32 s2, s1, s21
	s_add_i32 s2, s1, s2
	s_lshr_b32 s2, s2, s22
	s_mul_i32 s3, s2, s23
	s_lshl_b32 s16, s2, 2
	s_sub_i32 s15, s1, s3
	s_lshl_b32 s1, s15, 3
	s_add_i32 s1, s1, s7
	s_cmp_lt_i32 s1, s10
	s_cselect_b32 s1, -1, 0
	s_add_i32 s16, s16, s8
	s_cmp_lt_i32 s16, s13
	s_cselect_b32 s2, -1, 0
	s_and_b32 s1, s1, s2
	s_andn2_b32 vcc_lo, exec_lo, s1
	s_cbranch_vccnz .LBB22_6
; %bb.1:
	s_mul_i32 s10, s0, s10
	s_load_dwordx4 s[0:3], s[4:5], 0x0
	s_add_i32 s4, s10, s7
	s_mul_i32 s9, s9, s13
	s_mul_i32 s4, s4, s11
	s_add_i32 s5, s16, s9
	s_mul_i32 s9, s11, s15
	s_add_i32 s4, s5, s4
	s_mulk_i32 s9, 0x380
	s_mulk_i32 s4, 0x70
	s_lshl_b32 s10, s7, 2
	v_add3_u32 v1, s4, s9, v0
	s_mul_i32 s4, s14, s6
	s_add_i32 s11, s4, s14
	v_ashrrev_i32_e32 v2, 31, v1
	v_lshlrev_b64 v[1:2], 2, v[1:2]
	s_waitcnt lgkmcnt(0)
	v_add_co_u32 v1, vcc_lo, s0, v1
	v_add_co_ci_u32_e64 v2, null, s1, v2, vcc_lo
	s_add_i32 s0, s10, s8
	s_lshl_b32 s1, s11, 5
	global_load_dword v5, v[1:2], off
	s_add_i32 s0, s0, s1
	s_sub_i32 s0, s0, 32
	s_ashr_i32 s1, s0, 31
	s_lshl_b64 s[0:1], s[0:1], 3
	s_add_u32 s0, s2, s0
	s_addc_u32 s1, s3, s1
	s_add_i32 s5, s11, -2
	s_load_dword s13, s[0:1], 0x4
	s_cmp_lt_i32 s5, s4
	s_cbranch_scc1 .LBB22_4
; %bb.2:
	s_load_dword s15, s[0:1], 0x0
	s_lshl_b32 s16, s12, 7
	s_mulk_i32 s7, 0x1c0
	s_ashr_i32 s17, s16, 31
	s_waitcnt lgkmcnt(0)
	v_mov_b32_e32 v6, s13
	s_lshl_b64 s[0:1], s[16:17], 2
	s_add_u32 s5, s2, s0
	s_addc_u32 s9, s3, s1
	s_add_i32 s6, s6, 1
	s_mul_i32 s0, s14, s6
	s_mul_i32 s6, s8, 0x70
	s_lshl_b32 s1, s0, 5
	s_mulk_i32 s0, 0xe00
	s_add_i32 s6, s6, s7
	s_add_i32 s1, s8, s1
	s_lshl_b32 s7, s12, 5
	s_add_i32 s6, s6, s0
	s_add_i32 s0, s1, s7
	v_add3_u32 v3, s6, v0, 0xffffe400
	v_mov_b32_e32 v0, s15
	s_add_i32 s0, s0, s10
	s_add_i32 s6, s11, -1
	s_sub_i32 s0, s0, 64
.LBB22_3:                               ; =>This Inner Loop Header: Depth=1
	v_ashrrev_i32_e32 v4, 31, v3
	s_ashr_i32 s1, s0, 31
	s_lshl_b64 s[10:11], s[0:1], 3
	s_add_u32 s10, s2, s10
	v_lshlrev_b64 v[7:8], 2, v[3:4]
	s_addc_u32 s11, s3, s11
	v_add_nc_u32_e32 v3, 0xfffff200, v3
	s_add_i32 s6, s6, -1
	s_sub_i32 s0, s0, 32
	s_cmp_le_i32 s6, s4
	v_add_co_u32 v7, vcc_lo, s5, v7
	v_add_co_ci_u32_e64 v8, null, s9, v8, vcc_lo
	s_load_dwordx2 s[10:11], s[10:11], 0x0
	global_load_dword v4, v[7:8], off
	v_max_f32_e32 v7, v0, v0
	s_waitcnt lgkmcnt(0)
	v_max_f32_e64 v8, s10, s10
	v_max_f32_e32 v7, v7, v8
	v_sub_f32_e32 v8, s10, v7
	v_sub_f32_e32 v0, v0, v7
	v_mul_f32_e32 v9, 0x3fb8aa3b, v8
	v_mul_f32_e32 v12, 0x3fb8aa3b, v0
	v_cmp_ngt_f32_e32 vcc_lo, 0xc2ce8ed0, v8
	v_fma_f32 v10, 0x3fb8aa3b, v8, -v9
	v_rndne_f32_e32 v11, v9
	v_fma_f32 v13, 0x3fb8aa3b, v0, -v12
	v_rndne_f32_e32 v14, v12
	v_fmac_f32_e32 v10, 0x32a5705f, v8
	v_sub_f32_e32 v9, v9, v11
	v_fmac_f32_e32 v13, 0x32a5705f, v0
	v_cvt_i32_f32_e32 v11, v11
	v_add_f32_e32 v9, v9, v10
	v_sub_f32_e32 v10, v12, v14
	v_exp_f32_e32 v9, v9
	v_add_f32_e32 v10, v10, v13
	v_exp_f32_e32 v10, v10
	v_ldexp_f32 v9, v9, v11
	v_cvt_i32_f32_e32 v11, v14
	v_cndmask_b32_e32 v9, 0, v9, vcc_lo
	v_cmp_nlt_f32_e32 vcc_lo, 0x42b17218, v8
	v_ldexp_f32 v10, v10, v11
	v_mov_b32_e32 v11, v6
	v_cndmask_b32_e32 v9, 0x7f800000, v9, vcc_lo
	v_cmp_ngt_f32_e32 vcc_lo, 0xc2ce8ed0, v0
	v_cndmask_b32_e32 v10, 0, v10, vcc_lo
	v_cmp_le_f32_e32 vcc_lo, 0xc1a00000, v8
	v_cndmask_b32_e32 v8, 0, v9, vcc_lo
	v_cmp_nlt_f32_e32 vcc_lo, 0x42b17218, v0
	s_waitcnt vmcnt(1)
	v_mov_b32_e32 v9, v5
	v_cndmask_b32_e32 v5, 0x7f800000, v10, vcc_lo
	v_mul_f32_e32 v10, s11, v8
	v_cmp_le_f32_e32 vcc_lo, 0xc1a00000, v0
	v_mov_b32_e32 v0, v7
	v_mov_b32_e32 v6, v10
	v_cndmask_b32_e32 v12, 0, v5, vcc_lo
	v_fmac_f32_e32 v6, v11, v12
	s_waitcnt vmcnt(0)
	v_mul_f32_e32 v5, v4, v8
	v_fmac_f32_e32 v5, v9, v12
	s_cbranch_scc0 .LBB22_3
	s_branch .LBB22_5
.LBB22_4:
	s_waitcnt lgkmcnt(0)
	v_mov_b32_e32 v6, s13
.LBB22_5:
	s_waitcnt vmcnt(0)
	v_div_scale_f32 v0, null, v6, v6, v5
	v_rcp_f32_e32 v3, v0
	v_fma_f32 v4, -v0, v3, 1.0
	v_fmac_f32_e32 v3, v4, v3
	v_div_scale_f32 v4, vcc_lo, v5, v6, v5
	v_mul_f32_e32 v7, v4, v3
	v_fma_f32 v8, -v0, v7, v4
	v_fmac_f32_e32 v7, v8, v3
	v_fma_f32 v0, -v0, v7, v4
	v_div_fmas_f32 v0, v0, v3, v7
	v_div_fixup_f32 v0, v0, v6, v5
	global_store_dword v[1:2], v0, off
.LBB22_6:
	s_endpgm
	.section	.rodata,"a",@progbits
	.p2align	6, 0x0
	.amdhsa_kernel _ZL33flash_attn_stream_k_fixup_uniformILi112ELi8ELi4EEvPfPK15HIP_vector_typeIfLj2EEiiiiiiS1_IjLj3EES5_S5_
		.amdhsa_group_segment_fixed_size 0
		.amdhsa_private_segment_fixed_size 0
		.amdhsa_kernarg_size 76
		.amdhsa_user_sgpr_count 6
		.amdhsa_user_sgpr_private_segment_buffer 1
		.amdhsa_user_sgpr_dispatch_ptr 0
		.amdhsa_user_sgpr_queue_ptr 0
		.amdhsa_user_sgpr_kernarg_segment_ptr 1
		.amdhsa_user_sgpr_dispatch_id 0
		.amdhsa_user_sgpr_flat_scratch_init 0
		.amdhsa_user_sgpr_private_segment_size 0
		.amdhsa_wavefront_size32 1
		.amdhsa_uses_dynamic_stack 0
		.amdhsa_system_sgpr_private_segment_wavefront_offset 0
		.amdhsa_system_sgpr_workgroup_id_x 1
		.amdhsa_system_sgpr_workgroup_id_y 1
		.amdhsa_system_sgpr_workgroup_id_z 1
		.amdhsa_system_sgpr_workgroup_info 0
		.amdhsa_system_vgpr_workitem_id 0
		.amdhsa_next_free_vgpr 15
		.amdhsa_next_free_sgpr 24
		.amdhsa_reserve_vcc 1
		.amdhsa_reserve_flat_scratch 0
		.amdhsa_float_round_mode_32 0
		.amdhsa_float_round_mode_16_64 0
		.amdhsa_float_denorm_mode_32 3
		.amdhsa_float_denorm_mode_16_64 3
		.amdhsa_dx10_clamp 1
		.amdhsa_ieee_mode 1
		.amdhsa_fp16_overflow 0
		.amdhsa_workgroup_processor_mode 1
		.amdhsa_memory_ordered 1
		.amdhsa_forward_progress 1
		.amdhsa_shared_vgpr_count 0
		.amdhsa_exception_fp_ieee_invalid_op 0
		.amdhsa_exception_fp_denorm_src 0
		.amdhsa_exception_fp_ieee_div_zero 0
		.amdhsa_exception_fp_ieee_overflow 0
		.amdhsa_exception_fp_ieee_underflow 0
		.amdhsa_exception_fp_ieee_inexact 0
		.amdhsa_exception_int_div_zero 0
	.end_amdhsa_kernel
	.section	.text._ZL33flash_attn_stream_k_fixup_uniformILi112ELi8ELi4EEvPfPK15HIP_vector_typeIfLj2EEiiiiiiS1_IjLj3EES5_S5_,"axG",@progbits,_ZL33flash_attn_stream_k_fixup_uniformILi112ELi8ELi4EEvPfPK15HIP_vector_typeIfLj2EEiiiiiiS1_IjLj3EES5_S5_,comdat
.Lfunc_end22:
	.size	_ZL33flash_attn_stream_k_fixup_uniformILi112ELi8ELi4EEvPfPK15HIP_vector_typeIfLj2EEiiiiiiS1_IjLj3EES5_S5_, .Lfunc_end22-_ZL33flash_attn_stream_k_fixup_uniformILi112ELi8ELi4EEvPfPK15HIP_vector_typeIfLj2EEiiiiiiS1_IjLj3EES5_S5_
                                        ; -- End function
	.set _ZL33flash_attn_stream_k_fixup_uniformILi112ELi8ELi4EEvPfPK15HIP_vector_typeIfLj2EEiiiiiiS1_IjLj3EES5_S5_.num_vgpr, 15
	.set _ZL33flash_attn_stream_k_fixup_uniformILi112ELi8ELi4EEvPfPK15HIP_vector_typeIfLj2EEiiiiiiS1_IjLj3EES5_S5_.num_agpr, 0
	.set _ZL33flash_attn_stream_k_fixup_uniformILi112ELi8ELi4EEvPfPK15HIP_vector_typeIfLj2EEiiiiiiS1_IjLj3EES5_S5_.numbered_sgpr, 24
	.set _ZL33flash_attn_stream_k_fixup_uniformILi112ELi8ELi4EEvPfPK15HIP_vector_typeIfLj2EEiiiiiiS1_IjLj3EES5_S5_.num_named_barrier, 0
	.set _ZL33flash_attn_stream_k_fixup_uniformILi112ELi8ELi4EEvPfPK15HIP_vector_typeIfLj2EEiiiiiiS1_IjLj3EES5_S5_.private_seg_size, 0
	.set _ZL33flash_attn_stream_k_fixup_uniformILi112ELi8ELi4EEvPfPK15HIP_vector_typeIfLj2EEiiiiiiS1_IjLj3EES5_S5_.uses_vcc, 1
	.set _ZL33flash_attn_stream_k_fixup_uniformILi112ELi8ELi4EEvPfPK15HIP_vector_typeIfLj2EEiiiiiiS1_IjLj3EES5_S5_.uses_flat_scratch, 0
	.set _ZL33flash_attn_stream_k_fixup_uniformILi112ELi8ELi4EEvPfPK15HIP_vector_typeIfLj2EEiiiiiiS1_IjLj3EES5_S5_.has_dyn_sized_stack, 0
	.set _ZL33flash_attn_stream_k_fixup_uniformILi112ELi8ELi4EEvPfPK15HIP_vector_typeIfLj2EEiiiiiiS1_IjLj3EES5_S5_.has_recursion, 0
	.set _ZL33flash_attn_stream_k_fixup_uniformILi112ELi8ELi4EEvPfPK15HIP_vector_typeIfLj2EEiiiiiiS1_IjLj3EES5_S5_.has_indirect_call, 0
	.section	.AMDGPU.csdata,"",@progbits
; Kernel info:
; codeLenInByte = 848
; TotalNumSgprs: 26
; NumVgprs: 15
; ScratchSize: 0
; MemoryBound: 0
; FloatMode: 240
; IeeeMode: 1
; LDSByteSize: 0 bytes/workgroup (compile time only)
; SGPRBlocks: 0
; VGPRBlocks: 1
; NumSGPRsForWavesPerEU: 26
; NumVGPRsForWavesPerEU: 15
; Occupancy: 16
; WaveLimiterHint : 0
; COMPUTE_PGM_RSRC2:SCRATCH_EN: 0
; COMPUTE_PGM_RSRC2:USER_SGPR: 6
; COMPUTE_PGM_RSRC2:TRAP_HANDLER: 0
; COMPUTE_PGM_RSRC2:TGID_X_EN: 1
; COMPUTE_PGM_RSRC2:TGID_Y_EN: 1
; COMPUTE_PGM_RSRC2:TGID_Z_EN: 1
; COMPUTE_PGM_RSRC2:TIDIG_COMP_CNT: 0
	.section	.text._ZL33flash_attn_stream_k_fixup_generalILi112ELi8ELi4EEvPfPK15HIP_vector_typeIfLj2EEiiiiS1_IjLj3EES5_S5_S5_,"axG",@progbits,_ZL33flash_attn_stream_k_fixup_generalILi112ELi8ELi4EEvPfPK15HIP_vector_typeIfLj2EEiiiiS1_IjLj3EES5_S5_S5_,comdat
	.globl	_ZL33flash_attn_stream_k_fixup_generalILi112ELi8ELi4EEvPfPK15HIP_vector_typeIfLj2EEiiiiS1_IjLj3EES5_S5_S5_ ; -- Begin function _ZL33flash_attn_stream_k_fixup_generalILi112ELi8ELi4EEvPfPK15HIP_vector_typeIfLj2EEiiiiS1_IjLj3EES5_S5_S5_
	.p2align	8
	.type	_ZL33flash_attn_stream_k_fixup_generalILi112ELi8ELi4EEvPfPK15HIP_vector_typeIfLj2EEiiiiS1_IjLj3EES5_S5_S5_,@function
_ZL33flash_attn_stream_k_fixup_generalILi112ELi8ELi4EEvPfPK15HIP_vector_typeIfLj2EEiiiiS1_IjLj3EES5_S5_S5_: ; @_ZL33flash_attn_stream_k_fixup_generalILi112ELi8ELi4EEvPfPK15HIP_vector_typeIfLj2EEiiiiS1_IjLj3EES5_S5_S5_
; %bb.0:
	s_clause 0x1
	s_load_dwordx4 s[0:3], s[4:5], 0x10
	s_load_dword s9, s[4:5], 0x50
	s_mov_b32 s16, 0
	s_waitcnt lgkmcnt(0)
	s_mul_hi_i32 s17, s3, s6
	s_mul_i32 s18, s3, s6
	s_cmp_lg_u64 s[16:17], 0
	s_cbranch_scc0 .LBB23_21
; %bb.1:
	s_add_u32 s10, s9, 0
	s_addc_u32 s11, 0, 0
	s_xor_b64 s[10:11], s[10:11], 0
	v_cvt_f32_u32_e32 v1, s10
	v_cvt_f32_u32_e32 v2, s11
	s_sub_u32 s14, 0, s10
	s_subb_u32 s15, 0, s11
	v_fmamk_f32 v1, v2, 0x4f800000, v1
	v_rcp_f32_e32 v1, v1
	v_mul_f32_e32 v1, 0x5f7ffffc, v1
	v_mul_f32_e32 v2, 0x2f800000, v1
	v_trunc_f32_e32 v2, v2
	v_fmamk_f32 v1, v2, 0xcf800000, v1
	v_cvt_u32_f32_e32 v2, v2
	v_cvt_u32_f32_e32 v1, v1
	v_readfirstlane_b32 s12, v2
	v_readfirstlane_b32 s13, v1
	s_mul_i32 s19, s14, s12
	s_mul_hi_u32 s21, s14, s13
	s_mul_i32 s20, s15, s13
	s_add_i32 s19, s21, s19
	s_mul_i32 s22, s14, s13
	s_add_i32 s19, s19, s20
	s_mul_hi_u32 s21, s13, s22
	s_mul_i32 s24, s13, s19
	s_mul_hi_u32 s23, s12, s22
	s_mul_i32 s20, s12, s22
	s_mul_hi_u32 s22, s13, s19
	s_add_u32 s21, s21, s24
	s_addc_u32 s22, 0, s22
	s_mul_hi_u32 s25, s12, s19
	s_add_u32 s20, s21, s20
	s_mul_i32 s19, s12, s19
	s_addc_u32 s20, s22, s23
	s_addc_u32 s21, s25, 0
	s_add_u32 s19, s20, s19
	s_addc_u32 s20, 0, s21
	s_add_u32 s13, s13, s19
	s_cselect_b32 s19, -1, 0
	s_mul_hi_u32 s21, s14, s13
	s_cmp_lg_u32 s19, 0
	s_mul_i32 s19, s14, s13
	s_addc_u32 s12, s12, s20
	s_mul_i32 s15, s15, s13
	s_mul_i32 s14, s14, s12
	s_mul_hi_u32 s20, s13, s19
	s_add_i32 s14, s21, s14
	s_mul_hi_u32 s21, s12, s19
	s_add_i32 s14, s14, s15
	s_mul_i32 s15, s12, s19
	s_mul_i32 s23, s13, s14
	s_mul_hi_u32 s22, s13, s14
	s_add_u32 s20, s20, s23
	s_addc_u32 s22, 0, s22
	s_mul_hi_u32 s19, s12, s14
	s_add_u32 s15, s20, s15
	s_mul_i32 s14, s12, s14
	s_addc_u32 s15, s22, s21
	s_addc_u32 s19, s19, 0
	s_add_u32 s14, s15, s14
	s_addc_u32 s15, 0, s19
	s_add_u32 s19, s13, s14
	s_cselect_b32 s13, -1, 0
	s_cmp_lg_u32 s13, 0
	s_addc_u32 s20, s12, s15
	s_ashr_i32 s12, s17, 31
	s_add_u32 s14, s18, s12
	s_mov_b32 s13, s12
	s_addc_u32 s15, s17, s12
	s_xor_b64 s[14:15], s[14:15], s[12:13]
	s_mul_i32 s21, s14, s20
	s_mul_hi_u32 s22, s14, s19
	s_mul_hi_u32 s17, s14, s20
	;; [unrolled: 1-line block ×3, first 2 shown]
	s_mul_i32 s19, s15, s19
	s_add_u32 s21, s22, s21
	s_addc_u32 s17, 0, s17
	s_mul_hi_u32 s23, s15, s20
	s_add_u32 s19, s21, s19
	s_mul_i32 s20, s15, s20
	s_addc_u32 s17, s17, s24
	s_addc_u32 s19, s23, 0
	s_add_u32 s17, s17, s20
	s_addc_u32 s19, 0, s19
	s_mul_hi_u32 s20, s10, s17
	s_mul_i32 s21, s10, s19
	s_mul_i32 s22, s11, s17
	s_add_i32 s20, s20, s21
	s_mul_i32 s21, s10, s17
	s_add_i32 s20, s20, s22
	s_sub_i32 s22, s15, s20
	s_sub_u32 s14, s14, s21
	s_cselect_b32 s21, -1, 0
	s_cmp_lg_u32 s21, 0
	s_subb_u32 s22, s22, s11
	s_sub_u32 s23, s14, s10
	s_cselect_b32 s24, -1, 0
	s_cmp_lg_u32 s24, 0
	s_subb_u32 s22, s22, 0
	s_cmp_ge_u32 s22, s11
	s_cselect_b32 s24, -1, 0
	s_cmp_ge_u32 s23, s10
	s_cselect_b32 s23, -1, 0
	s_cmp_eq_u32 s22, s11
	s_cselect_b32 s22, s23, s24
	s_add_u32 s23, s17, 1
	s_addc_u32 s24, s19, 0
	s_add_u32 s25, s17, 2
	s_addc_u32 s26, s19, 0
	s_cmp_lg_u32 s22, 0
	s_cselect_b32 s22, s25, s23
	s_cselect_b32 s23, s26, s24
	s_cmp_lg_u32 s21, 0
	s_subb_u32 s15, s15, s20
	s_cmp_ge_u32 s15, s11
	s_cselect_b32 s20, -1, 0
	s_cmp_ge_u32 s14, s10
	s_cselect_b32 s10, -1, 0
	s_cmp_eq_u32 s15, s11
	s_cselect_b32 s10, s10, s20
	s_cmp_lg_u32 s10, 0
	s_cselect_b32 s11, s23, s19
	s_cselect_b32 s10, s22, s17
	s_xor_b64 s[12:13], s[12:13], 0
	s_xor_b64 s[10:11], s[10:11], s[12:13]
	s_sub_u32 s10, s10, s12
	s_load_dwordx4 s[12:15], s[4:5], 0x44
	s_andn2_b32 vcc_lo, exec_lo, s16
	s_cbranch_vccnz .LBB23_3
.LBB23_2:
	v_cvt_f32_u32_e32 v1, s9
	s_sub_i32 s11, 0, s9
	v_rcp_iflag_f32_e32 v1, v1
	v_mul_f32_e32 v1, 0x4f7ffffe, v1
	v_cvt_u32_f32_e32 v1, v1
	v_readfirstlane_b32 s10, v1
	s_mul_i32 s11, s11, s10
	s_mul_hi_u32 s11, s10, s11
	s_add_i32 s10, s10, s11
	s_mul_hi_u32 s10, s18, s10
	s_mul_i32 s11, s10, s9
	s_waitcnt lgkmcnt(0)
	s_add_i32 s15, s10, 1
	s_sub_i32 s11, s18, s11
	s_sub_i32 s16, s11, s9
	s_cmp_ge_u32 s11, s9
	s_cselect_b32 s10, s15, s10
	s_cselect_b32 s11, s16, s11
	s_add_i32 s15, s10, 1
	s_cmp_ge_u32 s11, s9
	s_cselect_b32 s10, s15, s10
.LBB23_3:
	s_add_i32 s11, s6, 1
	s_mov_b32 s16, 0
	s_mul_hi_i32 s17, s3, s11
	s_mul_i32 s11, s3, s11
	s_cmp_lg_u64 s[16:17], 0
	s_cbranch_scc0 .LBB23_22
; %bb.4:
	s_add_u32 s18, s9, 0
	s_addc_u32 s19, 0, 0
	s_xor_b64 s[18:19], s[18:19], 0
	v_cvt_f32_u32_e32 v1, s18
	v_cvt_f32_u32_e32 v2, s19
	s_sub_u32 s21, 0, s18
	s_subb_u32 s22, 0, s19
	v_fmamk_f32 v1, v2, 0x4f800000, v1
	v_rcp_f32_e32 v1, v1
	v_mul_f32_e32 v1, 0x5f7ffffc, v1
	v_mul_f32_e32 v2, 0x2f800000, v1
	v_trunc_f32_e32 v2, v2
	v_fmamk_f32 v1, v2, 0xcf800000, v1
	v_cvt_u32_f32_e32 v2, v2
	v_cvt_u32_f32_e32 v1, v1
	s_waitcnt lgkmcnt(0)
	v_readfirstlane_b32 s15, v2
	v_readfirstlane_b32 s20, v1
	s_mul_i32 s23, s21, s15
	s_mul_hi_u32 s25, s21, s20
	s_mul_i32 s24, s22, s20
	s_add_i32 s23, s25, s23
	s_mul_i32 s26, s21, s20
	s_add_i32 s23, s23, s24
	s_mul_hi_u32 s25, s20, s26
	s_mul_i32 s28, s20, s23
	s_mul_hi_u32 s27, s15, s26
	s_mul_i32 s24, s15, s26
	s_mul_hi_u32 s26, s20, s23
	s_add_u32 s25, s25, s28
	s_addc_u32 s26, 0, s26
	s_mul_hi_u32 s29, s15, s23
	s_add_u32 s24, s25, s24
	s_mul_i32 s23, s15, s23
	s_addc_u32 s24, s26, s27
	s_addc_u32 s25, s29, 0
	s_add_u32 s23, s24, s23
	s_addc_u32 s24, 0, s25
	s_add_u32 s20, s20, s23
	s_cselect_b32 s23, -1, 0
	s_mul_hi_u32 s25, s21, s20
	s_cmp_lg_u32 s23, 0
	s_mul_i32 s23, s21, s20
	s_addc_u32 s15, s15, s24
	s_mul_i32 s22, s22, s20
	s_mul_i32 s21, s21, s15
	s_mul_hi_u32 s24, s20, s23
	s_add_i32 s21, s25, s21
	s_mul_hi_u32 s25, s15, s23
	s_add_i32 s21, s21, s22
	s_mul_i32 s22, s15, s23
	s_mul_i32 s27, s20, s21
	s_mul_hi_u32 s26, s20, s21
	s_add_u32 s24, s24, s27
	s_addc_u32 s26, 0, s26
	s_mul_hi_u32 s23, s15, s21
	s_add_u32 s22, s24, s22
	s_mul_i32 s21, s15, s21
	s_addc_u32 s22, s26, s25
	s_addc_u32 s23, s23, 0
	s_add_u32 s21, s22, s21
	s_addc_u32 s22, 0, s23
	s_add_u32 s24, s20, s21
	s_cselect_b32 s20, -1, 0
	s_cmp_lg_u32 s20, 0
	s_addc_u32 s15, s15, s22
	s_ashr_i32 s20, s17, 31
	s_add_u32 s22, s11, s20
	s_mov_b32 s21, s20
	s_addc_u32 s23, s17, s20
	s_xor_b64 s[22:23], s[22:23], s[20:21]
	s_mul_i32 s25, s22, s15
	s_mul_hi_u32 s26, s22, s24
	s_mul_hi_u32 s17, s22, s15
	;; [unrolled: 1-line block ×3, first 2 shown]
	s_mul_i32 s24, s23, s24
	s_add_u32 s25, s26, s25
	s_addc_u32 s17, 0, s17
	s_mul_hi_u32 s27, s23, s15
	s_add_u32 s24, s25, s24
	s_mul_i32 s15, s23, s15
	s_addc_u32 s17, s17, s28
	s_addc_u32 s24, s27, 0
	s_add_u32 s15, s17, s15
	s_addc_u32 s17, 0, s24
	s_mul_hi_u32 s24, s18, s15
	s_mul_i32 s25, s18, s17
	s_mul_i32 s26, s19, s15
	s_add_i32 s24, s24, s25
	s_mul_i32 s25, s18, s15
	s_add_i32 s24, s24, s26
	s_sub_i32 s26, s23, s24
	s_sub_u32 s22, s22, s25
	s_cselect_b32 s25, -1, 0
	s_cmp_lg_u32 s25, 0
	s_subb_u32 s26, s26, s19
	s_sub_u32 s27, s22, s18
	s_cselect_b32 s28, -1, 0
	s_cmp_lg_u32 s28, 0
	s_subb_u32 s26, s26, 0
	s_cmp_ge_u32 s26, s19
	s_cselect_b32 s28, -1, 0
	s_cmp_ge_u32 s27, s18
	s_cselect_b32 s27, -1, 0
	s_cmp_eq_u32 s26, s19
	s_cselect_b32 s26, s27, s28
	s_add_u32 s27, s15, 1
	s_addc_u32 s28, s17, 0
	s_add_u32 s29, s15, 2
	s_addc_u32 s30, s17, 0
	s_cmp_lg_u32 s26, 0
	s_cselect_b32 s26, s29, s27
	s_cselect_b32 s27, s30, s28
	s_cmp_lg_u32 s25, 0
	s_subb_u32 s23, s23, s24
	s_cmp_ge_u32 s23, s19
	s_cselect_b32 s24, -1, 0
	s_cmp_ge_u32 s22, s18
	s_cselect_b32 s18, -1, 0
	s_cmp_eq_u32 s23, s19
	s_cselect_b32 s18, s18, s24
	s_cmp_lg_u32 s18, 0
	s_cselect_b32 s19, s27, s17
	s_cselect_b32 s18, s26, s15
	s_xor_b64 s[20:21], s[20:21], 0
	s_xor_b64 s[18:19], s[18:19], s[20:21]
	s_sub_u32 s18, s18, s20
	s_andn2_b32 vcc_lo, exec_lo, s16
	s_cbranch_vccnz .LBB23_6
.LBB23_5:
	v_cvt_f32_u32_e32 v1, s9
	s_sub_i32 s16, 0, s9
	v_rcp_iflag_f32_e32 v1, v1
	v_mul_f32_e32 v1, 0x4f7ffffe, v1
	v_cvt_u32_f32_e32 v1, v1
	s_waitcnt lgkmcnt(0)
	v_readfirstlane_b32 s15, v1
	s_mul_i32 s16, s16, s15
	s_mul_hi_u32 s16, s15, s16
	s_add_i32 s15, s15, s16
	s_mul_hi_u32 s15, s11, s15
	s_mul_i32 s16, s15, s9
	s_sub_i32 s11, s11, s16
	s_add_i32 s16, s15, 1
	s_sub_i32 s17, s11, s9
	s_cmp_ge_u32 s11, s9
	s_cselect_b32 s15, s16, s15
	s_cselect_b32 s11, s17, s11
	s_add_i32 s16, s15, 1
	s_cmp_ge_u32 s11, s9
	s_cselect_b32 s18, s16, s15
.LBB23_6:
	s_cmp_eq_u32 s10, s18
	s_waitcnt lgkmcnt(0)
	s_mul_hi_u32 s11, s10, s12
	s_cselect_b32 s15, -1, 0
	s_add_i32 s11, s11, s10
	s_lshr_b32 s11, s11, s13
	s_mul_i32 s16, s11, s14
	s_cmp_eq_u32 s16, s10
	s_mul_hi_u32 s16, s18, s12
	s_cselect_b32 s17, -1, 0
	s_add_i32 s16, s16, s18
	s_lshr_b32 s16, s16, s13
	s_cmp_eq_u32 s11, s16
	s_mul_i32 s16, s16, s14
	s_cselect_b32 s19, -1, 0
	s_cmp_lg_u32 s16, s18
	s_cselect_b32 s16, -1, 0
	s_or_b32 s15, s15, s17
	s_and_b32 s16, s19, s16
	s_or_b32 s15, s15, s16
	s_and_b32 vcc_lo, exec_lo, s15
	s_cbranch_vccnz .LBB23_24
; %bb.7:
	s_clause 0x1
	s_load_dwordx8 s[20:27], s[4:5], 0x20
	s_load_dword s16, s[4:5], 0x40
	s_waitcnt lgkmcnt(0)
	s_mul_hi_u32 s15, s10, s20
	s_add_i32 s15, s15, s10
	s_lshr_b32 s15, s15, s21
	s_mul_i32 s17, s15, s22
	s_sub_i32 s17, s10, s17
	s_mul_hi_u32 s18, s17, s23
	s_add_i32 s18, s17, s18
	s_lshr_b32 s21, s18, s24
	s_mul_i32 s18, s21, s25
	s_sub_i32 s17, s17, s18
	s_mul_hi_u32 s18, s17, s26
	s_add_i32 s18, s17, s18
	s_lshr_b32 s18, s18, s27
	s_mul_i32 s16, s18, s16
	s_lshl_b32 s22, s18, 2
	s_sub_i32 s16, s17, s16
	s_mul_hi_u32 s17, s16, s12
	s_add_i32 s16, s16, s17
	s_lshr_b32 s20, s16, s13
	s_lshl_b32 s16, s20, 3
	s_add_i32 s16, s16, s7
	s_cmp_lt_i32 s16, s0
	s_cselect_b32 s16, -1, 0
	s_add_i32 s22, s22, s8
	s_cmp_lt_i32 s22, s2
	s_cselect_b32 s17, -1, 0
	s_and_b32 s16, s16, s17
	s_andn2_b32 vcc_lo, exec_lo, s16
	s_cbranch_vccnz .LBB23_24
; %bb.8:
	s_load_dwordx4 s[16:19], s[4:5], 0x0
	s_mov_b32 s4, 0
	s_lshl_b32 s24, s9, 7
	s_mov_b32 s25, s4
	s_lshl_b32 s5, s7, 2
	s_lshl_b64 s[24:25], s[24:25], 2
	s_mul_i32 s21, s21, s2
	s_mul_i32 s0, s15, s0
	s_add_i32 s2, s5, s8
	v_cvt_f32_u32_e32 v3, s9
	v_rcp_iflag_f32_e32 v3, v3
	s_waitcnt lgkmcnt(0)
	s_add_u32 s8, s18, s24
	s_addc_u32 s15, s19, s25
	s_add_i32 s0, s0, s7
	s_add_i32 s5, s22, s21
	s_mul_i32 s0, s0, s1
	s_mul_i32 s1, s1, s20
	s_add_i32 s0, s5, s0
	s_mulk_i32 s1, 0x380
	s_mulk_i32 s0, 0x70
	v_mul_f32_e32 v7, 0x4f7ffffe, v3
	v_add3_u32 v1, s1, s0, v0
	s_lshl_b32 s0, s6, 5
	s_add_i32 s0, s2, s0
	v_ashrrev_i32_e32 v2, 31, v1
	s_ashr_i32 s1, s0, 31
	s_lshl_b64 s[0:1], s[0:1], 3
	v_lshlrev_b64 v[1:2], 2, v[1:2]
	s_add_u32 s0, s18, s0
	s_addc_u32 s1, s19, s1
	s_load_dwordx2 s[0:1], s[0:1], 0x0
	v_add_co_u32 v1, vcc_lo, s16, v1
	v_add_co_ci_u32_e64 v2, null, s17, v2, vcc_lo
	s_add_i32 s17, s6, -1
	v_mad_u64_u32 v[3:4], null, 0x70, s2, v[0:1]
	global_load_dword v5, v[1:2], off
	v_cvt_u32_f32_e32 v0, v7
	s_sub_i32 s16, 0, s9
	s_waitcnt lgkmcnt(0)
	v_mov_b32_e32 v4, s1
	v_mov_b32_e32 v6, s0
.LBB23_9:                               ; =>This Inner Loop Header: Depth=1
	s_mul_hi_i32 s5, s17, s3
	s_mul_i32 s6, s17, s3
	s_cmp_lg_u64 s[4:5], 0
	s_mov_b32 s7, -1
                                        ; implicit-def: $sgpr0_sgpr1
	s_cbranch_scc0 .LBB23_11
; %bb.10:                               ;   in Loop: Header=BB23_9 Depth=1
	s_add_u32 s0, s9, 0
	s_addc_u32 s1, 0, 0
	s_xor_b64 s[0:1], s[0:1], 0
	v_cvt_f32_u32_e32 v7, s0
	v_cvt_f32_u32_e32 v8, s1
	s_sub_u32 s21, 0, s0
	s_subb_u32 s22, 0, s1
	v_fmac_f32_e32 v7, 0x4f800000, v8
	v_rcp_f32_e32 v7, v7
	v_mul_f32_e32 v7, 0x5f7ffffc, v7
	v_mul_f32_e32 v8, 0x2f800000, v7
	v_trunc_f32_e32 v8, v8
	v_fmac_f32_e32 v7, 0xcf800000, v8
	v_cvt_u32_f32_e32 v8, v8
	v_cvt_u32_f32_e32 v7, v7
	v_readfirstlane_b32 s7, v8
	v_readfirstlane_b32 s20, v7
	s_mul_i32 s23, s21, s7
	s_mul_hi_u32 s25, s21, s20
	s_mul_i32 s24, s22, s20
	s_add_i32 s23, s25, s23
	s_mul_i32 s26, s21, s20
	s_add_i32 s23, s23, s24
	s_mul_hi_u32 s25, s20, s26
	s_mul_i32 s28, s20, s23
	s_mul_hi_u32 s27, s7, s26
	s_mul_i32 s24, s7, s26
	s_mul_hi_u32 s26, s20, s23
	s_add_u32 s25, s25, s28
	s_addc_u32 s26, 0, s26
	s_mul_hi_u32 s29, s7, s23
	s_add_u32 s24, s25, s24
	s_mul_i32 s23, s7, s23
	s_addc_u32 s24, s26, s27
	s_addc_u32 s25, s29, 0
	s_add_u32 s23, s24, s23
	s_addc_u32 s24, 0, s25
	s_add_u32 s20, s20, s23
	s_cselect_b32 s23, -1, 0
	s_mul_hi_u32 s25, s21, s20
	s_cmp_lg_u32 s23, 0
	s_mul_i32 s23, s21, s20
	s_addc_u32 s7, s7, s24
	s_mul_i32 s22, s22, s20
	s_mul_i32 s21, s21, s7
	s_mul_hi_u32 s24, s20, s23
	s_add_i32 s21, s25, s21
	s_mul_hi_u32 s25, s7, s23
	s_add_i32 s21, s21, s22
	s_mul_i32 s22, s7, s23
	s_mul_i32 s27, s20, s21
	s_mul_hi_u32 s26, s20, s21
	s_add_u32 s24, s24, s27
	s_addc_u32 s26, 0, s26
	s_mul_hi_u32 s23, s7, s21
	s_add_u32 s22, s24, s22
	s_mul_i32 s21, s7, s21
	s_addc_u32 s22, s26, s25
	s_addc_u32 s23, s23, 0
	s_add_u32 s21, s22, s21
	s_addc_u32 s22, 0, s23
	s_add_u32 s24, s20, s21
	s_cselect_b32 s20, -1, 0
	s_cmp_lg_u32 s20, 0
	s_addc_u32 s7, s7, s22
	s_ashr_i32 s20, s5, 31
	s_add_u32 s22, s6, s20
	s_mov_b32 s21, s20
	s_addc_u32 s23, s5, s20
	s_xor_b64 s[22:23], s[22:23], s[20:21]
	s_mul_i32 s25, s22, s7
	s_mul_hi_u32 s26, s22, s24
	s_mul_hi_u32 s5, s22, s7
	;; [unrolled: 1-line block ×3, first 2 shown]
	s_mul_i32 s24, s23, s24
	s_add_u32 s25, s26, s25
	s_addc_u32 s5, 0, s5
	s_mul_hi_u32 s27, s23, s7
	s_add_u32 s24, s25, s24
	s_mul_i32 s7, s23, s7
	s_addc_u32 s5, s5, s28
	s_addc_u32 s24, s27, 0
	s_add_u32 s5, s5, s7
	s_addc_u32 s7, 0, s24
	s_mul_hi_u32 s24, s0, s5
	s_mul_i32 s25, s0, s7
	s_mul_i32 s26, s1, s5
	s_add_i32 s24, s24, s25
	s_mul_i32 s25, s0, s5
	s_add_i32 s24, s24, s26
	s_sub_i32 s26, s23, s24
	s_sub_u32 s22, s22, s25
	s_cselect_b32 s25, -1, 0
	s_cmp_lg_u32 s25, 0
	s_subb_u32 s26, s26, s1
	s_sub_u32 s27, s22, s0
	s_cselect_b32 s28, -1, 0
	s_cmp_lg_u32 s28, 0
	s_subb_u32 s26, s26, 0
	s_cmp_ge_u32 s26, s1
	s_cselect_b32 s28, -1, 0
	s_cmp_ge_u32 s27, s0
	s_cselect_b32 s27, -1, 0
	s_cmp_eq_u32 s26, s1
	s_cselect_b32 s26, s27, s28
	s_add_u32 s27, s5, 1
	s_addc_u32 s28, s7, 0
	s_add_u32 s29, s5, 2
	s_addc_u32 s30, s7, 0
	s_cmp_lg_u32 s26, 0
	s_cselect_b32 s26, s29, s27
	s_cselect_b32 s27, s30, s28
	s_cmp_lg_u32 s25, 0
	s_subb_u32 s23, s23, s24
	s_cmp_ge_u32 s23, s1
	s_cselect_b32 s24, -1, 0
	s_cmp_ge_u32 s22, s0
	s_cselect_b32 s0, -1, 0
	s_cmp_eq_u32 s23, s1
	s_cselect_b32 s0, s0, s24
	s_cmp_lg_u32 s0, 0
	s_cselect_b32 s1, s27, s7
	s_cselect_b32 s0, s26, s5
	s_xor_b64 s[20:21], s[20:21], 0
	s_mov_b32 s7, 0
	s_xor_b64 s[0:1], s[0:1], s[20:21]
	s_sub_u32 s0, s0, s20
.LBB23_11:                              ;   in Loop: Header=BB23_9 Depth=1
	s_andn2_b32 vcc_lo, exec_lo, s7
	s_cbranch_vccnz .LBB23_13
; %bb.12:                               ;   in Loop: Header=BB23_9 Depth=1
	v_readfirstlane_b32 s0, v0
	s_mul_i32 s1, s16, s0
	s_mul_hi_u32 s1, s0, s1
	s_add_i32 s0, s0, s1
	s_mul_hi_u32 s0, s6, s0
	s_mul_i32 s1, s0, s9
	s_add_i32 s5, s0, 1
	s_sub_i32 s1, s6, s1
	s_sub_i32 s6, s1, s9
	s_cmp_ge_u32 s1, s9
	s_cselect_b32 s0, s5, s0
	s_cselect_b32 s1, s6, s1
	s_add_i32 s5, s0, 1
	s_cmp_ge_u32 s1, s9
	s_cselect_b32 s0, s5, s0
.LBB23_13:                              ;   in Loop: Header=BB23_9 Depth=1
	s_cmp_lg_u32 s10, s0
	s_mov_b32 s6, -1
                                        ; implicit-def: $sgpr5
                                        ; implicit-def: $vgpr8
                                        ; implicit-def: $vgpr7
                                        ; implicit-def: $vgpr9
                                        ; implicit-def: $sgpr1
                                        ; implicit-def: $sgpr20
	s_cbranch_scc0 .LBB23_18
; %bb.14:                               ;   in Loop: Header=BB23_9 Depth=1
	s_add_i32 s1, s17, s9
	s_mov_b32 s7, s4
	s_lshl_b32 s1, s1, 5
	s_mov_b32 s20, s10
	s_add_i32 s6, s1, s2
	s_mul_hi_u32 s1, s0, s12
	s_lshl_b64 s[6:7], s[6:7], 3
	s_add_u32 s6, s18, s6
	s_addc_u32 s7, s19, s7
	s_add_i32 s1, s1, s0
	s_lshr_b32 s1, s1, s13
	s_mul_i32 s5, s1, s14
	s_cmp_eq_u32 s5, s0
	s_cselect_b32 s5, -1, 0
	s_cmp_lt_u32 s1, s11
	s_cselect_b32 s1, -1, 0
	s_or_b32 s1, s1, s5
	s_mov_b32 s5, -1
	s_and_b32 vcc_lo, exec_lo, s1
	s_mov_b32 s1, s17
	s_cbranch_vccnz .LBB23_16
; %bb.15:                               ;   in Loop: Header=BB23_9 Depth=1
	s_add_i32 s1, s17, -1
	s_mov_b32 s5, 0
	s_mov_b32 s20, s0
.LBB23_16:                              ;   in Loop: Header=BB23_9 Depth=1
	v_mad_u64_u32 v[7:8], null, 0xe00, s17, v[3:4]
	s_load_dwordx2 s[6:7], s[6:7], 0x0
	v_ashrrev_i32_e32 v8, 31, v7
	v_lshlrev_b64 v[7:8], 2, v[7:8]
	v_add_co_u32 v7, vcc_lo, s8, v7
	v_add_co_ci_u32_e64 v8, null, s15, v8, vcc_lo
	s_waitcnt lgkmcnt(0)
	v_max_f32_e64 v9, s6, s6
	global_load_dword v8, v[7:8], off
	v_max_f32_e32 v7, v6, v6
	v_max_f32_e32 v7, v7, v9
	v_sub_f32_e32 v9, s6, v7
	v_sub_f32_e32 v10, v6, v7
	v_mul_f32_e32 v11, 0x3fb8aa3b, v9
	v_mul_f32_e32 v12, 0x3fb8aa3b, v10
	v_cmp_ngt_f32_e32 vcc_lo, 0xc2ce8ed0, v9
	v_fma_f32 v13, 0x3fb8aa3b, v9, -v11
	v_rndne_f32_e32 v14, v11
	v_fma_f32 v15, 0x3fb8aa3b, v10, -v12
	v_rndne_f32_e32 v16, v12
	v_fmac_f32_e32 v13, 0x32a5705f, v9
	v_sub_f32_e32 v11, v11, v14
	v_fmac_f32_e32 v15, 0x32a5705f, v10
	v_sub_f32_e32 v12, v12, v16
	v_add_f32_e32 v11, v11, v13
	v_cvt_i32_f32_e32 v13, v14
	v_add_f32_e32 v12, v12, v15
	v_cvt_i32_f32_e32 v14, v16
	v_exp_f32_e32 v11, v11
	v_exp_f32_e32 v12, v12
	v_ldexp_f32 v11, v11, v13
	v_ldexp_f32 v12, v12, v14
	v_cndmask_b32_e32 v11, 0, v11, vcc_lo
	v_cmp_ngt_f32_e32 vcc_lo, 0xc2ce8ed0, v10
	v_cndmask_b32_e32 v12, 0, v12, vcc_lo
	v_cmp_nlt_f32_e32 vcc_lo, 0x42b17218, v9
	v_cndmask_b32_e32 v11, 0x7f800000, v11, vcc_lo
	v_cmp_nlt_f32_e32 vcc_lo, 0x42b17218, v10
	v_cndmask_b32_e32 v12, 0x7f800000, v12, vcc_lo
	v_cmp_le_f32_e32 vcc_lo, 0xc1a00000, v9
	v_cndmask_b32_e32 v9, 0, v11, vcc_lo
	v_cmp_le_f32_e32 vcc_lo, 0xc1a00000, v10
	v_cndmask_b32_e32 v10, 0, v12, vcc_lo
	s_waitcnt vmcnt(0)
	v_mul_f32_e32 v8, v8, v9
	v_mul_f32_e32 v9, s7, v9
	v_fmac_f32_e32 v8, v5, v10
	v_fmac_f32_e32 v9, v4, v10
	s_cbranch_execz .LBB23_19
.LBB23_17:                              ;   in Loop: Header=BB23_9 Depth=1
	s_andn2_b32 vcc_lo, exec_lo, s5
	s_cbranch_vccnz .LBB23_20
	s_branch .LBB23_23
.LBB23_18:                              ;   in Loop: Header=BB23_9 Depth=1
	s_andn2_b32 vcc_lo, exec_lo, s6
	s_cbranch_vccnz .LBB23_17
.LBB23_19:                              ;   in Loop: Header=BB23_9 Depth=1
	v_mov_b32_e32 v9, v4
	v_mov_b32_e32 v7, v6
	s_waitcnt vmcnt(0)
	v_mov_b32_e32 v8, v5
	s_add_i32 s1, s17, -1
	s_mov_b32 s20, s10
	s_cbranch_execz .LBB23_23
.LBB23_20:                              ;   in Loop: Header=BB23_9 Depth=1
	v_mov_b32_e32 v4, v9
	v_mov_b32_e32 v6, v7
	s_waitcnt vmcnt(0)
	v_mov_b32_e32 v5, v8
	s_mov_b32 s10, s20
	s_mov_b32 s17, s1
	s_branch .LBB23_9
.LBB23_21:
                                        ; implicit-def: $sgpr10_sgpr11
	s_load_dwordx4 s[12:15], s[4:5], 0x44
	s_branch .LBB23_2
.LBB23_22:
                                        ; implicit-def: $sgpr18_sgpr19
	s_branch .LBB23_5
.LBB23_23:
	v_div_scale_f32 v0, null, v9, v9, v8
	v_rcp_f32_e32 v3, v0
	v_fma_f32 v4, -v0, v3, 1.0
	v_fmac_f32_e32 v3, v4, v3
	v_div_scale_f32 v4, vcc_lo, v8, v9, v8
	s_waitcnt vmcnt(0)
	v_mul_f32_e32 v5, v4, v3
	v_fma_f32 v6, -v0, v5, v4
	v_fmac_f32_e32 v5, v6, v3
	v_fma_f32 v0, -v0, v5, v4
	v_div_fmas_f32 v0, v0, v3, v5
	v_div_fixup_f32 v0, v0, v9, v8
	global_store_dword v[1:2], v0, off
.LBB23_24:
	s_endpgm
	.section	.rodata,"a",@progbits
	.p2align	6, 0x0
	.amdhsa_kernel _ZL33flash_attn_stream_k_fixup_generalILi112ELi8ELi4EEvPfPK15HIP_vector_typeIfLj2EEiiiiS1_IjLj3EES5_S5_S5_
		.amdhsa_group_segment_fixed_size 0
		.amdhsa_private_segment_fixed_size 0
		.amdhsa_kernarg_size 336
		.amdhsa_user_sgpr_count 6
		.amdhsa_user_sgpr_private_segment_buffer 1
		.amdhsa_user_sgpr_dispatch_ptr 0
		.amdhsa_user_sgpr_queue_ptr 0
		.amdhsa_user_sgpr_kernarg_segment_ptr 1
		.amdhsa_user_sgpr_dispatch_id 0
		.amdhsa_user_sgpr_flat_scratch_init 0
		.amdhsa_user_sgpr_private_segment_size 0
		.amdhsa_wavefront_size32 1
		.amdhsa_uses_dynamic_stack 0
		.amdhsa_system_sgpr_private_segment_wavefront_offset 0
		.amdhsa_system_sgpr_workgroup_id_x 1
		.amdhsa_system_sgpr_workgroup_id_y 1
		.amdhsa_system_sgpr_workgroup_id_z 1
		.amdhsa_system_sgpr_workgroup_info 0
		.amdhsa_system_vgpr_workitem_id 0
		.amdhsa_next_free_vgpr 17
		.amdhsa_next_free_sgpr 31
		.amdhsa_reserve_vcc 1
		.amdhsa_reserve_flat_scratch 0
		.amdhsa_float_round_mode_32 0
		.amdhsa_float_round_mode_16_64 0
		.amdhsa_float_denorm_mode_32 3
		.amdhsa_float_denorm_mode_16_64 3
		.amdhsa_dx10_clamp 1
		.amdhsa_ieee_mode 1
		.amdhsa_fp16_overflow 0
		.amdhsa_workgroup_processor_mode 1
		.amdhsa_memory_ordered 1
		.amdhsa_forward_progress 1
		.amdhsa_shared_vgpr_count 0
		.amdhsa_exception_fp_ieee_invalid_op 0
		.amdhsa_exception_fp_denorm_src 0
		.amdhsa_exception_fp_ieee_div_zero 0
		.amdhsa_exception_fp_ieee_overflow 0
		.amdhsa_exception_fp_ieee_underflow 0
		.amdhsa_exception_fp_ieee_inexact 0
		.amdhsa_exception_int_div_zero 0
	.end_amdhsa_kernel
	.section	.text._ZL33flash_attn_stream_k_fixup_generalILi112ELi8ELi4EEvPfPK15HIP_vector_typeIfLj2EEiiiiS1_IjLj3EES5_S5_S5_,"axG",@progbits,_ZL33flash_attn_stream_k_fixup_generalILi112ELi8ELi4EEvPfPK15HIP_vector_typeIfLj2EEiiiiS1_IjLj3EES5_S5_S5_,comdat
.Lfunc_end23:
	.size	_ZL33flash_attn_stream_k_fixup_generalILi112ELi8ELi4EEvPfPK15HIP_vector_typeIfLj2EEiiiiS1_IjLj3EES5_S5_S5_, .Lfunc_end23-_ZL33flash_attn_stream_k_fixup_generalILi112ELi8ELi4EEvPfPK15HIP_vector_typeIfLj2EEiiiiS1_IjLj3EES5_S5_S5_
                                        ; -- End function
	.set _ZL33flash_attn_stream_k_fixup_generalILi112ELi8ELi4EEvPfPK15HIP_vector_typeIfLj2EEiiiiS1_IjLj3EES5_S5_S5_.num_vgpr, 17
	.set _ZL33flash_attn_stream_k_fixup_generalILi112ELi8ELi4EEvPfPK15HIP_vector_typeIfLj2EEiiiiS1_IjLj3EES5_S5_S5_.num_agpr, 0
	.set _ZL33flash_attn_stream_k_fixup_generalILi112ELi8ELi4EEvPfPK15HIP_vector_typeIfLj2EEiiiiS1_IjLj3EES5_S5_S5_.numbered_sgpr, 31
	.set _ZL33flash_attn_stream_k_fixup_generalILi112ELi8ELi4EEvPfPK15HIP_vector_typeIfLj2EEiiiiS1_IjLj3EES5_S5_S5_.num_named_barrier, 0
	.set _ZL33flash_attn_stream_k_fixup_generalILi112ELi8ELi4EEvPfPK15HIP_vector_typeIfLj2EEiiiiS1_IjLj3EES5_S5_S5_.private_seg_size, 0
	.set _ZL33flash_attn_stream_k_fixup_generalILi112ELi8ELi4EEvPfPK15HIP_vector_typeIfLj2EEiiiiS1_IjLj3EES5_S5_S5_.uses_vcc, 1
	.set _ZL33flash_attn_stream_k_fixup_generalILi112ELi8ELi4EEvPfPK15HIP_vector_typeIfLj2EEiiiiS1_IjLj3EES5_S5_S5_.uses_flat_scratch, 0
	.set _ZL33flash_attn_stream_k_fixup_generalILi112ELi8ELi4EEvPfPK15HIP_vector_typeIfLj2EEiiiiS1_IjLj3EES5_S5_S5_.has_dyn_sized_stack, 0
	.set _ZL33flash_attn_stream_k_fixup_generalILi112ELi8ELi4EEvPfPK15HIP_vector_typeIfLj2EEiiiiS1_IjLj3EES5_S5_S5_.has_recursion, 0
	.set _ZL33flash_attn_stream_k_fixup_generalILi112ELi8ELi4EEvPfPK15HIP_vector_typeIfLj2EEiiiiS1_IjLj3EES5_S5_S5_.has_indirect_call, 0
	.section	.AMDGPU.csdata,"",@progbits
; Kernel info:
; codeLenInByte = 2948
; TotalNumSgprs: 33
; NumVgprs: 17
; ScratchSize: 0
; MemoryBound: 0
; FloatMode: 240
; IeeeMode: 1
; LDSByteSize: 0 bytes/workgroup (compile time only)
; SGPRBlocks: 0
; VGPRBlocks: 2
; NumSGPRsForWavesPerEU: 33
; NumVGPRsForWavesPerEU: 17
; Occupancy: 16
; WaveLimiterHint : 0
; COMPUTE_PGM_RSRC2:SCRATCH_EN: 0
; COMPUTE_PGM_RSRC2:USER_SGPR: 6
; COMPUTE_PGM_RSRC2:TRAP_HANDLER: 0
; COMPUTE_PGM_RSRC2:TGID_X_EN: 1
; COMPUTE_PGM_RSRC2:TGID_Y_EN: 1
; COMPUTE_PGM_RSRC2:TGID_Z_EN: 1
; COMPUTE_PGM_RSRC2:TIDIG_COMP_CNT: 0
	.section	.text._ZL15flash_attn_tileILi112ELi112ELi4ELi4ELb0EEvPKcS1_S1_S1_S1_PKiPfP15HIP_vector_typeIfLj2EEffffjfiS5_IjLj3EEiiiiiiiiiiiliiliiiiil,"axG",@progbits,_ZL15flash_attn_tileILi112ELi112ELi4ELi4ELb0EEvPKcS1_S1_S1_S1_PKiPfP15HIP_vector_typeIfLj2EEffffjfiS5_IjLj3EEiiiiiiiiiiiliiliiiiil,comdat
	.globl	_ZL15flash_attn_tileILi112ELi112ELi4ELi4ELb0EEvPKcS1_S1_S1_S1_PKiPfP15HIP_vector_typeIfLj2EEffffjfiS5_IjLj3EEiiiiiiiiiiiliiliiiiil ; -- Begin function _ZL15flash_attn_tileILi112ELi112ELi4ELi4ELb0EEvPKcS1_S1_S1_S1_PKiPfP15HIP_vector_typeIfLj2EEffffjfiS5_IjLj3EEiiiiiiiiiiiliiliiiiil
	.p2align	8
	.type	_ZL15flash_attn_tileILi112ELi112ELi4ELi4ELb0EEvPKcS1_S1_S1_S1_PKiPfP15HIP_vector_typeIfLj2EEffffjfiS5_IjLj3EEiiiiiiiiiiiliiliiiiil,@function
_ZL15flash_attn_tileILi112ELi112ELi4ELi4ELb0EEvPKcS1_S1_S1_S1_PKiPfP15HIP_vector_typeIfLj2EEffffjfiS5_IjLj3EEiiiiiiiiiiiliiliiiiil: ; @_ZL15flash_attn_tileILi112ELi112ELi4ELi4ELb0EEvPKcS1_S1_S1_S1_PKiPfP15HIP_vector_typeIfLj2EEffffjfiS5_IjLj3EEiiiiiiiiiiiliiliiiiil
; %bb.0:
	s_clause 0x1
	s_load_dwordx4 s[24:27], s[4:5], 0x5c
	s_load_dwordx2 s[34:35], s[4:5], 0x80
	s_mov_b64 s[36:37], 0
	s_waitcnt lgkmcnt(0)
	s_ashr_i32 s0, s27, 31
	s_lshr_b32 s0, s0, 30
	s_add_i32 s0, s27, s0
	s_ashr_i32 s0, s0, 2
	v_cvt_f32_u32_e32 v2, s0
	s_sub_i32 s2, 0, s0
	v_rcp_iflag_f32_e32 v2, v2
	v_mul_f32_e32 v2, 0x4f7ffffe, v2
	v_cvt_u32_f32_e32 v2, v2
	v_readfirstlane_b32 s1, v2
	s_mul_i32 s2, s2, s1
	s_mul_hi_u32 s2, s1, s2
	s_add_i32 s1, s1, s2
	s_mul_hi_u32 s1, s8, s1
	s_mul_i32 s2, s1, s0
	s_add_i32 s3, s1, 1
	s_sub_i32 s2, s8, s2
	s_sub_i32 s9, s2, s0
	s_cmp_ge_u32 s2, s0
	s_cselect_b32 s1, s3, s1
	s_cselect_b32 s2, s9, s2
	s_add_i32 s3, s1, 1
	s_cmp_ge_u32 s2, s0
	s_cselect_b32 s33, s3, s1
	s_abs_i32 s0, s35
	s_abs_i32 s3, s27
	v_cvt_f32_u32_e32 v2, s0
	s_sub_i32 s2, 0, s0
	s_lshl_b32 s28, s8, 2
	s_mul_i32 s29, s33, s27
	v_rcp_iflag_f32_e32 v2, v2
	v_mul_f32_e32 v2, 0x4f7ffffe, v2
	v_cvt_u32_f32_e32 v2, v2
	v_readfirstlane_b32 s1, v2
	s_mul_i32 s2, s2, s1
	s_mul_hi_u32 s2, s1, s2
	s_add_i32 s1, s1, s2
	s_xor_b32 s2, s27, s35
	s_mul_hi_u32 s1, s3, s1
	s_ashr_i32 s2, s2, 31
	s_mul_i32 s8, s1, s0
	s_sub_i32 s3, s3, s8
	s_add_i32 s8, s1, 1
	s_sub_i32 s9, s3, s0
	s_cmp_ge_u32 s3, s0
	s_cselect_b32 s1, s8, s1
	s_cselect_b32 s3, s9, s3
	s_add_i32 s8, s1, 1
	s_cmp_ge_u32 s3, s0
	s_cselect_b32 s0, s8, s1
	s_xor_b32 s0, s0, s2
	s_sub_i32 s3, s0, s2
	s_clause 0x1
	s_load_dwordx16 s[8:23], s[4:5], 0x0
	s_load_dwordx2 s[0:1], s[4:5], 0xb8
	s_abs_i32 s2, s3
	v_cvt_f32_u32_e32 v2, s2
	v_rcp_iflag_f32_e32 v2, v2
	v_mul_f32_e32 v2, 0x4f7ffffe, v2
	s_waitcnt lgkmcnt(0)
	s_cmp_eq_u64 s[14:15], 0
	v_cvt_u32_f32_e32 v2, v2
	v_readfirstlane_b32 s35, v2
	s_cbranch_scc1 .LBB24_2
; %bb.1:
	s_abs_i32 s0, s0
	s_abs_i32 s36, s33
	v_cvt_f32_u32_e32 v2, s0
	s_sub_i32 s31, 0, s0
	v_rcp_iflag_f32_e32 v2, v2
	v_mul_f32_e32 v2, 0x4f7ffffe, v2
	v_cvt_u32_f32_e32 v2, v2
	v_readfirstlane_b32 s30, v2
	s_mul_i32 s31, s31, s30
	s_mul_hi_u32 s31, s30, s31
	s_add_i32 s30, s30, s31
	s_mul_hi_u32 s37, s36, s30
	s_load_dwordx2 s[30:31], s[4:5], 0xc8
	s_mul_i32 s37, s37, s0
	s_sub_i32 s36, s36, s37
	s_ashr_i32 s37, s33, 31
	s_sub_i32 s38, s36, s0
	s_cmp_ge_u32 s36, s0
	s_cselect_b32 s36, s38, s36
	s_sub_i32 s38, s36, s0
	s_cmp_ge_u32 s36, s0
	s_cselect_b32 s0, s38, s36
	s_xor_b32 s0, s0, s37
	s_sub_i32 s0, s0, s37
	s_ashr_i32 s36, s0, 31
	s_waitcnt lgkmcnt(0)
	s_mul_hi_u32 s37, s30, s0
	s_mul_i32 s36, s30, s36
	s_mul_i32 s31, s31, s0
	s_add_i32 s36, s37, s36
	s_mul_i32 s0, s30, s0
	s_add_i32 s30, s36, s31
	s_add_u32 s36, s14, s0
	s_addc_u32 s37, s15, s30
.LBB24_2:
	v_lshrrev_b32_e32 v2, 1, v1
	v_lshlrev_b32_e32 v3, 1, v1
	v_cmp_gt_u32_e64 s0, 28, v0
	v_lshlrev_b32_e32 v49, 2, v0
	v_lshlrev_b32_e32 v67, 3, v0
	v_lshl_add_u32 v50, s6, 2, v2
	v_and_b32_e32 v66, 2, v3
	v_mul_hi_u32 v2, s24, v50
	s_sub_i32 s24, s28, s29
	v_add_nc_u32_e32 v2, v50, v2
	v_lshrrev_b32_e32 v2, s25, v2
	v_mul_lo_u32 v2, v2, s26
	v_sub_nc_u32_e32 v2, v50, v2
	s_and_saveexec_b32 s14, s0
	s_cbranch_execz .LBB24_4
; %bb.3:
	s_load_dwordx4 s[28:31], s[4:5], 0x70
	v_or_b32_e32 v11, 1, v3
	v_add_nc_u32_e32 v12, 0x1040, v67
	v_and_b32_e32 v9, 3, v11
	v_mad_u32_u24 v13, 0x1c0, v1, v12
	s_waitcnt lgkmcnt(0)
	s_mul_i32 s15, s33, s30
	s_mul_i32 s25, s24, s29
	s_ashr_i32 s31, s15, 31
	s_add_u32 s8, s8, s15
	s_addc_u32 s9, s9, s31
	s_ashr_i32 s15, s25, 31
	s_add_u32 s25, s8, s25
	s_mov_b32 s30, s28
	s_addc_u32 s15, s9, s15
	s_ashr_i32 s31, s28, 31
	s_lshr_b64 s[8:9], s[30:31], 2
	s_ashr_i32 s9, s29, 31
	v_mad_u64_u32 v[3:4], null, s8, v2, 0
	s_mov_b32 s8, s29
	s_lshr_b32 s28, s31, 2
	s_lshr_b32 s29, s9, 2
	s_lshr_b64 s[8:9], s[8:9], 2
	v_mul_lo_u32 v10, s29, v66
	v_mad_u64_u32 v[7:8], null, s8, v66, 0
	v_mad_u64_u32 v[4:5], null, s28, v2, v[4:5]
	;; [unrolled: 1-line block ×3, first 2 shown]
	s_load_dword s8, s[4:5], 0x40
	v_or_b32_e32 v8, v8, v10
	v_lshlrev_b64 v[3:4], 2, v[3:4]
	v_mad_u64_u32 v[9:10], null, s29, v9, v[6:7]
	v_lshlrev_b32_e32 v10, 2, v49
	v_lshlrev_b64 v[7:8], 2, v[7:8]
	v_add_co_u32 v3, vcc_lo, s25, v3
	v_add_co_ci_u32_e64 v4, null, s15, v4, vcc_lo
	v_mov_b32_e32 v6, v9
	v_add_co_u32 v9, vcc_lo, v3, v10
	v_add_co_ci_u32_e64 v10, null, 0, v4, vcc_lo
	v_lshlrev_b64 v[3:4], 2, v[5:6]
	v_add_co_u32 v5, vcc_lo, v9, v7
	v_add_co_ci_u32_e64 v6, null, v10, v8, vcc_lo
	v_add_co_u32 v7, vcc_lo, v9, v3
	v_add_co_ci_u32_e64 v8, null, v10, v4, vcc_lo
	s_clause 0x1
	global_load_dwordx4 v[3:6], v[5:6], off
	global_load_dwordx4 v[7:10], v[7:8], off
	s_waitcnt vmcnt(1) lgkmcnt(0)
	v_fma_mixlo_f16 v3, s8, v3, 0
	v_fma_mixlo_f16 v4, s8, v4, 0
	s_waitcnt vmcnt(0)
	v_fma_mixlo_f16 v7, s8, v7, 0
	v_fma_mixlo_f16 v8, s8, v8, 0
	;; [unrolled: 1-line block ×4, first 2 shown]
	v_lshlrev_b32_e32 v4, 16, v4
	v_and_b32_e32 v3, 0xffff, v3
	v_fma_mixlo_f16 v9, s8, v9, 0
	v_fma_mixlo_f16 v10, s8, v10, 0
	v_lshlrev_b32_e32 v8, 16, v8
	v_and_b32_e32 v7, 0xffff, v7
	v_lshlrev_b32_e32 v6, 16, v6
	v_and_b32_e32 v5, 0xffff, v5
	v_or_b32_e32 v3, v4, v3
	v_lshlrev_b32_e32 v10, 16, v10
	v_and_b32_e32 v9, 0xffff, v9
	v_or_b32_e32 v7, v8, v7
	v_or3_b32 v4, v6, v5, 0
	v_or3_b32 v3, 0, 0, v3
	v_mad_u32_u24 v8, 0xe0, v11, v12
	v_or3_b32 v6, v10, v9, 0
	v_or3_b32 v5, 0, 0, v7
	ds_write_b64 v13, v[3:4]
	ds_write_b64 v8, v[5:6]
.LBB24_4:
	s_or_b32 exec_lo, exec_lo, s14
	s_cmp_eq_u64 s[18:19], 0
	s_waitcnt lgkmcnt(0)
	s_barrier
	buffer_gl0_inv
	s_cbranch_scc1 .LBB24_6
; %bb.5:
	s_load_dword s8, s[4:5], 0xd0
	s_mov_b32 s9, 0
	s_waitcnt lgkmcnt(0)
	s_mul_i32 s8, s8, s33
	s_add_i32 s8, s8, s6
	s_lshl_b64 s[8:9], s[8:9], 2
	s_add_u32 s8, s18, s8
	s_addc_u32 s9, s19, s9
	s_load_dword s34, s[8:9], 0x0
.LBB24_6:
	v_mbcnt_lo_u32_b32 v68, -1, 0
	s_lshl_b32 s18, s7, 5
	s_waitcnt lgkmcnt(0)
	s_cmp_lt_i32 s18, s34
	s_cbranch_scc1 .LBB24_9
; %bb.7:
	v_mbcnt_lo_u32_b32 v3, -1, 0
	v_mov_b32_e32 v70, 32
	v_xor_b32_e32 v89, 16, v3
	v_xor_b32_e32 v90, 8, v3
	;; [unrolled: 1-line block ×5, first 2 shown]
	s_cbranch_execz .LBB24_10
; %bb.8:
	v_mov_b32_e32 v78, 0
	v_mov_b32_e32 v94, 0
	;; [unrolled: 1-line block ×8, first 2 shown]
	s_branch .LBB24_38
.LBB24_9:
                                        ; implicit-def: $vgpr3
                                        ; implicit-def: $vgpr70
                                        ; implicit-def: $vgpr89
                                        ; implicit-def: $vgpr90
                                        ; implicit-def: $vgpr91
                                        ; implicit-def: $vgpr92
                                        ; implicit-def: $vgpr93
.LBB24_10:
	s_clause 0x1
	s_load_dwordx4 s[28:31], s[4:5], 0x98
	s_load_dwordx2 s[8:9], s[4:5], 0x8c
	s_sub_i32 s6, 0, s2
	s_abs_i32 s38, s24
	s_mul_i32 s6, s6, s35
	s_ashr_i32 s39, s24, 31
	s_mul_hi_u32 s6, s35, s6
	s_ashr_i32 s3, s3, 31
	s_add_i32 s35, s35, s6
	s_ashr_i32 s6, s1, 1
	s_mul_hi_u32 s1, s38, s35
	s_ashr_i32 s35, s33, 31
	s_load_dwordx2 s[14:15], s[4:5], 0xa8
	s_mul_i32 s40, s1, s2
	v_lshrrev_b32_e32 v3, 1, v0
	v_lshrrev_b32_e32 v4, 2, v0
	v_and_b32_e32 v15, 4, v49
	v_mad_u64_u32 v[51:52], null, v2, s6, v[0:1]
	v_lshl_add_u32 v9, v1, 4, v3
	s_waitcnt lgkmcnt(0)
	s_ashr_i32 s19, s30, 2
	s_ashr_i32 s25, s8, 2
	s_mul_hi_u32 s8, s28, s33
	s_mul_i32 s30, s28, s35
	s_mul_i32 s29, s29, s33
	s_add_i32 s8, s8, s30
	s_mul_i32 s28, s28, s33
	s_add_i32 s8, s8, s29
	s_add_u32 s10, s10, s28
	s_addc_u32 s8, s11, s8
	s_sub_i32 s11, s38, s40
	s_xor_b32 s3, s39, s3
	s_add_i32 s28, s1, 1
	s_sub_i32 s29, s11, s2
	s_cmp_ge_u32 s11, s2
	v_lshrrev_b32_e32 v2, 3, v0
	s_cselect_b32 s1, s28, s1
	s_cselect_b32 s11, s29, s11
	s_add_i32 s28, s1, 1
	s_cmp_ge_u32 s11, s2
	s_mul_hi_u32 s2, s14, s33
	s_cselect_b32 s1, s28, s1
	s_mul_i32 s11, s14, s35
	s_xor_b32 s1, s1, s3
	s_mul_i32 s14, s14, s33
	s_sub_i32 s1, s1, s3
	s_mul_i32 s3, s15, s33
	s_mul_i32 s9, s1, s9
	;; [unrolled: 1-line block ×3, first 2 shown]
	s_ashr_i32 s15, s9, 31
	s_add_u32 s28, s10, s9
	s_addc_u32 s29, s8, s15
	s_add_i32 s2, s2, s11
	v_lshl_add_u32 v5, v1, 5, v0
	s_add_i32 s2, s2, s3
	s_add_u32 s3, s12, s14
	s_addc_u32 s9, s13, s2
	s_ashr_i32 s10, s1, 31
	s_add_u32 s30, s3, s1
	s_movk_i32 s3, 0x1c0
	v_lshl_add_u32 v10, v1, 3, v4
	v_lshlrev_b32_e32 v6, 7, v9
	v_lshlrev_b32_e32 v11, 2, v15
	v_mad_u32_u24 v76, v1, s3, 0x1040
	v_mul_u32_u24_e32 v13, 0xe0, v9
	v_lshl_add_u32 v77, v1, 7, 0x1e40
	v_lshl_add_u32 v1, v1, 2, v2
	v_and_b32_e32 v16, 12, v49
	v_cmp_gt_u32_e32 vcc_lo, 32, v5
	v_cmp_gt_u32_e64 s1, 32, v9
	v_mul_lo_u32 v3, s25, v5
	v_mul_lo_u32 v5, s25, v9
	;; [unrolled: 1-line block ×3, first 2 shown]
	v_or3_b32 v74, v6, v11, 64
	v_cmp_gt_u32_e64 s3, 16, v9
	v_or_b32_e32 v2, v13, v11
	v_mul_lo_u32 v9, s19, v9
	v_mul_lo_u32 v11, s19, v10
	;; [unrolled: 1-line block ×3, first 2 shown]
	v_lshlrev_b32_e32 v12, 2, v16
	v_mul_u32_u24_e32 v14, 0xe0, v10
	v_and_b32_e32 v79, 28, v49
	v_cmp_gt_u32_e64 s2, 32, v10
	v_ashrrev_i32_e32 v4, 31, v3
	v_ashrrev_i32_e32 v6, 31, v5
	v_lshl_or_b32 v75, v10, 7, v12
	v_ashrrev_i32_e32 v8, 31, v7
	v_cmp_gt_u32_e64 s6, 16, v10
	v_ashrrev_i32_e32 v10, 31, v9
	v_add3_u32 v81, v14, v12, 0x80
	v_ashrrev_i32_e32 v12, 31, v11
	v_ashrrev_i32_e32 v14, 31, v13
	v_lshlrev_b32_e32 v72, 7, v0
	v_lshlrev_b32_e32 v17, 2, v79
	v_lshlrev_b64 v[52:53], 2, v[3:4]
	v_lshlrev_b64 v[54:55], 2, v[5:6]
	;; [unrolled: 1-line block ×6, first 2 shown]
	v_or_b32_e32 v73, 0x60, v72
	v_mov_b32_e32 v69, 0
	v_cmp_gt_u32_e64 s8, 16, v1
	v_add_nc_u32_e32 v80, 0xc0, v2
	v_mad_u32_u24 v82, 0xe0, v1, v17
	v_mov_b32_e32 v1, 0xfeffffff
	v_mov_b32_e32 v70, 32
	v_lshlrev_b32_e32 v84, 2, v15
	v_lshlrev_b32_e32 v85, 2, v16
	v_mov_b32_e32 v86, 0x10001
	v_mov_b32_e32 v71, 0
	;; [unrolled: 1-line block ×7, first 2 shown]
	s_addc_u32 s31, s9, s10
	s_add_u32 s14, s4, 0xd0
	s_addc_u32 s15, s5, 0
.LBB24_11:                              ; =>This Inner Loop Header: Depth=1
	s_mul_hi_i32 s11, s18, s25
	s_mul_i32 s10, s18, s25
	s_lshl_b64 s[10:11], s[10:11], 2
	s_add_u32 s10, s28, s10
	s_addc_u32 s11, s29, s11
	s_and_saveexec_b32 s12, vcc_lo
	s_cbranch_execnz .LBB24_29
; %bb.12:                               ;   in Loop: Header=BB24_11 Depth=1
	s_or_b32 exec_lo, exec_lo, s12
	s_and_saveexec_b32 s12, s1
	s_cbranch_execnz .LBB24_30
.LBB24_13:                              ;   in Loop: Header=BB24_11 Depth=1
	s_or_b32 exec_lo, exec_lo, s12
	s_and_saveexec_b32 s12, s2
	s_cbranch_execz .LBB24_15
.LBB24_14:                              ;   in Loop: Header=BB24_11 Depth=1
	v_add_co_u32 v3, s9, s10, v56
	v_add_co_ci_u32_e64 v4, null, s11, v57, s9
	v_add_co_u32 v3, s9, v3, v85
	v_add_co_ci_u32_e64 v4, null, 0, v4, s9
	global_load_dwordx4 v[3:6], v[3:4], off
	s_waitcnt vmcnt(0)
	ds_write_b128 v75, v[3:6]
.LBB24_15:                              ;   in Loop: Header=BB24_11 Depth=1
	s_or_b32 exec_lo, exec_lo, s12
	s_waitcnt lgkmcnt(0)
	s_barrier
	buffer_gl0_inv
	ds_read_b128 v[5:8], v72
	ds_read_b128 v[9:12], v76
	ds_read_b128 v[13:16], v76 offset:224
	v_mov_b32_e32 v4, 0
	v_mov_b32_e32 v3, 0
	s_waitcnt lgkmcnt(1)
	;;#ASMSTART
	v_dot2_f32_f16 v4, v5, v9, v4
	;;#ASMEND
	;;#ASMSTART
	v_dot2_f32_f16 v4, v6, v10, v4
	;;#ASMEND
	;;#ASMSTART
	v_dot2_f32_f16 v4, v7, v11, v4
	;;#ASMEND
	;;#ASMSTART
	v_dot2_f32_f16 v4, v8, v12, v4
	;;#ASMEND
	s_waitcnt lgkmcnt(0)
	;;#ASMSTART
	v_dot2_f32_f16 v3, v5, v13, v3
	;;#ASMEND
	;;#ASMSTART
	v_dot2_f32_f16 v3, v6, v14, v3
	;;#ASMEND
	;;#ASMSTART
	v_dot2_f32_f16 v3, v7, v15, v3
	;;#ASMEND
	;;#ASMSTART
	v_dot2_f32_f16 v3, v8, v16, v3
	;;#ASMEND
	ds_read_b128 v[5:8], v72 offset:16
	ds_read_b128 v[9:12], v76 offset:16
	ds_read_b128 v[13:16], v76 offset:240
	s_waitcnt lgkmcnt(1)
	;;#ASMSTART
	v_dot2_f32_f16 v4, v5, v9, v4
	;;#ASMEND
	;;#ASMSTART
	v_dot2_f32_f16 v4, v6, v10, v4
	;;#ASMEND
	;;#ASMSTART
	v_dot2_f32_f16 v4, v7, v11, v4
	;;#ASMEND
	;;#ASMSTART
	v_dot2_f32_f16 v4, v8, v12, v4
	;;#ASMEND
	s_waitcnt lgkmcnt(0)
	;;#ASMSTART
	v_dot2_f32_f16 v3, v5, v13, v3
	;;#ASMEND
	;;#ASMSTART
	v_dot2_f32_f16 v3, v6, v14, v3
	;;#ASMEND
	;;#ASMSTART
	v_dot2_f32_f16 v3, v7, v15, v3
	;;#ASMEND
	;;#ASMSTART
	v_dot2_f32_f16 v3, v8, v16, v3
	;;#ASMEND
	ds_read_b128 v[5:8], v72 offset:32
	ds_read_b128 v[9:12], v76 offset:32
	ds_read_b128 v[13:16], v76 offset:256
	;; [unrolled: 29-line block ×6, first 2 shown]
	s_waitcnt lgkmcnt(1)
	;;#ASMSTART
	v_dot2_f32_f16 v4, v5, v9, v4
	;;#ASMEND
	;;#ASMSTART
	v_dot2_f32_f16 v4, v6, v10, v4
	;;#ASMEND
	;; [unrolled: 3-line block ×4, first 2 shown]
	s_waitcnt lgkmcnt(0)
	;;#ASMSTART
	v_dot2_f32_f16 v3, v5, v13, v3
	;;#ASMEND
	;;#ASMSTART
	v_dot2_f32_f16 v3, v6, v14, v3
	;;#ASMEND
	;; [unrolled: 3-line block ×4, first 2 shown]
	s_barrier
	buffer_gl0_inv
	s_and_saveexec_b32 s12, vcc_lo
	s_cbranch_execnz .LBB24_31
; %bb.16:                               ;   in Loop: Header=BB24_11 Depth=1
	s_or_b32 exec_lo, exec_lo, s12
	s_and_saveexec_b32 s12, s1
	s_cbranch_execnz .LBB24_32
.LBB24_17:                              ;   in Loop: Header=BB24_11 Depth=1
	s_or_b32 exec_lo, exec_lo, s12
	s_and_saveexec_b32 s12, s2
	s_cbranch_execz .LBB24_19
.LBB24_18:                              ;   in Loop: Header=BB24_11 Depth=1
	v_add_co_u32 v5, s9, s10, v56
	v_add_co_ci_u32_e64 v6, null, s11, v57, s9
	v_add_co_u32 v5, s9, v5, v85
	v_add_co_ci_u32_e64 v6, null, 0, v6, s9
	global_load_dwordx4 v[5:8], v[5:6], off offset:112
	s_waitcnt vmcnt(0)
	ds_write_b128 v75, v[5:8]
.LBB24_19:                              ;   in Loop: Header=BB24_11 Depth=1
	s_or_b32 exec_lo, exec_lo, s12
	s_waitcnt lgkmcnt(0)
	s_barrier
	buffer_gl0_inv
	ds_read_b128 v[5:8], v72
	ds_read_b128 v[9:12], v76 offset:112
	ds_read_b128 v[13:16], v76 offset:336
	v_add_nc_u32_e32 v17, s18, v51
	v_xor_b32_e32 v89, 16, v68
	v_xor_b32_e32 v90, 8, v68
	;; [unrolled: 1-line block ×4, first 2 shown]
	v_ashrrev_i32_e32 v18, 31, v17
	v_xor_b32_e32 v93, 1, v68
	s_mul_hi_i32 s39, s18, s19
	s_mul_i32 s38, s18, s19
	s_waitcnt lgkmcnt(1)
	;;#ASMSTART
	v_dot2_f32_f16 v4, v5, v9, v4
	;;#ASMEND
	;;#ASMSTART
	v_dot2_f32_f16 v4, v6, v10, v4
	;;#ASMEND
	;; [unrolled: 3-line block ×4, first 2 shown]
	s_waitcnt lgkmcnt(0)
	;;#ASMSTART
	v_dot2_f32_f16 v3, v5, v13, v3
	;;#ASMEND
	;;#ASMSTART
	v_dot2_f32_f16 v3, v6, v14, v3
	;;#ASMEND
	;; [unrolled: 3-line block ×4, first 2 shown]
	ds_read_b128 v[5:8], v72 offset:16
	ds_read_b128 v[9:12], v76 offset:128
	;; [unrolled: 1-line block ×3, first 2 shown]
	v_lshlrev_b64 v[17:18], 1, v[17:18]
	s_lshl_b64 s[38:39], s[38:39], 2
	s_waitcnt lgkmcnt(1)
	;;#ASMSTART
	v_dot2_f32_f16 v4, v5, v9, v4
	;;#ASMEND
	;;#ASMSTART
	v_dot2_f32_f16 v4, v6, v10, v4
	;;#ASMEND
	;; [unrolled: 3-line block ×4, first 2 shown]
	s_waitcnt lgkmcnt(0)
	;;#ASMSTART
	v_dot2_f32_f16 v3, v5, v13, v3
	;;#ASMEND
	;;#ASMSTART
	v_dot2_f32_f16 v3, v6, v14, v3
	;;#ASMEND
	;; [unrolled: 3-line block ×4, first 2 shown]
	ds_read_b128 v[5:8], v72 offset:32
	ds_read_b128 v[9:12], v76 offset:144
	;; [unrolled: 1-line block ×3, first 2 shown]
	v_add_co_u32 v17, s9, s36, v17
	v_add_co_ci_u32_e64 v18, null, s37, v18, s9
	v_cmp_gt_i32_e64 s9, 32, v89
	s_add_u32 s35, s30, s38
	s_addc_u32 s38, s31, s39
	s_waitcnt lgkmcnt(1)
	;;#ASMSTART
	v_dot2_f32_f16 v4, v5, v9, v4
	;;#ASMEND
	;;#ASMSTART
	v_dot2_f32_f16 v4, v6, v10, v4
	;;#ASMEND
	;;#ASMSTART
	v_dot2_f32_f16 v4, v7, v11, v4
	;;#ASMEND
	;;#ASMSTART
	v_dot2_f32_f16 v4, v8, v12, v4
	;;#ASMEND
	s_waitcnt lgkmcnt(0)
	;;#ASMSTART
	v_dot2_f32_f16 v3, v5, v13, v3
	;;#ASMEND
	;;#ASMSTART
	v_dot2_f32_f16 v3, v6, v14, v3
	;;#ASMEND
	;;#ASMSTART
	v_dot2_f32_f16 v3, v7, v15, v3
	;;#ASMEND
	;;#ASMSTART
	v_dot2_f32_f16 v3, v8, v16, v3
	;;#ASMEND
	ds_read_b128 v[5:8], v72 offset:48
	ds_read_b128 v[9:12], v76 offset:160
	ds_read_b128 v[13:16], v76 offset:384
	s_waitcnt lgkmcnt(1)
	;;#ASMSTART
	v_dot2_f32_f16 v4, v5, v9, v4
	;;#ASMEND
	;;#ASMSTART
	v_dot2_f32_f16 v4, v6, v10, v4
	;;#ASMEND
	;;#ASMSTART
	v_dot2_f32_f16 v4, v7, v11, v4
	;;#ASMEND
	;;#ASMSTART
	v_dot2_f32_f16 v4, v8, v12, v4
	;;#ASMEND
	s_waitcnt lgkmcnt(0)
	;;#ASMSTART
	v_dot2_f32_f16 v3, v5, v13, v3
	;;#ASMEND
	;;#ASMSTART
	v_dot2_f32_f16 v3, v6, v14, v3
	;;#ASMEND
	;;#ASMSTART
	v_dot2_f32_f16 v3, v7, v15, v3
	;;#ASMEND
	;;#ASMSTART
	v_dot2_f32_f16 v3, v8, v16, v3
	;;#ASMEND
	ds_read_b128 v[5:8], v72 offset:64
	ds_read_b128 v[9:12], v76 offset:176
	ds_read_b128 v[13:16], v76 offset:400
	;; [unrolled: 29-line block ×4, first 2 shown]
	s_waitcnt lgkmcnt(1)
	;;#ASMSTART
	v_dot2_f32_f16 v4, v5, v9, v4
	;;#ASMEND
	;;#ASMSTART
	v_dot2_f32_f16 v4, v6, v10, v4
	;;#ASMEND
	;; [unrolled: 3-line block ×4, first 2 shown]
	s_waitcnt lgkmcnt(0)
	;;#ASMSTART
	v_dot2_f32_f16 v3, v5, v13, v3
	;;#ASMEND
	;;#ASMSTART
	v_dot2_f32_f16 v3, v6, v14, v3
	;;#ASMEND
	;; [unrolled: 3-line block ×4, first 2 shown]
	global_load_ushort v5, v[17:18], off
	v_max_f32_e32 v6, v1, v1
	v_max_f32_e32 v8, v2, v2
	s_waitcnt vmcnt(0)
	s_barrier
	buffer_gl0_inv
	v_cvt_f32_f16_e32 v5, v5
	v_add_f32_e32 v4, v4, v5
	v_add_f32_e32 v3, v3, v5
	v_cndmask_b32_e64 v5, v68, v89, s9
	v_cmp_gt_i32_e64 s9, 32, v90
	v_add_f32_e32 v7, 0x40051340, v4
	v_add_f32_e32 v9, 0x40051340, v3
	v_lshlrev_b32_e32 v5, 2, v5
	v_max_f32_e32 v6, v6, v7
	v_max_f32_e32 v7, v8, v9
	v_cndmask_b32_e64 v9, v68, v90, s9
	v_cmp_gt_i32_e64 s9, 32, v91
	ds_bpermute_b32 v8, v5, v6
	ds_bpermute_b32 v5, v5, v7
	v_lshlrev_b32_e32 v9, 2, v9
	s_waitcnt lgkmcnt(1)
	v_max_f32_e32 v8, v8, v8
	s_waitcnt lgkmcnt(0)
	v_max_f32_e32 v5, v5, v5
	v_max_f32_e32 v6, v6, v8
	;; [unrolled: 1-line block ×3, first 2 shown]
	ds_bpermute_b32 v7, v9, v6
	ds_bpermute_b32 v8, v9, v5
	v_cndmask_b32_e64 v9, v68, v91, s9
	v_cmp_gt_i32_e64 s9, 32, v92
	v_lshlrev_b32_e32 v9, 2, v9
	s_waitcnt lgkmcnt(1)
	v_max_f32_e32 v7, v7, v7
	s_waitcnt lgkmcnt(0)
	v_max_f32_e32 v8, v8, v8
	v_max_f32_e32 v6, v6, v7
	;; [unrolled: 1-line block ×3, first 2 shown]
	ds_bpermute_b32 v7, v9, v6
	ds_bpermute_b32 v8, v9, v5
	v_cndmask_b32_e64 v9, v68, v92, s9
	v_cmp_gt_i32_e64 s9, 32, v93
	v_lshlrev_b32_e32 v9, 2, v9
	s_waitcnt lgkmcnt(1)
	v_max_f32_e32 v7, v7, v7
	s_waitcnt lgkmcnt(0)
	v_max_f32_e32 v8, v8, v8
	v_max_f32_e32 v6, v6, v7
	;; [unrolled: 1-line block ×3, first 2 shown]
	ds_bpermute_b32 v7, v9, v6
	ds_bpermute_b32 v8, v9, v5
	v_cndmask_b32_e64 v9, v68, v93, s9
	v_lshlrev_b32_e32 v9, 2, v9
	s_waitcnt lgkmcnt(1)
	v_max_f32_e32 v7, v7, v7
	s_waitcnt lgkmcnt(0)
	v_max_f32_e32 v8, v8, v8
	v_max_f32_e32 v6, v6, v7
	;; [unrolled: 1-line block ×3, first 2 shown]
	ds_bpermute_b32 v7, v9, v6
	ds_bpermute_b32 v8, v9, v5
	s_waitcnt lgkmcnt(1)
	v_max_f32_e32 v7, v7, v7
	s_waitcnt lgkmcnt(0)
	v_max_f32_e32 v8, v8, v8
	v_max_f32_e32 v64, v6, v7
	;; [unrolled: 1-line block ×3, first 2 shown]
	v_sub_f32_e32 v4, v4, v64
	v_sub_f32_e32 v3, v3, v65
	;; [unrolled: 1-line block ×4, first 2 shown]
	v_mul_f32_e32 v5, 0x3fb8aa3b, v4
	v_mul_f32_e32 v6, 0x3fb8aa3b, v3
	v_cmp_ngt_f32_e64 s9, 0xc2ce8ed0, v4
	v_cmp_ngt_f32_e64 s11, 0xc2ce8ed0, v97
	;; [unrolled: 1-line block ×3, first 2 shown]
	v_fma_f32 v7, 0x3fb8aa3b, v4, -v5
	v_rndne_f32_e32 v8, v5
	v_fma_f32 v9, 0x3fb8aa3b, v3, -v6
	v_rndne_f32_e32 v10, v6
	v_cmp_nlt_f32_e64 s10, 0x42b17218, v98
	v_fmac_f32_e32 v7, 0x32a5705f, v4
	v_sub_f32_e32 v5, v5, v8
	v_fmac_f32_e32 v9, 0x32a5705f, v3
	v_sub_f32_e32 v6, v6, v10
	v_add_f32_e32 v5, v5, v7
	v_cvt_i32_f32_e32 v7, v8
	v_add_f32_e32 v6, v6, v9
	v_cvt_i32_f32_e32 v8, v10
	v_exp_f32_e32 v5, v5
	v_exp_f32_e32 v6, v6
	v_ldexp_f32 v5, v5, v7
	v_ldexp_f32 v6, v6, v8
	v_cndmask_b32_e64 v1, 0, v5, s9
	v_cmp_ngt_f32_e64 s9, 0xc2ce8ed0, v3
	v_cndmask_b32_e64 v5, 0, v6, s9
	v_cmp_nlt_f32_e64 s9, 0x42b17218, v4
	v_cndmask_b32_e64 v95, 0x7f800000, v1, s9
	v_cmp_nlt_f32_e64 s9, 0x42b17218, v3
	v_add_nc_u32_e32 v3, v77, v49
	v_cvt_f16_f32_e32 v1, v95
	v_cndmask_b32_e64 v94, 0x7f800000, v5, s9
	v_cmp_nlt_f32_e64 s9, 0x42b17218, v97
	v_cvt_f16_f32_e32 v2, v94
	v_pack_b32_f16 v1, v1, v2
	ds_write_b32 v3, v1
	s_and_saveexec_b32 s39, s3
	s_cbranch_execnz .LBB24_33
; %bb.20:                               ;   in Loop: Header=BB24_11 Depth=1
	s_or_b32 exec_lo, exec_lo, s39
	s_and_saveexec_b32 s39, s6
	s_cbranch_execnz .LBB24_34
.LBB24_21:                              ;   in Loop: Header=BB24_11 Depth=1
	s_or_b32 exec_lo, exec_lo, s39
	v_lshlrev_b32_e32 v99, 2, v79
	s_and_saveexec_b32 s39, s8
	s_cbranch_execz .LBB24_23
.LBB24_22:                              ;   in Loop: Header=BB24_11 Depth=1
	v_add_co_u32 v1, s13, s35, v62
	v_add_co_ci_u32_e64 v2, null, s38, v63, s13
	v_add_co_u32 v1, s13, v1, v99
	v_add_co_ci_u32_e64 v2, null, 0, v2, s13
	global_load_dwordx4 v[1:4], v[1:2], off
	s_waitcnt vmcnt(0)
	ds_write_b128 v82, v[1:4]
.LBB24_23:                              ;   in Loop: Header=BB24_11 Depth=1
	s_or_b32 exec_lo, exec_lo, s39
	v_add_nc_u32_e32 v96, 0x800, v67
	s_waitcnt lgkmcnt(0)
	s_barrier
	buffer_gl0_inv
	ds_read2_b64 v[29:32], v67 offset1:28
	ds_read_b128 v[45:48], v77
	ds_read_b128 v[41:44], v77 offset:16
	ds_read_b128 v[37:40], v77 offset:32
	;; [unrolled: 1-line block ×3, first 2 shown]
	ds_read2_b64 v[33:36], v67 offset0:56 offset1:84
	ds_read2_b64 v[21:24], v67 offset0:112 offset1:140
	;; [unrolled: 1-line block ×7, first 2 shown]
	s_or_b32 s13, s18, 16
	s_waitcnt lgkmcnt(0)
	s_mul_hi_i32 s39, s13, s19
	s_mul_i32 s38, s13, s19
	s_barrier
	s_lshl_b64 s[38:39], s[38:39], 2
	buffer_gl0_inv
	s_add_u32 s35, s30, s38
	s_addc_u32 s38, s31, s39
	s_and_saveexec_b32 s39, s3
	s_cbranch_execnz .LBB24_35
; %bb.24:                               ;   in Loop: Header=BB24_11 Depth=1
	s_or_b32 exec_lo, exec_lo, s39
	s_and_saveexec_b32 s39, s6
	s_cbranch_execnz .LBB24_36
.LBB24_25:                              ;   in Loop: Header=BB24_11 Depth=1
	s_or_b32 exec_lo, exec_lo, s39
	s_and_saveexec_b32 s39, s8
	s_cbranch_execz .LBB24_27
.LBB24_26:                              ;   in Loop: Header=BB24_11 Depth=1
	v_add_co_u32 v100, s13, s35, v62
	v_add_co_ci_u32_e64 v101, null, s38, v63, s13
	v_add_co_u32 v99, s13, v100, v99
	v_add_co_ci_u32_e64 v100, null, 0, v101, s13
	global_load_dwordx4 v[99:102], v[99:100], off
	s_waitcnt vmcnt(0)
	ds_write_b128 v82, v[99:102]
.LBB24_27:                              ;   in Loop: Header=BB24_11 Depth=1
	s_or_b32 exec_lo, exec_lo, s39
	v_mul_f32_e32 v99, 0x3fb8aa3b, v97
	v_mul_f32_e32 v100, 0x3fb8aa3b, v98
	v_mul_u32_u24_sdwa v101, v45, v86 dst_sel:DWORD dst_unused:UNUSED_PAD src0_sel:WORD_0 src1_sel:DWORD
	v_mul_u32_u24_sdwa v45, v45, v86 dst_sel:DWORD dst_unused:UNUSED_PAD src0_sel:WORD_1 src1_sel:DWORD
	v_mul_u32_u24_sdwa v113, v25, v86 dst_sel:DWORD dst_unused:UNUSED_PAD src0_sel:WORD_0 src1_sel:DWORD
	v_fma_f32 v102, 0x3fb8aa3b, v97, -v99
	v_rndne_f32_e32 v103, v99
	v_fma_f32 v104, 0x3fb8aa3b, v98, -v100
	v_rndne_f32_e32 v105, v100
	v_mul_u32_u24_sdwa v114, v25, v86 dst_sel:DWORD dst_unused:UNUSED_PAD src0_sel:WORD_1 src1_sel:DWORD
	v_fmac_f32_e32 v102, 0x32a5705f, v97
	v_sub_f32_e32 v97, v99, v103
	v_fmac_f32_e32 v104, 0x32a5705f, v98
	v_sub_f32_e32 v98, v100, v105
	v_cvt_i32_f32_e32 v103, v103
	v_cvt_i32_f32_e32 v105, v105
	v_add_f32_e32 v97, v97, v102
	v_mul_u32_u24_sdwa v99, v46, v86 dst_sel:DWORD dst_unused:UNUSED_PAD src0_sel:WORD_0 src1_sel:DWORD
	v_add_f32_e32 v98, v98, v104
	v_mul_u32_u24_sdwa v46, v46, v86 dst_sel:DWORD dst_unused:UNUSED_PAD src0_sel:WORD_1 src1_sel:DWORD
	v_mul_u32_u24_sdwa v100, v47, v86 dst_sel:DWORD dst_unused:UNUSED_PAD src0_sel:WORD_0 src1_sel:DWORD
	v_exp_f32_e32 v97, v97
	v_mul_u32_u24_sdwa v47, v47, v86 dst_sel:DWORD dst_unused:UNUSED_PAD src0_sel:WORD_1 src1_sel:DWORD
	v_exp_f32_e32 v98, v98
	v_mul_u32_u24_sdwa v115, v26, v86 dst_sel:DWORD dst_unused:UNUSED_PAD src0_sel:WORD_0 src1_sel:DWORD
	v_mul_u32_u24_sdwa v102, v48, v86 dst_sel:DWORD dst_unused:UNUSED_PAD src0_sel:WORD_0 src1_sel:DWORD
	v_mul_u32_u24_sdwa v48, v48, v86 dst_sel:DWORD dst_unused:UNUSED_PAD src0_sel:WORD_1 src1_sel:DWORD
	v_mul_u32_u24_sdwa v104, v41, v86 dst_sel:DWORD dst_unused:UNUSED_PAD src0_sel:WORD_0 src1_sel:DWORD
	v_mul_u32_u24_sdwa v41, v41, v86 dst_sel:DWORD dst_unused:UNUSED_PAD src0_sel:WORD_1 src1_sel:DWORD
	;; [unrolled: 2-line block ×3, first 2 shown]
	v_ldexp_f32 v97, v97, v103
	v_mul_u32_u24_sdwa v107, v43, v86 dst_sel:DWORD dst_unused:UNUSED_PAD src0_sel:WORD_0 src1_sel:DWORD
	v_ldexp_f32 v98, v98, v105
	v_mul_u32_u24_sdwa v43, v43, v86 dst_sel:DWORD dst_unused:UNUSED_PAD src0_sel:WORD_1 src1_sel:DWORD
	v_mul_u32_u24_sdwa v103, v44, v86 dst_sel:DWORD dst_unused:UNUSED_PAD src0_sel:WORD_0 src1_sel:DWORD
	v_cndmask_b32_e64 v97, 0, v97, s11
	v_mul_u32_u24_sdwa v44, v44, v86 dst_sel:DWORD dst_unused:UNUSED_PAD src0_sel:WORD_1 src1_sel:DWORD
	v_cndmask_b32_e64 v98, 0, v98, s12
	v_mul_u32_u24_sdwa v105, v37, v86 dst_sel:DWORD dst_unused:UNUSED_PAD src0_sel:WORD_0 src1_sel:DWORD
	v_mul_u32_u24_sdwa v37, v37, v86 dst_sel:DWORD dst_unused:UNUSED_PAD src0_sel:WORD_1 src1_sel:DWORD
	v_cndmask_b32_e64 v97, 0x7f800000, v97, s9
	v_mul_u32_u24_sdwa v108, v38, v86 dst_sel:DWORD dst_unused:UNUSED_PAD src0_sel:WORD_0 src1_sel:DWORD
	v_cndmask_b32_e64 v98, 0x7f800000, v98, s10
	v_mul_u32_u24_sdwa v38, v38, v86 dst_sel:DWORD dst_unused:UNUSED_PAD src0_sel:WORD_1 src1_sel:DWORD
	v_mul_u32_u24_sdwa v109, v39, v86 dst_sel:DWORD dst_unused:UNUSED_PAD src0_sel:WORD_0 src1_sel:DWORD
	v_cvt_f16_f32_e32 v111, v97
	v_mul_u32_u24_sdwa v39, v39, v86 dst_sel:DWORD dst_unused:UNUSED_PAD src0_sel:WORD_1 src1_sel:DWORD
	v_cvt_f16_f32_e32 v112, v98
	v_mul_u32_u24_sdwa v110, v40, v86 dst_sel:DWORD dst_unused:UNUSED_PAD src0_sel:WORD_0 src1_sel:DWORD
	v_mul_u32_u24_sdwa v40, v40, v86 dst_sel:DWORD dst_unused:UNUSED_PAD src0_sel:WORD_1 src1_sel:DWORD
	v_mul_u32_u24_sdwa v25, v111, v86 dst_sel:DWORD dst_unused:UNUSED_PAD src0_sel:WORD_0 src1_sel:DWORD
	s_waitcnt lgkmcnt(0)
	v_mul_u32_u24_sdwa v111, v112, v86 dst_sel:DWORD dst_unused:UNUSED_PAD src0_sel:WORD_0 src1_sel:DWORD
	v_pk_mul_f16 v112, v29, v101
	v_pk_mul_f16 v29, v29, v45
	;; [unrolled: 1-line block ×3, first 2 shown]
	s_barrier
	v_pk_mul_f16 v69, v69, v111
	v_pk_fma_f16 v25, v78, v25, v112
	v_pk_fma_f16 v29, v71, v111, v29
	v_mul_u32_u24_sdwa v71, v26, v86 dst_sel:DWORD dst_unused:UNUSED_PAD src0_sel:WORD_1 src1_sel:DWORD
	v_pk_fma_f16 v26, v30, v101, v83
	v_pk_fma_f16 v30, v30, v45, v69
	;; [unrolled: 1-line block ×4, first 2 shown]
	v_mul_u32_u24_sdwa v31, v27, v86 dst_sel:DWORD dst_unused:UNUSED_PAD src0_sel:WORD_0 src1_sel:DWORD
	v_pk_fma_f16 v26, v32, v99, v26
	v_pk_fma_f16 v30, v32, v46, v30
	;; [unrolled: 1-line block ×4, first 2 shown]
	v_mul_u32_u24_sdwa v32, v27, v86 dst_sel:DWORD dst_unused:UNUSED_PAD src0_sel:WORD_1 src1_sel:DWORD
	v_pk_fma_f16 v26, v34, v100, v26
	v_pk_fma_f16 v27, v34, v47, v30
	;; [unrolled: 1-line block ×4, first 2 shown]
	buffer_gl0_inv
	v_pk_fma_f16 v26, v36, v102, v26
	v_pk_fma_f16 v27, v36, v48, v27
	v_pk_fma_f16 v25, v21, v104, v25
	v_pk_fma_f16 v21, v21, v41, v29
	v_mul_u32_u24_sdwa v30, v28, v86 dst_sel:DWORD dst_unused:UNUSED_PAD src0_sel:WORD_0 src1_sel:DWORD
	v_pk_fma_f16 v26, v22, v104, v26
	v_pk_fma_f16 v22, v22, v41, v27
	;; [unrolled: 1-line block ×4, first 2 shown]
	v_mul_u32_u24_sdwa v29, v28, v86 dst_sel:DWORD dst_unused:UNUSED_PAD src0_sel:WORD_1 src1_sel:DWORD
	v_pk_fma_f16 v23, v24, v106, v26
	v_pk_fma_f16 v22, v24, v42, v22
	;; [unrolled: 1-line block ×4, first 2 shown]
	v_fmac_f32_e32 v95, v88, v97
	v_pk_fma_f16 v21, v18, v107, v23
	v_pk_fma_f16 v18, v18, v43, v22
	;; [unrolled: 1-line block ×4, first 2 shown]
	v_fmac_f32_e32 v94, v87, v98
	v_pk_fma_f16 v21, v20, v103, v21
	v_pk_fma_f16 v23, v20, v44, v18
	;; [unrolled: 1-line block ×4, first 2 shown]
	ds_read_b128 v[17:20], v77 offset:64
	v_pk_fma_f16 v25, v14, v105, v21
	v_pk_fma_f16 v14, v14, v37, v23
	;; [unrolled: 1-line block ×4, first 2 shown]
	ds_read2_b64 v[21:24], v67 offset1:28
	v_pk_fma_f16 v25, v16, v108, v25
	v_pk_fma_f16 v27, v16, v38, v14
	;; [unrolled: 1-line block ×4, first 2 shown]
	ds_read_b128 v[13:16], v77 offset:80
	v_pk_fma_f16 v33, v10, v109, v25
	v_pk_fma_f16 v10, v10, v39, v27
	;; [unrolled: 1-line block ×4, first 2 shown]
	ds_read2_b64 v[25:28], v67 offset0:56 offset1:84
	v_pk_fma_f16 v11, v12, v110, v33
	v_pk_fma_f16 v10, v12, v40, v10
	v_pk_fma_f16 v12, v5, v113, v34
	v_pk_fma_f16 v5, v5, v114, v9
	s_waitcnt lgkmcnt(3)
	v_mul_u32_u24_sdwa v9, v17, v86 dst_sel:DWORD dst_unused:UNUSED_PAD src0_sel:WORD_0 src1_sel:DWORD
	v_pk_fma_f16 v11, v6, v113, v11
	v_pk_fma_f16 v6, v6, v114, v10
	;; [unrolled: 1-line block ×4, first 2 shown]
	v_mul_u32_u24_sdwa v7, v17, v86 dst_sel:DWORD dst_unused:UNUSED_PAD src0_sel:WORD_1 src1_sel:DWORD
	v_pk_fma_f16 v11, v8, v115, v11
	v_pk_fma_f16 v6, v8, v71, v6
	;; [unrolled: 1-line block ×4, first 2 shown]
	v_mul_u32_u24_sdwa v5, v18, v86 dst_sel:DWORD dst_unused:UNUSED_PAD src0_sel:WORD_0 src1_sel:DWORD
	v_pk_fma_f16 v10, v2, v31, v11
	v_pk_fma_f16 v2, v2, v32, v6
	;; [unrolled: 1-line block ×4, first 2 shown]
	v_mul_u32_u24_sdwa v8, v18, v86 dst_sel:DWORD dst_unused:UNUSED_PAD src0_sel:WORD_1 src1_sel:DWORD
	v_pk_fma_f16 v3, v4, v30, v10
	v_pk_fma_f16 v2, v4, v29, v2
	s_waitcnt lgkmcnt(2)
	v_pk_fma_f16 v4, v21, v9, v6
	v_pk_fma_f16 v1, v21, v7, v1
	v_mul_u32_u24_sdwa v11, v19, v86 dst_sel:DWORD dst_unused:UNUSED_PAD src0_sel:WORD_0 src1_sel:DWORD
	v_pk_fma_f16 v6, v22, v9, v3
	v_pk_fma_f16 v7, v22, v7, v2
	v_pk_fma_f16 v9, v23, v5, v4
	v_pk_fma_f16 v10, v23, v8, v1
	ds_read2_b64 v[1:4], v67 offset0:112 offset1:140
	v_mul_u32_u24_sdwa v12, v19, v86 dst_sel:DWORD dst_unused:UNUSED_PAD src0_sel:WORD_1 src1_sel:DWORD
	v_pk_fma_f16 v5, v24, v5, v6
	v_pk_fma_f16 v6, v24, v8, v7
	s_waitcnt lgkmcnt(1)
	v_pk_fma_f16 v7, v25, v11, v9
	v_mul_u32_u24_sdwa v9, v20, v86 dst_sel:DWORD dst_unused:UNUSED_PAD src0_sel:WORD_0 src1_sel:DWORD
	v_pk_fma_f16 v8, v25, v12, v10
	v_mul_u32_u24_sdwa v10, v20, v86 dst_sel:DWORD dst_unused:UNUSED_PAD src0_sel:WORD_1 src1_sel:DWORD
	v_pk_fma_f16 v11, v26, v11, v5
	v_pk_fma_f16 v12, v26, v12, v6
	;; [unrolled: 1-line block ×3, first 2 shown]
	v_mul_u32_u24_sdwa v19, v13, v86 dst_sel:DWORD dst_unused:UNUSED_PAD src0_sel:WORD_0 src1_sel:DWORD
	v_pk_fma_f16 v18, v27, v10, v8
	ds_read2_b64 v[5:8], v67 offset0:168 offset1:196
	v_mul_u32_u24_sdwa v13, v13, v86 dst_sel:DWORD dst_unused:UNUSED_PAD src0_sel:WORD_1 src1_sel:DWORD
	v_pk_fma_f16 v20, v28, v9, v11
	v_pk_fma_f16 v21, v28, v10, v12
	v_mul_u32_u24_sdwa v22, v14, v86 dst_sel:DWORD dst_unused:UNUSED_PAD src0_sel:WORD_0 src1_sel:DWORD
	ds_read_b128 v[9:12], v77 offset:96
	v_mul_u32_u24_sdwa v14, v14, v86 dst_sel:DWORD dst_unused:UNUSED_PAD src0_sel:WORD_1 src1_sel:DWORD
	s_waitcnt lgkmcnt(2)
	v_pk_fma_f16 v17, v1, v19, v17
	v_pk_fma_f16 v1, v1, v13, v18
	;; [unrolled: 1-line block ×4, first 2 shown]
	v_mul_u32_u24_sdwa v21, v15, v86 dst_sel:DWORD dst_unused:UNUSED_PAD src0_sel:WORD_0 src1_sel:DWORD
	v_pk_fma_f16 v13, v3, v22, v17
	ds_read2_b64 v[17:20], v67 offset0:224 offset1:252
	v_pk_fma_f16 v1, v3, v14, v1
	v_mul_u32_u24_sdwa v15, v15, v86 dst_sel:DWORD dst_unused:UNUSED_PAD src0_sel:WORD_1 src1_sel:DWORD
	v_pk_fma_f16 v22, v4, v22, v23
	v_pk_fma_f16 v14, v4, v14, v2
	v_mul_u32_u24_sdwa v23, v16, v86 dst_sel:DWORD dst_unused:UNUSED_PAD src0_sel:WORD_0 src1_sel:DWORD
	v_mul_u32_u24_sdwa v24, v16, v86 dst_sel:DWORD dst_unused:UNUSED_PAD src0_sel:WORD_1 src1_sel:DWORD
	s_waitcnt lgkmcnt(2)
	v_pk_fma_f16 v13, v5, v21, v13
	v_pk_fma_f16 v5, v5, v15, v1
	;; [unrolled: 1-line block ×4, first 2 shown]
	ds_read_b128 v[1:4], v77 offset:112
	v_pk_fma_f16 v22, v7, v23, v13
	ds_read2_b64 v[13:16], v96 offset0:24 offset1:52
	v_pk_fma_f16 v5, v7, v24, v5
	s_waitcnt lgkmcnt(3)
	v_mul_u32_u24_sdwa v7, v9, v86 dst_sel:DWORD dst_unused:UNUSED_PAD src0_sel:WORD_0 src1_sel:DWORD
	v_mul_u32_u24_sdwa v9, v9, v86 dst_sel:DWORD dst_unused:UNUSED_PAD src0_sel:WORD_1 src1_sel:DWORD
	v_pk_fma_f16 v21, v8, v23, v21
	v_pk_fma_f16 v6, v8, v24, v6
	s_waitcnt lgkmcnt(2)
	v_pk_fma_f16 v8, v17, v7, v22
	v_pk_fma_f16 v5, v17, v9, v5
	v_mul_u32_u24_sdwa v17, v10, v86 dst_sel:DWORD dst_unused:UNUSED_PAD src0_sel:WORD_0 src1_sel:DWORD
	v_mul_u32_u24_sdwa v10, v10, v86 dst_sel:DWORD dst_unused:UNUSED_PAD src0_sel:WORD_1 src1_sel:DWORD
	v_pk_fma_f16 v21, v18, v7, v21
	v_pk_fma_f16 v9, v18, v9, v6
	v_mul_u32_u24_sdwa v22, v11, v86 dst_sel:DWORD dst_unused:UNUSED_PAD src0_sel:WORD_0 src1_sel:DWORD
	v_pk_fma_f16 v18, v19, v17, v8
	v_pk_fma_f16 v19, v19, v10, v5
	ds_read2_b64 v[5:8], v96 offset0:80 offset1:108
	v_mul_u32_u24_sdwa v11, v11, v86 dst_sel:DWORD dst_unused:UNUSED_PAD src0_sel:WORD_1 src1_sel:DWORD
	v_pk_fma_f16 v17, v20, v17, v21
	v_pk_fma_f16 v9, v20, v10, v9
	s_waitcnt lgkmcnt(1)
	v_pk_fma_f16 v10, v13, v22, v18
	v_mul_u32_u24_sdwa v18, v12, v86 dst_sel:DWORD dst_unused:UNUSED_PAD src0_sel:WORD_0 src1_sel:DWORD
	v_pk_fma_f16 v13, v13, v11, v19
	v_mul_u32_u24_sdwa v19, v12, v86 dst_sel:DWORD dst_unused:UNUSED_PAD src0_sel:WORD_1 src1_sel:DWORD
	v_pk_fma_f16 v17, v14, v22, v17
	v_pk_fma_f16 v14, v14, v11, v9
	;; [unrolled: 1-line block ×3, first 2 shown]
	ds_read2_b64 v[9:12], v96 offset0:136 offset1:164
	s_waitcnt lgkmcnt(0)
	s_barrier
	buffer_gl0_inv
	s_load_dword s9, s[14:15], 0x4
	v_pk_fma_f16 v13, v15, v19, v13
	v_mul_u32_u24_sdwa v15, v1, v86 dst_sel:DWORD dst_unused:UNUSED_PAD src0_sel:WORD_0 src1_sel:DWORD
	v_mul_u32_u24_sdwa v1, v1, v86 dst_sel:DWORD dst_unused:UNUSED_PAD src0_sel:WORD_1 src1_sel:DWORD
	v_pk_fma_f16 v17, v16, v18, v17
	v_pk_fma_f16 v14, v16, v19, v14
	;; [unrolled: 1-line block ×4, first 2 shown]
	v_mul_u32_u24_sdwa v13, v2, v86 dst_sel:DWORD dst_unused:UNUSED_PAD src0_sel:WORD_0 src1_sel:DWORD
	v_mul_u32_u24_sdwa v2, v2, v86 dst_sel:DWORD dst_unused:UNUSED_PAD src0_sel:WORD_1 src1_sel:DWORD
	v_pk_fma_f16 v15, v6, v15, v17
	v_pk_fma_f16 v1, v6, v1, v14
	;; [unrolled: 1-line block ×4, first 2 shown]
	v_mul_u32_u24_sdwa v7, v3, v86 dst_sel:DWORD dst_unused:UNUSED_PAD src0_sel:WORD_0 src1_sel:DWORD
	v_mul_u32_u24_sdwa v3, v3, v86 dst_sel:DWORD dst_unused:UNUSED_PAD src0_sel:WORD_1 src1_sel:DWORD
	v_pk_fma_f16 v13, v8, v13, v15
	v_pk_fma_f16 v1, v8, v2, v1
	s_waitcnt lgkmcnt(0)
	s_lshl_b32 s9, s9, 5
	v_pk_fma_f16 v2, v9, v7, v6
	v_pk_fma_f16 v5, v9, v3, v5
	v_mul_u32_u24_sdwa v6, v4, v86 dst_sel:DWORD dst_unused:UNUSED_PAD src0_sel:WORD_0 src1_sel:DWORD
	v_mul_u32_u24_sdwa v4, v4, v86 dst_sel:DWORD dst_unused:UNUSED_PAD src0_sel:WORD_1 src1_sel:DWORD
	v_pk_fma_f16 v7, v10, v7, v13
	v_pk_fma_f16 v1, v10, v3, v1
	s_add_i32 s18, s9, s18
	v_pk_fma_f16 v78, v11, v6, v2
	v_pk_fma_f16 v71, v11, v4, v5
	;; [unrolled: 1-line block ×4, first 2 shown]
	s_cmp_ge_i32 s18, s34
	s_cbranch_scc1 .LBB24_37
; %bb.28:                               ;   in Loop: Header=BB24_11 Depth=1
	v_mov_b32_e32 v1, v64
	v_mov_b32_e32 v2, v65
	;; [unrolled: 1-line block ×4, first 2 shown]
	s_branch .LBB24_11
.LBB24_29:                              ;   in Loop: Header=BB24_11 Depth=1
	v_add_co_u32 v3, s9, s10, v52
	v_add_co_ci_u32_e64 v4, null, s11, v53, s9
	global_load_dwordx4 v[3:6], v[3:4], off offset:96
	s_waitcnt vmcnt(0)
	ds_write_b128 v73, v[3:6]
	s_or_b32 exec_lo, exec_lo, s12
	s_and_saveexec_b32 s12, s1
	s_cbranch_execz .LBB24_13
.LBB24_30:                              ;   in Loop: Header=BB24_11 Depth=1
	v_add_co_u32 v3, s9, s10, v54
	v_add_co_ci_u32_e64 v4, null, s11, v55, s9
	v_add_co_u32 v3, s9, v3, v84
	v_add_co_ci_u32_e64 v4, null, 0, v4, s9
	global_load_dwordx4 v[3:6], v[3:4], off offset:64
	s_waitcnt vmcnt(0)
	ds_write_b128 v74, v[3:6]
	s_or_b32 exec_lo, exec_lo, s12
	s_and_saveexec_b32 s12, s2
	s_cbranch_execnz .LBB24_14
	s_branch .LBB24_15
.LBB24_31:                              ;   in Loop: Header=BB24_11 Depth=1
	v_add_co_u32 v5, s9, s10, v52
	v_add_co_ci_u32_e64 v6, null, s11, v53, s9
	global_load_dwordx4 v[5:8], v[5:6], off offset:208
	s_waitcnt vmcnt(0)
	ds_write_b128 v73, v[5:8]
	s_or_b32 exec_lo, exec_lo, s12
	s_and_saveexec_b32 s12, s1
	s_cbranch_execz .LBB24_17
.LBB24_32:                              ;   in Loop: Header=BB24_11 Depth=1
	v_add_co_u32 v5, s9, s10, v54
	v_add_co_ci_u32_e64 v6, null, s11, v55, s9
	v_add_co_u32 v5, s9, v5, v84
	v_add_co_ci_u32_e64 v6, null, 0, v6, s9
	global_load_dwordx4 v[5:8], v[5:6], off offset:176
	s_waitcnt vmcnt(0)
	ds_write_b128 v74, v[5:8]
	s_or_b32 exec_lo, exec_lo, s12
	s_and_saveexec_b32 s12, s2
	s_cbranch_execnz .LBB24_18
	s_branch .LBB24_19
.LBB24_33:                              ;   in Loop: Header=BB24_11 Depth=1
	v_add_co_u32 v1, s13, s35, v58
	v_add_co_ci_u32_e64 v2, null, s38, v59, s13
	v_add_co_u32 v1, s13, v1, v84
	v_add_co_ci_u32_e64 v2, null, 0, v2, s13
	global_load_dwordx4 v[1:4], v[1:2], off offset:192
	s_waitcnt vmcnt(0)
	ds_write_b128 v80, v[1:4]
	s_or_b32 exec_lo, exec_lo, s39
	s_and_saveexec_b32 s39, s6
	s_cbranch_execz .LBB24_21
.LBB24_34:                              ;   in Loop: Header=BB24_11 Depth=1
	v_add_co_u32 v1, s13, s35, v60
	v_add_co_ci_u32_e64 v2, null, s38, v61, s13
	v_add_co_u32 v1, s13, v1, v85
	v_add_co_ci_u32_e64 v2, null, 0, v2, s13
	global_load_dwordx4 v[1:4], v[1:2], off offset:128
	s_waitcnt vmcnt(0)
	ds_write_b128 v81, v[1:4]
	s_or_b32 exec_lo, exec_lo, s39
	v_lshlrev_b32_e32 v99, 2, v79
	s_and_saveexec_b32 s39, s8
	s_cbranch_execnz .LBB24_22
	s_branch .LBB24_23
.LBB24_35:                              ;   in Loop: Header=BB24_11 Depth=1
	v_add_co_u32 v100, s13, s35, v58
	v_add_co_ci_u32_e64 v101, null, s38, v59, s13
	v_add_co_u32 v100, s13, v100, v84
	v_add_co_ci_u32_e64 v101, null, 0, v101, s13
	global_load_dwordx4 v[100:103], v[100:101], off offset:192
	s_waitcnt vmcnt(0)
	ds_write_b128 v80, v[100:103]
	s_or_b32 exec_lo, exec_lo, s39
	s_and_saveexec_b32 s39, s6
	s_cbranch_execz .LBB24_25
.LBB24_36:                              ;   in Loop: Header=BB24_11 Depth=1
	v_add_co_u32 v100, s13, s35, v60
	v_add_co_ci_u32_e64 v101, null, s38, v61, s13
	v_add_co_u32 v100, s13, v100, v85
	v_add_co_ci_u32_e64 v101, null, 0, v101, s13
	global_load_dwordx4 v[100:103], v[100:101], off offset:128
	s_waitcnt vmcnt(0)
	ds_write_b128 v81, v[100:103]
	s_or_b32 exec_lo, exec_lo, s39
	s_and_saveexec_b32 s39, s8
	s_cbranch_execnz .LBB24_26
	s_branch .LBB24_27
.LBB24_37:
	v_mov_b32_e32 v3, v68
.LBB24_38:
	v_cmp_lt_i32_e32 vcc_lo, v89, v70
	s_cmp_lg_u64 s[16:17], 0
	s_cselect_b32 s1, -1, 0
	s_cmp_eq_u32 s7, 0
	v_cndmask_b32_e32 v1, v3, v89, vcc_lo
	v_cmp_lt_i32_e32 vcc_lo, v90, v70
	s_cselect_b32 s2, -1, 0
	s_and_b32 s1, s2, s1
	v_lshlrev_b32_e32 v1, 2, v1
	v_cndmask_b32_e32 v4, v3, v90, vcc_lo
	v_cmp_lt_i32_e32 vcc_lo, v91, v70
	ds_bpermute_b32 v2, v1, v95
	ds_bpermute_b32 v1, v1, v94
	v_lshlrev_b32_e32 v4, 2, v4
	v_cndmask_b32_e32 v6, v3, v91, vcc_lo
	v_cmp_lt_i32_e32 vcc_lo, v92, v70
	v_lshlrev_b32_e32 v6, 2, v6
	s_waitcnt lgkmcnt(1)
	v_add_f32_e32 v2, v95, v2
	s_waitcnt lgkmcnt(0)
	v_add_f32_e32 v1, v94, v1
	ds_bpermute_b32 v5, v4, v2
	ds_bpermute_b32 v4, v4, v1
	s_waitcnt lgkmcnt(1)
	v_add_f32_e32 v2, v2, v5
	s_waitcnt lgkmcnt(0)
	v_add_f32_e32 v1, v1, v4
	ds_bpermute_b32 v4, v6, v2
	ds_bpermute_b32 v5, v6, v1
	v_cndmask_b32_e32 v6, v3, v92, vcc_lo
	v_cmp_lt_i32_e32 vcc_lo, v93, v70
	v_lshlrev_b32_e32 v6, 2, v6
	v_cndmask_b32_e32 v3, v3, v93, vcc_lo
	s_and_b32 vcc_lo, exec_lo, s1
	v_lshlrev_b32_e32 v3, 2, v3
	s_waitcnt lgkmcnt(1)
	v_add_f32_e32 v2, v2, v4
	s_waitcnt lgkmcnt(0)
	v_add_f32_e32 v1, v1, v5
	ds_bpermute_b32 v4, v6, v2
	ds_bpermute_b32 v5, v6, v1
	s_waitcnt lgkmcnt(1)
	v_add_f32_e32 v2, v2, v4
	s_waitcnt lgkmcnt(0)
	v_add_f32_e32 v4, v1, v5
	ds_bpermute_b32 v1, v3, v2
	ds_bpermute_b32 v3, v3, v4
	s_waitcnt lgkmcnt(1)
	v_add_f32_e32 v1, v2, v1
	s_waitcnt lgkmcnt(0)
	v_add_f32_e32 v2, v4, v3
	s_cbranch_vccz .LBB24_41
; %bb.39:
	v_add_nc_u32_e32 v3, s24, v66
	v_max_f32_e32 v5, v64, v64
	v_max_f32_e32 v7, v65, v65
	v_ashrrev_i32_e32 v4, 31, v3
	v_lshlrev_b64 v[3:4], 2, v[3:4]
	v_add_co_u32 v3, vcc_lo, s16, v3
	v_add_co_ci_u32_e64 v4, null, s17, v4, vcc_lo
	global_load_dwordx2 v[3:4], v[3:4], off
	s_waitcnt vmcnt(0)
	v_max_f32_e32 v6, v3, v3
	v_max_f32_e32 v8, v4, v4
	;; [unrolled: 1-line block ×4, first 2 shown]
	v_sub_f32_e32 v7, v64, v5
	v_sub_f32_e32 v8, v65, v6
	;; [unrolled: 1-line block ×4, first 2 shown]
	v_mov_b32_e32 v65, v6
	v_mul_f32_e32 v9, 0x3fb8aa3b, v7
	v_mul_f32_e32 v11, 0x3fb8aa3b, v8
	;; [unrolled: 1-line block ×4, first 2 shown]
	v_cmp_ngt_f32_e32 vcc_lo, 0xc2ce8ed0, v7
	v_fma_f32 v13, 0x3fb8aa3b, v7, -v9
	v_rndne_f32_e32 v14, v9
	v_fma_f32 v17, 0x3fb8aa3b, v8, -v11
	v_rndne_f32_e32 v18, v11
	v_fma_f32 v15, 0x3fb8aa3b, v3, -v10
	v_fmac_f32_e32 v13, 0x32a5705f, v7
	v_sub_f32_e32 v9, v9, v14
	v_rndne_f32_e32 v16, v10
	v_fmac_f32_e32 v17, 0x32a5705f, v8
	v_sub_f32_e32 v11, v11, v18
	v_fmac_f32_e32 v15, 0x32a5705f, v3
	v_add_f32_e32 v9, v9, v13
	v_sub_f32_e32 v10, v10, v16
	v_cvt_i32_f32_e32 v13, v14
	v_add_f32_e32 v11, v11, v17
	v_fma_f32 v19, 0x3fb8aa3b, v4, -v12
	v_exp_f32_e32 v9, v9
	v_add_f32_e32 v10, v10, v15
	v_rndne_f32_e32 v20, v12
	v_exp_f32_e32 v11, v11
	v_cvt_i32_f32_e32 v15, v18
	v_fmac_f32_e32 v19, 0x32a5705f, v4
	v_exp_f32_e32 v10, v10
	v_sub_f32_e32 v12, v12, v20
	v_cvt_i32_f32_e32 v14, v16
	v_cvt_i32_f32_e32 v16, v20
	v_ldexp_f32 v9, v9, v13
	v_mov_b32_e32 v17, 0x10001
	v_add_f32_e32 v12, v12, v19
	v_ldexp_f32 v11, v11, v15
	v_mov_b32_e32 v64, v5
	v_cndmask_b32_e32 v9, 0, v9, vcc_lo
	v_cmp_ngt_f32_e32 vcc_lo, 0xc2ce8ed0, v8
	v_ldexp_f32 v10, v10, v14
	v_exp_f32_e32 v12, v12
	v_cndmask_b32_e32 v11, 0, v11, vcc_lo
	v_cmp_ngt_f32_e32 vcc_lo, 0xc2ce8ed0, v3
	v_cndmask_b32_e32 v10, 0, v10, vcc_lo
	v_cmp_nlt_f32_e32 vcc_lo, 0x42b17218, v7
	v_ldexp_f32 v12, v12, v16
	v_cndmask_b32_e32 v7, 0x7f800000, v9, vcc_lo
	v_cmp_nlt_f32_e32 vcc_lo, 0x42b17218, v8
	v_cndmask_b32_e32 v8, 0x7f800000, v11, vcc_lo
	v_cmp_ngt_f32_e32 vcc_lo, 0xc2ce8ed0, v4
	v_cvt_f16_f32_e32 v11, v8
	v_cndmask_b32_e32 v9, 0, v12, vcc_lo
	v_cmp_nlt_f32_e32 vcc_lo, 0x42b17218, v3
	v_mul_u32_u24_sdwa v5, v11, v17 dst_sel:DWORD dst_unused:UNUSED_PAD src0_sel:WORD_0 src1_sel:DWORD
	v_cndmask_b32_e32 v3, 0x7f800000, v10, vcc_lo
	v_cmp_nlt_f32_e32 vcc_lo, 0x42b17218, v4
	v_cvt_f16_f32_e32 v10, v7
	v_pk_mul_f16 v71, v71, v5
	v_pk_mul_f16 v69, v69, v5
	v_fmac_f32_e32 v3, v1, v7
	v_cndmask_b32_e32 v4, 0x7f800000, v9, vcc_lo
	v_mul_u32_u24_sdwa v7, v10, v17 dst_sel:DWORD dst_unused:UNUSED_PAD src0_sel:WORD_0 src1_sel:DWORD
	v_mov_b32_e32 v1, v3
	v_fmac_f32_e32 v4, v2, v8
	v_pk_mul_f16 v78, v78, v7
	v_pk_mul_f16 v83, v83, v7
	v_mov_b32_e32 v2, v4
	s_mov_b32 s1, exec_lo
	v_cmpx_gt_i32_e64 s26, v50
	s_cbranch_execnz .LBB24_42
.LBB24_40:
	s_endpgm
.LBB24_41:
	v_mov_b32_e32 v4, v2
	v_mov_b32_e32 v3, v1
	s_mov_b32 s1, exec_lo
	v_cmpx_gt_i32_e64 s26, v50
	s_cbranch_execz .LBB24_40
.LBB24_42:
	s_load_dword s1, s[4:5], 0xd4
	v_mov_b32_e32 v6, 1.0
	s_waitcnt lgkmcnt(0)
	s_cmp_lg_u32 s1, 1
	s_cselect_b32 s3, -1, 0
	s_cmp_eq_u32 s1, 1
	s_cselect_b32 s2, -1, 0
	s_and_b32 vcc_lo, exec_lo, s3
	s_cbranch_vccnz .LBB24_44
; %bb.43:
	v_div_scale_f32 v5, null, v1, v1, 1.0
	v_rcp_f32_e32 v6, v5
	v_fma_f32 v7, -v5, v6, 1.0
	v_fmac_f32_e32 v6, v7, v6
	v_div_scale_f32 v7, vcc_lo, 1.0, v1, 1.0
	v_mul_f32_e32 v8, v7, v6
	v_fma_f32 v9, -v5, v8, v7
	v_fmac_f32_e32 v8, v9, v6
	v_fma_f32 v5, -v5, v8, v7
	v_div_fmas_f32 v5, v5, v6, v8
	v_div_fixup_f32 v6, v5, v1, 1.0
.LBB24_44:
	v_mad_u64_u32 v[7:8], null, s33, s26, v[50:51]
	v_mul_lo_u32 v1, v7, s27
	v_add3_u32 v1, s24, v66, v1
	v_mul_lo_u32 v1, s1, v1
	v_add_nc_u32_e32 v5, s7, v1
	s_and_saveexec_b32 s4, s0
	s_cbranch_execz .LBB24_46
; %bb.45:
	v_mad_u64_u32 v[7:8], null, 0x70, v5, v[49:50]
	v_mov_b32_e32 v8, 0
	v_cvt_f32_f16_sdwa v9, v83 dst_sel:DWORD dst_unused:UNUSED_PAD src0_sel:WORD_1
	v_cvt_f32_f16_e32 v12, v83
	v_cvt_f32_f16_sdwa v13, v78 dst_sel:DWORD dst_unused:UNUSED_PAD src0_sel:WORD_1
	v_cvt_f32_f16_e32 v14, v78
	v_mul_f32_e32 v9, v6, v9
	v_lshlrev_b64 v[10:11], 2, v[7:8]
	v_mul_f32_e32 v8, v6, v12
	v_mul_f32_e32 v7, v6, v13
	v_mul_f32_e32 v6, v6, v14
	v_add_co_u32 v10, vcc_lo, s20, v10
	v_add_co_ci_u32_e64 v11, null, s21, v11, vcc_lo
	global_store_dwordx4 v[10:11], v[6:9], off
.LBB24_46:
	s_or_b32 exec_lo, exec_lo, s4
	v_cmp_eq_u32_e32 vcc_lo, 0, v0
	s_and_b32 s3, vcc_lo, s3
	s_and_saveexec_b32 s4, s3
	s_cbranch_execnz .LBB24_50
; %bb.47:
	s_or_b32 exec_lo, exec_lo, s4
	v_mov_b32_e32 v3, 1.0
	s_andn2_b32 vcc_lo, exec_lo, s2
	s_cbranch_vccz .LBB24_51
.LBB24_48:
	v_add3_u32 v0, s7, s1, v1
	s_and_saveexec_b32 s1, s0
	s_cbranch_execnz .LBB24_52
.LBB24_49:
	s_or_b32 exec_lo, exec_lo, s1
	s_and_b32 exec_lo, exec_lo, s3
	s_cbranch_execz .LBB24_40
	s_branch .LBB24_53
.LBB24_50:
	v_ashrrev_i32_e32 v6, 31, v5
	v_mov_b32_e32 v7, v64
	v_mov_b32_e32 v8, v3
	v_lshlrev_b64 v[5:6], 3, v[5:6]
	v_add_co_u32 v5, vcc_lo, s22, v5
	v_add_co_ci_u32_e64 v6, null, s23, v6, vcc_lo
	global_store_dwordx2 v[5:6], v[7:8], off
	s_or_b32 exec_lo, exec_lo, s4
	v_mov_b32_e32 v3, 1.0
	s_andn2_b32 vcc_lo, exec_lo, s2
	s_cbranch_vccnz .LBB24_48
.LBB24_51:
	v_div_scale_f32 v0, null, v2, v2, 1.0
	v_rcp_f32_e32 v3, v0
	v_fma_f32 v5, -v0, v3, 1.0
	v_fmac_f32_e32 v3, v5, v3
	v_div_scale_f32 v5, vcc_lo, 1.0, v2, 1.0
	v_mul_f32_e32 v6, v5, v3
	v_fma_f32 v7, -v0, v6, v5
	v_fmac_f32_e32 v6, v7, v3
	v_fma_f32 v0, -v0, v6, v5
	v_div_fmas_f32 v0, v0, v3, v6
	v_div_fixup_f32 v3, v0, v2, 1.0
	v_add3_u32 v0, s7, s1, v1
	s_and_saveexec_b32 s1, s0
	s_cbranch_execz .LBB24_49
.LBB24_52:
	v_mad_u64_u32 v[1:2], null, 0x70, v0, v[49:50]
	v_mov_b32_e32 v2, 0
	v_cvt_f32_f16_sdwa v5, v69 dst_sel:DWORD dst_unused:UNUSED_PAD src0_sel:WORD_1
	v_cvt_f32_f16_e32 v6, v69
	v_cvt_f32_f16_sdwa v9, v71 dst_sel:DWORD dst_unused:UNUSED_PAD src0_sel:WORD_1
	v_cvt_f32_f16_e32 v10, v71
	v_mul_f32_e32 v8, v3, v5
	v_lshlrev_b64 v[1:2], 2, v[1:2]
	v_mul_f32_e32 v7, v3, v6
	v_mul_f32_e32 v6, v3, v9
	v_mul_f32_e32 v5, v3, v10
	v_add_co_u32 v1, vcc_lo, s20, v1
	v_add_co_ci_u32_e64 v2, null, s21, v2, vcc_lo
	global_store_dwordx4 v[1:2], v[5:8], off
	s_or_b32 exec_lo, exec_lo, s1
	s_and_b32 exec_lo, exec_lo, s3
	s_cbranch_execz .LBB24_40
.LBB24_53:
	v_ashrrev_i32_e32 v1, 31, v0
	v_mov_b32_e32 v3, v65
	v_lshlrev_b64 v[0:1], 3, v[0:1]
	v_add_co_u32 v0, vcc_lo, s22, v0
	v_add_co_ci_u32_e64 v1, null, s23, v1, vcc_lo
	global_store_dwordx2 v[0:1], v[3:4], off
	s_endpgm
	.section	.rodata,"a",@progbits
	.p2align	6, 0x0
	.amdhsa_kernel _ZL15flash_attn_tileILi112ELi112ELi4ELi4ELb0EEvPKcS1_S1_S1_S1_PKiPfP15HIP_vector_typeIfLj2EEffffjfiS5_IjLj3EEiiiiiiiiiiiliiliiiiil
		.amdhsa_group_segment_fixed_size 8768
		.amdhsa_private_segment_fixed_size 0
		.amdhsa_kernarg_size 464
		.amdhsa_user_sgpr_count 6
		.amdhsa_user_sgpr_private_segment_buffer 1
		.amdhsa_user_sgpr_dispatch_ptr 0
		.amdhsa_user_sgpr_queue_ptr 0
		.amdhsa_user_sgpr_kernarg_segment_ptr 1
		.amdhsa_user_sgpr_dispatch_id 0
		.amdhsa_user_sgpr_flat_scratch_init 0
		.amdhsa_user_sgpr_private_segment_size 0
		.amdhsa_wavefront_size32 1
		.amdhsa_uses_dynamic_stack 0
		.amdhsa_system_sgpr_private_segment_wavefront_offset 0
		.amdhsa_system_sgpr_workgroup_id_x 1
		.amdhsa_system_sgpr_workgroup_id_y 1
		.amdhsa_system_sgpr_workgroup_id_z 1
		.amdhsa_system_sgpr_workgroup_info 0
		.amdhsa_system_vgpr_workitem_id 1
		.amdhsa_next_free_vgpr 116
		.amdhsa_next_free_sgpr 41
		.amdhsa_reserve_vcc 1
		.amdhsa_reserve_flat_scratch 0
		.amdhsa_float_round_mode_32 0
		.amdhsa_float_round_mode_16_64 0
		.amdhsa_float_denorm_mode_32 3
		.amdhsa_float_denorm_mode_16_64 3
		.amdhsa_dx10_clamp 1
		.amdhsa_ieee_mode 1
		.amdhsa_fp16_overflow 0
		.amdhsa_workgroup_processor_mode 1
		.amdhsa_memory_ordered 1
		.amdhsa_forward_progress 1
		.amdhsa_shared_vgpr_count 0
		.amdhsa_exception_fp_ieee_invalid_op 0
		.amdhsa_exception_fp_denorm_src 0
		.amdhsa_exception_fp_ieee_div_zero 0
		.amdhsa_exception_fp_ieee_overflow 0
		.amdhsa_exception_fp_ieee_underflow 0
		.amdhsa_exception_fp_ieee_inexact 0
		.amdhsa_exception_int_div_zero 0
	.end_amdhsa_kernel
	.section	.text._ZL15flash_attn_tileILi112ELi112ELi4ELi4ELb0EEvPKcS1_S1_S1_S1_PKiPfP15HIP_vector_typeIfLj2EEffffjfiS5_IjLj3EEiiiiiiiiiiiliiliiiiil,"axG",@progbits,_ZL15flash_attn_tileILi112ELi112ELi4ELi4ELb0EEvPKcS1_S1_S1_S1_PKiPfP15HIP_vector_typeIfLj2EEffffjfiS5_IjLj3EEiiiiiiiiiiiliiliiiiil,comdat
.Lfunc_end24:
	.size	_ZL15flash_attn_tileILi112ELi112ELi4ELi4ELb0EEvPKcS1_S1_S1_S1_PKiPfP15HIP_vector_typeIfLj2EEffffjfiS5_IjLj3EEiiiiiiiiiiiliiliiiiil, .Lfunc_end24-_ZL15flash_attn_tileILi112ELi112ELi4ELi4ELb0EEvPKcS1_S1_S1_S1_PKiPfP15HIP_vector_typeIfLj2EEffffjfiS5_IjLj3EEiiiiiiiiiiiliiliiiiil
                                        ; -- End function
	.set _ZL15flash_attn_tileILi112ELi112ELi4ELi4ELb0EEvPKcS1_S1_S1_S1_PKiPfP15HIP_vector_typeIfLj2EEffffjfiS5_IjLj3EEiiiiiiiiiiiliiliiiiil.num_vgpr, 116
	.set _ZL15flash_attn_tileILi112ELi112ELi4ELi4ELb0EEvPKcS1_S1_S1_S1_PKiPfP15HIP_vector_typeIfLj2EEffffjfiS5_IjLj3EEiiiiiiiiiiiliiliiiiil.num_agpr, 0
	.set _ZL15flash_attn_tileILi112ELi112ELi4ELi4ELb0EEvPKcS1_S1_S1_S1_PKiPfP15HIP_vector_typeIfLj2EEffffjfiS5_IjLj3EEiiiiiiiiiiiliiliiiiil.numbered_sgpr, 41
	.set _ZL15flash_attn_tileILi112ELi112ELi4ELi4ELb0EEvPKcS1_S1_S1_S1_PKiPfP15HIP_vector_typeIfLj2EEffffjfiS5_IjLj3EEiiiiiiiiiiiliiliiiiil.num_named_barrier, 0
	.set _ZL15flash_attn_tileILi112ELi112ELi4ELi4ELb0EEvPKcS1_S1_S1_S1_PKiPfP15HIP_vector_typeIfLj2EEffffjfiS5_IjLj3EEiiiiiiiiiiiliiliiiiil.private_seg_size, 0
	.set _ZL15flash_attn_tileILi112ELi112ELi4ELi4ELb0EEvPKcS1_S1_S1_S1_PKiPfP15HIP_vector_typeIfLj2EEffffjfiS5_IjLj3EEiiiiiiiiiiiliiliiiiil.uses_vcc, 1
	.set _ZL15flash_attn_tileILi112ELi112ELi4ELi4ELb0EEvPKcS1_S1_S1_S1_PKiPfP15HIP_vector_typeIfLj2EEffffjfiS5_IjLj3EEiiiiiiiiiiiliiliiiiil.uses_flat_scratch, 0
	.set _ZL15flash_attn_tileILi112ELi112ELi4ELi4ELb0EEvPKcS1_S1_S1_S1_PKiPfP15HIP_vector_typeIfLj2EEffffjfiS5_IjLj3EEiiiiiiiiiiiliiliiiiil.has_dyn_sized_stack, 0
	.set _ZL15flash_attn_tileILi112ELi112ELi4ELi4ELb0EEvPKcS1_S1_S1_S1_PKiPfP15HIP_vector_typeIfLj2EEffffjfiS5_IjLj3EEiiiiiiiiiiiliiliiiiil.has_recursion, 0
	.set _ZL15flash_attn_tileILi112ELi112ELi4ELi4ELb0EEvPKcS1_S1_S1_S1_PKiPfP15HIP_vector_typeIfLj2EEffffjfiS5_IjLj3EEiiiiiiiiiiiliiliiiiil.has_indirect_call, 0
	.section	.AMDGPU.csdata,"",@progbits
; Kernel info:
; codeLenInByte = 9696
; TotalNumSgprs: 43
; NumVgprs: 116
; ScratchSize: 0
; MemoryBound: 0
; FloatMode: 240
; IeeeMode: 1
; LDSByteSize: 8768 bytes/workgroup (compile time only)
; SGPRBlocks: 0
; VGPRBlocks: 14
; NumSGPRsForWavesPerEU: 43
; NumVGPRsForWavesPerEU: 116
; Occupancy: 8
; WaveLimiterHint : 1
; COMPUTE_PGM_RSRC2:SCRATCH_EN: 0
; COMPUTE_PGM_RSRC2:USER_SGPR: 6
; COMPUTE_PGM_RSRC2:TRAP_HANDLER: 0
; COMPUTE_PGM_RSRC2:TGID_X_EN: 1
; COMPUTE_PGM_RSRC2:TGID_Y_EN: 1
; COMPUTE_PGM_RSRC2:TGID_Z_EN: 1
; COMPUTE_PGM_RSRC2:TIDIG_COMP_CNT: 1
	.section	.text._ZL33flash_attn_stream_k_fixup_uniformILi112ELi4ELi4EEvPfPK15HIP_vector_typeIfLj2EEiiiiiiS1_IjLj3EES5_S5_,"axG",@progbits,_ZL33flash_attn_stream_k_fixup_uniformILi112ELi4ELi4EEvPfPK15HIP_vector_typeIfLj2EEiiiiiiS1_IjLj3EES5_S5_,comdat
	.globl	_ZL33flash_attn_stream_k_fixup_uniformILi112ELi4ELi4EEvPfPK15HIP_vector_typeIfLj2EEiiiiiiS1_IjLj3EES5_S5_ ; -- Begin function _ZL33flash_attn_stream_k_fixup_uniformILi112ELi4ELi4EEvPfPK15HIP_vector_typeIfLj2EEiiiiiiS1_IjLj3EES5_S5_
	.p2align	8
	.type	_ZL33flash_attn_stream_k_fixup_uniformILi112ELi4ELi4EEvPfPK15HIP_vector_typeIfLj2EEiiiiiiS1_IjLj3EES5_S5_,@function
_ZL33flash_attn_stream_k_fixup_uniformILi112ELi4ELi4EEvPfPK15HIP_vector_typeIfLj2EEiiiiiiS1_IjLj3EES5_S5_: ; @_ZL33flash_attn_stream_k_fixup_uniformILi112ELi4ELi4EEvPfPK15HIP_vector_typeIfLj2EEiiiiiiS1_IjLj3EES5_S5_
; %bb.0:
	s_clause 0x2
	s_load_dwordx8 s[12:19], s[4:5], 0x1c
	s_load_dwordx4 s[20:23], s[4:5], 0x3c
	s_load_dwordx2 s[10:11], s[4:5], 0x10
	s_waitcnt lgkmcnt(0)
	s_mul_hi_u32 s0, s15, s6
	s_add_i32 s0, s6, s0
	s_lshr_b32 s0, s0, s16
	s_mul_i32 s1, s0, s17
	s_sub_i32 s1, s6, s1
	s_mul_hi_u32 s2, s1, s18
	s_add_i32 s2, s1, s2
	s_lshr_b32 s9, s2, s19
	s_mul_i32 s2, s9, s20
	s_sub_i32 s1, s1, s2
	s_mul_hi_u32 s2, s1, s21
	s_add_i32 s2, s1, s2
	s_lshr_b32 s2, s2, s22
	s_mul_i32 s3, s2, s23
	s_lshl_b32 s16, s2, 2
	s_sub_i32 s15, s1, s3
	s_lshl_b32 s1, s15, 2
	s_add_i32 s1, s1, s7
	s_cmp_lt_i32 s1, s10
	s_cselect_b32 s1, -1, 0
	s_add_i32 s16, s16, s8
	s_cmp_lt_i32 s16, s13
	s_cselect_b32 s2, -1, 0
	s_and_b32 s1, s1, s2
	s_andn2_b32 vcc_lo, exec_lo, s1
	s_cbranch_vccnz .LBB25_6
; %bb.1:
	s_mul_i32 s10, s0, s10
	s_load_dwordx4 s[0:3], s[4:5], 0x0
	s_add_i32 s4, s10, s7
	s_mul_i32 s9, s9, s13
	s_mul_i32 s4, s4, s11
	s_add_i32 s5, s16, s9
	s_mul_i32 s9, s11, s15
	s_add_i32 s4, s5, s4
	s_mulk_i32 s9, 0x1c0
	s_mulk_i32 s4, 0x70
	s_lshl_b32 s10, s7, 2
	v_add3_u32 v1, s4, s9, v0
	s_mul_i32 s4, s14, s6
	s_add_i32 s11, s4, s14
	v_ashrrev_i32_e32 v2, 31, v1
	v_lshlrev_b64 v[1:2], 2, v[1:2]
	s_waitcnt lgkmcnt(0)
	v_add_co_u32 v1, vcc_lo, s0, v1
	v_add_co_ci_u32_e64 v2, null, s1, v2, vcc_lo
	s_add_i32 s0, s10, s8
	s_lshl_b32 s1, s11, 4
	global_load_dword v5, v[1:2], off
	s_add_i32 s0, s0, s1
	s_add_i32 s0, s0, -16
	s_ashr_i32 s1, s0, 31
	s_lshl_b64 s[0:1], s[0:1], 3
	s_add_u32 s0, s2, s0
	s_addc_u32 s1, s3, s1
	s_add_i32 s5, s11, -2
	s_load_dword s13, s[0:1], 0x4
	s_cmp_lt_i32 s5, s4
	s_cbranch_scc1 .LBB25_4
; %bb.2:
	s_load_dword s15, s[0:1], 0x0
	s_lshl_b32 s16, s12, 6
	s_mulk_i32 s7, 0x1c0
	s_ashr_i32 s17, s16, 31
	s_waitcnt lgkmcnt(0)
	v_mov_b32_e32 v6, s13
	s_lshl_b64 s[0:1], s[16:17], 2
	s_add_u32 s5, s2, s0
	s_addc_u32 s9, s3, s1
	s_add_i32 s6, s6, 1
	s_mul_i32 s0, s14, s6
	s_mul_i32 s6, s8, 0x70
	s_lshl_b32 s1, s0, 4
	s_mulk_i32 s0, 0x700
	s_add_i32 s6, s6, s7
	s_add_i32 s1, s8, s1
	s_lshl_b32 s7, s12, 4
	s_add_i32 s6, s6, s0
	s_add_i32 s0, s1, s7
	v_add3_u32 v3, s6, v0, 0xfffff200
	v_mov_b32_e32 v0, s15
	s_add_i32 s0, s0, s10
	s_add_i32 s6, s11, -1
	s_sub_i32 s0, s0, 32
.LBB25_3:                               ; =>This Inner Loop Header: Depth=1
	v_ashrrev_i32_e32 v4, 31, v3
	s_ashr_i32 s1, s0, 31
	s_lshl_b64 s[10:11], s[0:1], 3
	s_add_u32 s10, s2, s10
	v_lshlrev_b64 v[7:8], 2, v[3:4]
	s_addc_u32 s11, s3, s11
	v_add_nc_u32_e32 v3, 0xfffff900, v3
	s_add_i32 s6, s6, -1
	s_add_i32 s0, s0, -16
	s_cmp_le_i32 s6, s4
	v_add_co_u32 v7, vcc_lo, s5, v7
	v_add_co_ci_u32_e64 v8, null, s9, v8, vcc_lo
	s_load_dwordx2 s[10:11], s[10:11], 0x0
	global_load_dword v4, v[7:8], off
	v_max_f32_e32 v7, v0, v0
	s_waitcnt lgkmcnt(0)
	v_max_f32_e64 v8, s10, s10
	v_max_f32_e32 v7, v7, v8
	v_sub_f32_e32 v8, s10, v7
	v_sub_f32_e32 v0, v0, v7
	v_mul_f32_e32 v9, 0x3fb8aa3b, v8
	v_mul_f32_e32 v12, 0x3fb8aa3b, v0
	v_cmp_ngt_f32_e32 vcc_lo, 0xc2ce8ed0, v8
	v_fma_f32 v10, 0x3fb8aa3b, v8, -v9
	v_rndne_f32_e32 v11, v9
	v_fma_f32 v13, 0x3fb8aa3b, v0, -v12
	v_rndne_f32_e32 v14, v12
	v_fmac_f32_e32 v10, 0x32a5705f, v8
	v_sub_f32_e32 v9, v9, v11
	v_fmac_f32_e32 v13, 0x32a5705f, v0
	v_cvt_i32_f32_e32 v11, v11
	v_add_f32_e32 v9, v9, v10
	v_sub_f32_e32 v10, v12, v14
	v_exp_f32_e32 v9, v9
	v_add_f32_e32 v10, v10, v13
	v_exp_f32_e32 v10, v10
	v_ldexp_f32 v9, v9, v11
	v_cvt_i32_f32_e32 v11, v14
	v_cndmask_b32_e32 v9, 0, v9, vcc_lo
	v_cmp_nlt_f32_e32 vcc_lo, 0x42b17218, v8
	v_ldexp_f32 v10, v10, v11
	v_mov_b32_e32 v11, v6
	v_cndmask_b32_e32 v9, 0x7f800000, v9, vcc_lo
	v_cmp_ngt_f32_e32 vcc_lo, 0xc2ce8ed0, v0
	v_cndmask_b32_e32 v10, 0, v10, vcc_lo
	v_cmp_le_f32_e32 vcc_lo, 0xc1a00000, v8
	v_cndmask_b32_e32 v8, 0, v9, vcc_lo
	v_cmp_nlt_f32_e32 vcc_lo, 0x42b17218, v0
	s_waitcnt vmcnt(1)
	v_mov_b32_e32 v9, v5
	v_cndmask_b32_e32 v5, 0x7f800000, v10, vcc_lo
	v_mul_f32_e32 v10, s11, v8
	v_cmp_le_f32_e32 vcc_lo, 0xc1a00000, v0
	v_mov_b32_e32 v0, v7
	v_mov_b32_e32 v6, v10
	v_cndmask_b32_e32 v12, 0, v5, vcc_lo
	v_fmac_f32_e32 v6, v11, v12
	s_waitcnt vmcnt(0)
	v_mul_f32_e32 v5, v4, v8
	v_fmac_f32_e32 v5, v9, v12
	s_cbranch_scc0 .LBB25_3
	s_branch .LBB25_5
.LBB25_4:
	s_waitcnt lgkmcnt(0)
	v_mov_b32_e32 v6, s13
.LBB25_5:
	s_waitcnt vmcnt(0)
	v_div_scale_f32 v0, null, v6, v6, v5
	v_rcp_f32_e32 v3, v0
	v_fma_f32 v4, -v0, v3, 1.0
	v_fmac_f32_e32 v3, v4, v3
	v_div_scale_f32 v4, vcc_lo, v5, v6, v5
	v_mul_f32_e32 v7, v4, v3
	v_fma_f32 v8, -v0, v7, v4
	v_fmac_f32_e32 v7, v8, v3
	v_fma_f32 v0, -v0, v7, v4
	v_div_fmas_f32 v0, v0, v3, v7
	v_div_fixup_f32 v0, v0, v6, v5
	global_store_dword v[1:2], v0, off
.LBB25_6:
	s_endpgm
	.section	.rodata,"a",@progbits
	.p2align	6, 0x0
	.amdhsa_kernel _ZL33flash_attn_stream_k_fixup_uniformILi112ELi4ELi4EEvPfPK15HIP_vector_typeIfLj2EEiiiiiiS1_IjLj3EES5_S5_
		.amdhsa_group_segment_fixed_size 0
		.amdhsa_private_segment_fixed_size 0
		.amdhsa_kernarg_size 76
		.amdhsa_user_sgpr_count 6
		.amdhsa_user_sgpr_private_segment_buffer 1
		.amdhsa_user_sgpr_dispatch_ptr 0
		.amdhsa_user_sgpr_queue_ptr 0
		.amdhsa_user_sgpr_kernarg_segment_ptr 1
		.amdhsa_user_sgpr_dispatch_id 0
		.amdhsa_user_sgpr_flat_scratch_init 0
		.amdhsa_user_sgpr_private_segment_size 0
		.amdhsa_wavefront_size32 1
		.amdhsa_uses_dynamic_stack 0
		.amdhsa_system_sgpr_private_segment_wavefront_offset 0
		.amdhsa_system_sgpr_workgroup_id_x 1
		.amdhsa_system_sgpr_workgroup_id_y 1
		.amdhsa_system_sgpr_workgroup_id_z 1
		.amdhsa_system_sgpr_workgroup_info 0
		.amdhsa_system_vgpr_workitem_id 0
		.amdhsa_next_free_vgpr 15
		.amdhsa_next_free_sgpr 24
		.amdhsa_reserve_vcc 1
		.amdhsa_reserve_flat_scratch 0
		.amdhsa_float_round_mode_32 0
		.amdhsa_float_round_mode_16_64 0
		.amdhsa_float_denorm_mode_32 3
		.amdhsa_float_denorm_mode_16_64 3
		.amdhsa_dx10_clamp 1
		.amdhsa_ieee_mode 1
		.amdhsa_fp16_overflow 0
		.amdhsa_workgroup_processor_mode 1
		.amdhsa_memory_ordered 1
		.amdhsa_forward_progress 1
		.amdhsa_shared_vgpr_count 0
		.amdhsa_exception_fp_ieee_invalid_op 0
		.amdhsa_exception_fp_denorm_src 0
		.amdhsa_exception_fp_ieee_div_zero 0
		.amdhsa_exception_fp_ieee_overflow 0
		.amdhsa_exception_fp_ieee_underflow 0
		.amdhsa_exception_fp_ieee_inexact 0
		.amdhsa_exception_int_div_zero 0
	.end_amdhsa_kernel
	.section	.text._ZL33flash_attn_stream_k_fixup_uniformILi112ELi4ELi4EEvPfPK15HIP_vector_typeIfLj2EEiiiiiiS1_IjLj3EES5_S5_,"axG",@progbits,_ZL33flash_attn_stream_k_fixup_uniformILi112ELi4ELi4EEvPfPK15HIP_vector_typeIfLj2EEiiiiiiS1_IjLj3EES5_S5_,comdat
.Lfunc_end25:
	.size	_ZL33flash_attn_stream_k_fixup_uniformILi112ELi4ELi4EEvPfPK15HIP_vector_typeIfLj2EEiiiiiiS1_IjLj3EES5_S5_, .Lfunc_end25-_ZL33flash_attn_stream_k_fixup_uniformILi112ELi4ELi4EEvPfPK15HIP_vector_typeIfLj2EEiiiiiiS1_IjLj3EES5_S5_
                                        ; -- End function
	.set _ZL33flash_attn_stream_k_fixup_uniformILi112ELi4ELi4EEvPfPK15HIP_vector_typeIfLj2EEiiiiiiS1_IjLj3EES5_S5_.num_vgpr, 15
	.set _ZL33flash_attn_stream_k_fixup_uniformILi112ELi4ELi4EEvPfPK15HIP_vector_typeIfLj2EEiiiiiiS1_IjLj3EES5_S5_.num_agpr, 0
	.set _ZL33flash_attn_stream_k_fixup_uniformILi112ELi4ELi4EEvPfPK15HIP_vector_typeIfLj2EEiiiiiiS1_IjLj3EES5_S5_.numbered_sgpr, 24
	.set _ZL33flash_attn_stream_k_fixup_uniformILi112ELi4ELi4EEvPfPK15HIP_vector_typeIfLj2EEiiiiiiS1_IjLj3EES5_S5_.num_named_barrier, 0
	.set _ZL33flash_attn_stream_k_fixup_uniformILi112ELi4ELi4EEvPfPK15HIP_vector_typeIfLj2EEiiiiiiS1_IjLj3EES5_S5_.private_seg_size, 0
	.set _ZL33flash_attn_stream_k_fixup_uniformILi112ELi4ELi4EEvPfPK15HIP_vector_typeIfLj2EEiiiiiiS1_IjLj3EES5_S5_.uses_vcc, 1
	.set _ZL33flash_attn_stream_k_fixup_uniformILi112ELi4ELi4EEvPfPK15HIP_vector_typeIfLj2EEiiiiiiS1_IjLj3EES5_S5_.uses_flat_scratch, 0
	.set _ZL33flash_attn_stream_k_fixup_uniformILi112ELi4ELi4EEvPfPK15HIP_vector_typeIfLj2EEiiiiiiS1_IjLj3EES5_S5_.has_dyn_sized_stack, 0
	.set _ZL33flash_attn_stream_k_fixup_uniformILi112ELi4ELi4EEvPfPK15HIP_vector_typeIfLj2EEiiiiiiS1_IjLj3EES5_S5_.has_recursion, 0
	.set _ZL33flash_attn_stream_k_fixup_uniformILi112ELi4ELi4EEvPfPK15HIP_vector_typeIfLj2EEiiiiiiS1_IjLj3EES5_S5_.has_indirect_call, 0
	.section	.AMDGPU.csdata,"",@progbits
; Kernel info:
; codeLenInByte = 848
; TotalNumSgprs: 26
; NumVgprs: 15
; ScratchSize: 0
; MemoryBound: 0
; FloatMode: 240
; IeeeMode: 1
; LDSByteSize: 0 bytes/workgroup (compile time only)
; SGPRBlocks: 0
; VGPRBlocks: 1
; NumSGPRsForWavesPerEU: 26
; NumVGPRsForWavesPerEU: 15
; Occupancy: 16
; WaveLimiterHint : 0
; COMPUTE_PGM_RSRC2:SCRATCH_EN: 0
; COMPUTE_PGM_RSRC2:USER_SGPR: 6
; COMPUTE_PGM_RSRC2:TRAP_HANDLER: 0
; COMPUTE_PGM_RSRC2:TGID_X_EN: 1
; COMPUTE_PGM_RSRC2:TGID_Y_EN: 1
; COMPUTE_PGM_RSRC2:TGID_Z_EN: 1
; COMPUTE_PGM_RSRC2:TIDIG_COMP_CNT: 0
	.section	.text._ZL33flash_attn_stream_k_fixup_generalILi112ELi4ELi4EEvPfPK15HIP_vector_typeIfLj2EEiiiiS1_IjLj3EES5_S5_S5_,"axG",@progbits,_ZL33flash_attn_stream_k_fixup_generalILi112ELi4ELi4EEvPfPK15HIP_vector_typeIfLj2EEiiiiS1_IjLj3EES5_S5_S5_,comdat
	.globl	_ZL33flash_attn_stream_k_fixup_generalILi112ELi4ELi4EEvPfPK15HIP_vector_typeIfLj2EEiiiiS1_IjLj3EES5_S5_S5_ ; -- Begin function _ZL33flash_attn_stream_k_fixup_generalILi112ELi4ELi4EEvPfPK15HIP_vector_typeIfLj2EEiiiiS1_IjLj3EES5_S5_S5_
	.p2align	8
	.type	_ZL33flash_attn_stream_k_fixup_generalILi112ELi4ELi4EEvPfPK15HIP_vector_typeIfLj2EEiiiiS1_IjLj3EES5_S5_S5_,@function
_ZL33flash_attn_stream_k_fixup_generalILi112ELi4ELi4EEvPfPK15HIP_vector_typeIfLj2EEiiiiS1_IjLj3EES5_S5_S5_: ; @_ZL33flash_attn_stream_k_fixup_generalILi112ELi4ELi4EEvPfPK15HIP_vector_typeIfLj2EEiiiiS1_IjLj3EES5_S5_S5_
; %bb.0:
	s_clause 0x1
	s_load_dwordx4 s[0:3], s[4:5], 0x10
	s_load_dword s9, s[4:5], 0x50
	s_mov_b32 s16, 0
	s_waitcnt lgkmcnt(0)
	s_mul_hi_i32 s17, s3, s6
	s_mul_i32 s18, s3, s6
	s_cmp_lg_u64 s[16:17], 0
	s_cbranch_scc0 .LBB26_21
; %bb.1:
	s_add_u32 s10, s9, 0
	s_addc_u32 s11, 0, 0
	s_xor_b64 s[10:11], s[10:11], 0
	v_cvt_f32_u32_e32 v1, s10
	v_cvt_f32_u32_e32 v2, s11
	s_sub_u32 s14, 0, s10
	s_subb_u32 s15, 0, s11
	v_fmamk_f32 v1, v2, 0x4f800000, v1
	v_rcp_f32_e32 v1, v1
	v_mul_f32_e32 v1, 0x5f7ffffc, v1
	v_mul_f32_e32 v2, 0x2f800000, v1
	v_trunc_f32_e32 v2, v2
	v_fmamk_f32 v1, v2, 0xcf800000, v1
	v_cvt_u32_f32_e32 v2, v2
	v_cvt_u32_f32_e32 v1, v1
	v_readfirstlane_b32 s12, v2
	v_readfirstlane_b32 s13, v1
	s_mul_i32 s19, s14, s12
	s_mul_hi_u32 s21, s14, s13
	s_mul_i32 s20, s15, s13
	s_add_i32 s19, s21, s19
	s_mul_i32 s22, s14, s13
	s_add_i32 s19, s19, s20
	s_mul_hi_u32 s21, s13, s22
	s_mul_i32 s24, s13, s19
	s_mul_hi_u32 s23, s12, s22
	s_mul_i32 s20, s12, s22
	s_mul_hi_u32 s22, s13, s19
	s_add_u32 s21, s21, s24
	s_addc_u32 s22, 0, s22
	s_mul_hi_u32 s25, s12, s19
	s_add_u32 s20, s21, s20
	s_mul_i32 s19, s12, s19
	s_addc_u32 s20, s22, s23
	s_addc_u32 s21, s25, 0
	s_add_u32 s19, s20, s19
	s_addc_u32 s20, 0, s21
	s_add_u32 s13, s13, s19
	s_cselect_b32 s19, -1, 0
	s_mul_hi_u32 s21, s14, s13
	s_cmp_lg_u32 s19, 0
	s_mul_i32 s19, s14, s13
	s_addc_u32 s12, s12, s20
	s_mul_i32 s15, s15, s13
	s_mul_i32 s14, s14, s12
	s_mul_hi_u32 s20, s13, s19
	s_add_i32 s14, s21, s14
	s_mul_hi_u32 s21, s12, s19
	s_add_i32 s14, s14, s15
	s_mul_i32 s15, s12, s19
	s_mul_i32 s23, s13, s14
	s_mul_hi_u32 s22, s13, s14
	s_add_u32 s20, s20, s23
	s_addc_u32 s22, 0, s22
	s_mul_hi_u32 s19, s12, s14
	s_add_u32 s15, s20, s15
	s_mul_i32 s14, s12, s14
	s_addc_u32 s15, s22, s21
	s_addc_u32 s19, s19, 0
	s_add_u32 s14, s15, s14
	s_addc_u32 s15, 0, s19
	s_add_u32 s19, s13, s14
	s_cselect_b32 s13, -1, 0
	s_cmp_lg_u32 s13, 0
	s_addc_u32 s20, s12, s15
	s_ashr_i32 s12, s17, 31
	s_add_u32 s14, s18, s12
	s_mov_b32 s13, s12
	s_addc_u32 s15, s17, s12
	s_xor_b64 s[14:15], s[14:15], s[12:13]
	s_mul_i32 s21, s14, s20
	s_mul_hi_u32 s22, s14, s19
	s_mul_hi_u32 s17, s14, s20
	;; [unrolled: 1-line block ×3, first 2 shown]
	s_mul_i32 s19, s15, s19
	s_add_u32 s21, s22, s21
	s_addc_u32 s17, 0, s17
	s_mul_hi_u32 s23, s15, s20
	s_add_u32 s19, s21, s19
	s_mul_i32 s20, s15, s20
	s_addc_u32 s17, s17, s24
	s_addc_u32 s19, s23, 0
	s_add_u32 s17, s17, s20
	s_addc_u32 s19, 0, s19
	s_mul_hi_u32 s20, s10, s17
	s_mul_i32 s21, s10, s19
	s_mul_i32 s22, s11, s17
	s_add_i32 s20, s20, s21
	s_mul_i32 s21, s10, s17
	s_add_i32 s20, s20, s22
	s_sub_i32 s22, s15, s20
	s_sub_u32 s14, s14, s21
	s_cselect_b32 s21, -1, 0
	s_cmp_lg_u32 s21, 0
	s_subb_u32 s22, s22, s11
	s_sub_u32 s23, s14, s10
	s_cselect_b32 s24, -1, 0
	s_cmp_lg_u32 s24, 0
	s_subb_u32 s22, s22, 0
	s_cmp_ge_u32 s22, s11
	s_cselect_b32 s24, -1, 0
	s_cmp_ge_u32 s23, s10
	s_cselect_b32 s23, -1, 0
	s_cmp_eq_u32 s22, s11
	s_cselect_b32 s22, s23, s24
	s_add_u32 s23, s17, 1
	s_addc_u32 s24, s19, 0
	s_add_u32 s25, s17, 2
	s_addc_u32 s26, s19, 0
	s_cmp_lg_u32 s22, 0
	s_cselect_b32 s22, s25, s23
	s_cselect_b32 s23, s26, s24
	s_cmp_lg_u32 s21, 0
	s_subb_u32 s15, s15, s20
	s_cmp_ge_u32 s15, s11
	s_cselect_b32 s20, -1, 0
	s_cmp_ge_u32 s14, s10
	s_cselect_b32 s10, -1, 0
	s_cmp_eq_u32 s15, s11
	s_cselect_b32 s10, s10, s20
	s_cmp_lg_u32 s10, 0
	s_cselect_b32 s11, s23, s19
	s_cselect_b32 s10, s22, s17
	s_xor_b64 s[12:13], s[12:13], 0
	s_xor_b64 s[10:11], s[10:11], s[12:13]
	s_sub_u32 s10, s10, s12
	s_load_dwordx4 s[12:15], s[4:5], 0x44
	s_andn2_b32 vcc_lo, exec_lo, s16
	s_cbranch_vccnz .LBB26_3
.LBB26_2:
	v_cvt_f32_u32_e32 v1, s9
	s_sub_i32 s11, 0, s9
	v_rcp_iflag_f32_e32 v1, v1
	v_mul_f32_e32 v1, 0x4f7ffffe, v1
	v_cvt_u32_f32_e32 v1, v1
	v_readfirstlane_b32 s10, v1
	s_mul_i32 s11, s11, s10
	s_mul_hi_u32 s11, s10, s11
	s_add_i32 s10, s10, s11
	s_mul_hi_u32 s10, s18, s10
	s_mul_i32 s11, s10, s9
	s_waitcnt lgkmcnt(0)
	s_add_i32 s15, s10, 1
	s_sub_i32 s11, s18, s11
	s_sub_i32 s16, s11, s9
	s_cmp_ge_u32 s11, s9
	s_cselect_b32 s10, s15, s10
	s_cselect_b32 s11, s16, s11
	s_add_i32 s15, s10, 1
	s_cmp_ge_u32 s11, s9
	s_cselect_b32 s10, s15, s10
.LBB26_3:
	s_add_i32 s11, s6, 1
	s_mov_b32 s16, 0
	s_mul_hi_i32 s17, s3, s11
	s_mul_i32 s11, s3, s11
	s_cmp_lg_u64 s[16:17], 0
	s_cbranch_scc0 .LBB26_22
; %bb.4:
	s_add_u32 s18, s9, 0
	s_addc_u32 s19, 0, 0
	s_xor_b64 s[18:19], s[18:19], 0
	v_cvt_f32_u32_e32 v1, s18
	v_cvt_f32_u32_e32 v2, s19
	s_sub_u32 s21, 0, s18
	s_subb_u32 s22, 0, s19
	v_fmamk_f32 v1, v2, 0x4f800000, v1
	v_rcp_f32_e32 v1, v1
	v_mul_f32_e32 v1, 0x5f7ffffc, v1
	v_mul_f32_e32 v2, 0x2f800000, v1
	v_trunc_f32_e32 v2, v2
	v_fmamk_f32 v1, v2, 0xcf800000, v1
	v_cvt_u32_f32_e32 v2, v2
	v_cvt_u32_f32_e32 v1, v1
	s_waitcnt lgkmcnt(0)
	v_readfirstlane_b32 s15, v2
	v_readfirstlane_b32 s20, v1
	s_mul_i32 s23, s21, s15
	s_mul_hi_u32 s25, s21, s20
	s_mul_i32 s24, s22, s20
	s_add_i32 s23, s25, s23
	s_mul_i32 s26, s21, s20
	s_add_i32 s23, s23, s24
	s_mul_hi_u32 s25, s20, s26
	s_mul_i32 s28, s20, s23
	s_mul_hi_u32 s27, s15, s26
	s_mul_i32 s24, s15, s26
	s_mul_hi_u32 s26, s20, s23
	s_add_u32 s25, s25, s28
	s_addc_u32 s26, 0, s26
	s_mul_hi_u32 s29, s15, s23
	s_add_u32 s24, s25, s24
	s_mul_i32 s23, s15, s23
	s_addc_u32 s24, s26, s27
	s_addc_u32 s25, s29, 0
	s_add_u32 s23, s24, s23
	s_addc_u32 s24, 0, s25
	s_add_u32 s20, s20, s23
	s_cselect_b32 s23, -1, 0
	s_mul_hi_u32 s25, s21, s20
	s_cmp_lg_u32 s23, 0
	s_mul_i32 s23, s21, s20
	s_addc_u32 s15, s15, s24
	s_mul_i32 s22, s22, s20
	s_mul_i32 s21, s21, s15
	s_mul_hi_u32 s24, s20, s23
	s_add_i32 s21, s25, s21
	s_mul_hi_u32 s25, s15, s23
	s_add_i32 s21, s21, s22
	s_mul_i32 s22, s15, s23
	s_mul_i32 s27, s20, s21
	s_mul_hi_u32 s26, s20, s21
	s_add_u32 s24, s24, s27
	s_addc_u32 s26, 0, s26
	s_mul_hi_u32 s23, s15, s21
	s_add_u32 s22, s24, s22
	s_mul_i32 s21, s15, s21
	s_addc_u32 s22, s26, s25
	s_addc_u32 s23, s23, 0
	s_add_u32 s21, s22, s21
	s_addc_u32 s22, 0, s23
	s_add_u32 s24, s20, s21
	s_cselect_b32 s20, -1, 0
	s_cmp_lg_u32 s20, 0
	s_addc_u32 s15, s15, s22
	s_ashr_i32 s20, s17, 31
	s_add_u32 s22, s11, s20
	s_mov_b32 s21, s20
	s_addc_u32 s23, s17, s20
	s_xor_b64 s[22:23], s[22:23], s[20:21]
	s_mul_i32 s25, s22, s15
	s_mul_hi_u32 s26, s22, s24
	s_mul_hi_u32 s17, s22, s15
	;; [unrolled: 1-line block ×3, first 2 shown]
	s_mul_i32 s24, s23, s24
	s_add_u32 s25, s26, s25
	s_addc_u32 s17, 0, s17
	s_mul_hi_u32 s27, s23, s15
	s_add_u32 s24, s25, s24
	s_mul_i32 s15, s23, s15
	s_addc_u32 s17, s17, s28
	s_addc_u32 s24, s27, 0
	s_add_u32 s15, s17, s15
	s_addc_u32 s17, 0, s24
	s_mul_hi_u32 s24, s18, s15
	s_mul_i32 s25, s18, s17
	s_mul_i32 s26, s19, s15
	s_add_i32 s24, s24, s25
	s_mul_i32 s25, s18, s15
	s_add_i32 s24, s24, s26
	s_sub_i32 s26, s23, s24
	s_sub_u32 s22, s22, s25
	s_cselect_b32 s25, -1, 0
	s_cmp_lg_u32 s25, 0
	s_subb_u32 s26, s26, s19
	s_sub_u32 s27, s22, s18
	s_cselect_b32 s28, -1, 0
	s_cmp_lg_u32 s28, 0
	s_subb_u32 s26, s26, 0
	s_cmp_ge_u32 s26, s19
	s_cselect_b32 s28, -1, 0
	s_cmp_ge_u32 s27, s18
	s_cselect_b32 s27, -1, 0
	s_cmp_eq_u32 s26, s19
	s_cselect_b32 s26, s27, s28
	s_add_u32 s27, s15, 1
	s_addc_u32 s28, s17, 0
	s_add_u32 s29, s15, 2
	s_addc_u32 s30, s17, 0
	s_cmp_lg_u32 s26, 0
	s_cselect_b32 s26, s29, s27
	s_cselect_b32 s27, s30, s28
	s_cmp_lg_u32 s25, 0
	s_subb_u32 s23, s23, s24
	s_cmp_ge_u32 s23, s19
	s_cselect_b32 s24, -1, 0
	s_cmp_ge_u32 s22, s18
	s_cselect_b32 s18, -1, 0
	s_cmp_eq_u32 s23, s19
	s_cselect_b32 s18, s18, s24
	s_cmp_lg_u32 s18, 0
	s_cselect_b32 s19, s27, s17
	s_cselect_b32 s18, s26, s15
	s_xor_b64 s[20:21], s[20:21], 0
	s_xor_b64 s[18:19], s[18:19], s[20:21]
	s_sub_u32 s18, s18, s20
	s_andn2_b32 vcc_lo, exec_lo, s16
	s_cbranch_vccnz .LBB26_6
.LBB26_5:
	v_cvt_f32_u32_e32 v1, s9
	s_sub_i32 s16, 0, s9
	v_rcp_iflag_f32_e32 v1, v1
	v_mul_f32_e32 v1, 0x4f7ffffe, v1
	v_cvt_u32_f32_e32 v1, v1
	s_waitcnt lgkmcnt(0)
	v_readfirstlane_b32 s15, v1
	s_mul_i32 s16, s16, s15
	s_mul_hi_u32 s16, s15, s16
	s_add_i32 s15, s15, s16
	s_mul_hi_u32 s15, s11, s15
	s_mul_i32 s16, s15, s9
	s_sub_i32 s11, s11, s16
	s_add_i32 s16, s15, 1
	s_sub_i32 s17, s11, s9
	s_cmp_ge_u32 s11, s9
	s_cselect_b32 s15, s16, s15
	s_cselect_b32 s11, s17, s11
	s_add_i32 s16, s15, 1
	s_cmp_ge_u32 s11, s9
	s_cselect_b32 s18, s16, s15
.LBB26_6:
	s_cmp_eq_u32 s10, s18
	s_waitcnt lgkmcnt(0)
	s_mul_hi_u32 s11, s10, s12
	s_cselect_b32 s15, -1, 0
	s_add_i32 s11, s11, s10
	s_lshr_b32 s11, s11, s13
	s_mul_i32 s16, s11, s14
	s_cmp_eq_u32 s16, s10
	s_mul_hi_u32 s16, s18, s12
	s_cselect_b32 s17, -1, 0
	s_add_i32 s16, s16, s18
	s_lshr_b32 s16, s16, s13
	s_cmp_eq_u32 s11, s16
	s_mul_i32 s16, s16, s14
	s_cselect_b32 s19, -1, 0
	s_cmp_lg_u32 s16, s18
	s_cselect_b32 s16, -1, 0
	s_or_b32 s15, s15, s17
	s_and_b32 s16, s19, s16
	s_or_b32 s15, s15, s16
	s_and_b32 vcc_lo, exec_lo, s15
	s_cbranch_vccnz .LBB26_24
; %bb.7:
	s_clause 0x1
	s_load_dwordx8 s[20:27], s[4:5], 0x20
	s_load_dword s16, s[4:5], 0x40
	s_waitcnt lgkmcnt(0)
	s_mul_hi_u32 s15, s10, s20
	s_add_i32 s15, s15, s10
	s_lshr_b32 s15, s15, s21
	s_mul_i32 s17, s15, s22
	s_sub_i32 s17, s10, s17
	s_mul_hi_u32 s18, s17, s23
	s_add_i32 s18, s17, s18
	s_lshr_b32 s21, s18, s24
	s_mul_i32 s18, s21, s25
	s_sub_i32 s17, s17, s18
	s_mul_hi_u32 s18, s17, s26
	s_add_i32 s18, s17, s18
	s_lshr_b32 s18, s18, s27
	s_mul_i32 s16, s18, s16
	s_lshl_b32 s22, s18, 2
	s_sub_i32 s16, s17, s16
	s_mul_hi_u32 s17, s16, s12
	s_add_i32 s16, s16, s17
	s_lshr_b32 s20, s16, s13
	s_lshl_b32 s16, s20, 2
	s_add_i32 s16, s16, s7
	s_cmp_lt_i32 s16, s0
	s_cselect_b32 s16, -1, 0
	s_add_i32 s22, s22, s8
	s_cmp_lt_i32 s22, s2
	s_cselect_b32 s17, -1, 0
	s_and_b32 s16, s16, s17
	s_andn2_b32 vcc_lo, exec_lo, s16
	s_cbranch_vccnz .LBB26_24
; %bb.8:
	s_load_dwordx4 s[16:19], s[4:5], 0x0
	s_mov_b32 s4, 0
	s_lshl_b32 s24, s9, 6
	s_mov_b32 s25, s4
	s_lshl_b32 s5, s7, 2
	s_lshl_b64 s[24:25], s[24:25], 2
	s_mul_i32 s21, s21, s2
	s_mul_i32 s0, s15, s0
	s_add_i32 s2, s5, s8
	v_cvt_f32_u32_e32 v3, s9
	v_rcp_iflag_f32_e32 v3, v3
	s_waitcnt lgkmcnt(0)
	s_add_u32 s8, s18, s24
	s_addc_u32 s15, s19, s25
	s_add_i32 s0, s0, s7
	s_add_i32 s5, s22, s21
	s_mul_i32 s0, s0, s1
	s_mul_i32 s1, s1, s20
	s_add_i32 s0, s5, s0
	s_mulk_i32 s1, 0x1c0
	s_mulk_i32 s0, 0x70
	v_mul_f32_e32 v7, 0x4f7ffffe, v3
	v_add3_u32 v1, s1, s0, v0
	s_lshl_b32 s0, s6, 4
	s_add_i32 s0, s2, s0
	v_ashrrev_i32_e32 v2, 31, v1
	s_ashr_i32 s1, s0, 31
	s_lshl_b64 s[0:1], s[0:1], 3
	v_lshlrev_b64 v[1:2], 2, v[1:2]
	s_add_u32 s0, s18, s0
	s_addc_u32 s1, s19, s1
	s_load_dwordx2 s[0:1], s[0:1], 0x0
	v_add_co_u32 v1, vcc_lo, s16, v1
	v_add_co_ci_u32_e64 v2, null, s17, v2, vcc_lo
	s_add_i32 s17, s6, -1
	v_mad_u64_u32 v[3:4], null, 0x70, s2, v[0:1]
	global_load_dword v5, v[1:2], off
	v_cvt_u32_f32_e32 v0, v7
	s_sub_i32 s16, 0, s9
	s_waitcnt lgkmcnt(0)
	v_mov_b32_e32 v4, s1
	v_mov_b32_e32 v6, s0
.LBB26_9:                               ; =>This Inner Loop Header: Depth=1
	s_mul_hi_i32 s5, s17, s3
	s_mul_i32 s6, s17, s3
	s_cmp_lg_u64 s[4:5], 0
	s_mov_b32 s7, -1
                                        ; implicit-def: $sgpr0_sgpr1
	s_cbranch_scc0 .LBB26_11
; %bb.10:                               ;   in Loop: Header=BB26_9 Depth=1
	s_add_u32 s0, s9, 0
	s_addc_u32 s1, 0, 0
	s_xor_b64 s[0:1], s[0:1], 0
	v_cvt_f32_u32_e32 v7, s0
	v_cvt_f32_u32_e32 v8, s1
	s_sub_u32 s21, 0, s0
	s_subb_u32 s22, 0, s1
	v_fmac_f32_e32 v7, 0x4f800000, v8
	v_rcp_f32_e32 v7, v7
	v_mul_f32_e32 v7, 0x5f7ffffc, v7
	v_mul_f32_e32 v8, 0x2f800000, v7
	v_trunc_f32_e32 v8, v8
	v_fmac_f32_e32 v7, 0xcf800000, v8
	v_cvt_u32_f32_e32 v8, v8
	v_cvt_u32_f32_e32 v7, v7
	v_readfirstlane_b32 s7, v8
	v_readfirstlane_b32 s20, v7
	s_mul_i32 s23, s21, s7
	s_mul_hi_u32 s25, s21, s20
	s_mul_i32 s24, s22, s20
	s_add_i32 s23, s25, s23
	s_mul_i32 s26, s21, s20
	s_add_i32 s23, s23, s24
	s_mul_hi_u32 s25, s20, s26
	s_mul_i32 s28, s20, s23
	s_mul_hi_u32 s27, s7, s26
	s_mul_i32 s24, s7, s26
	s_mul_hi_u32 s26, s20, s23
	s_add_u32 s25, s25, s28
	s_addc_u32 s26, 0, s26
	s_mul_hi_u32 s29, s7, s23
	s_add_u32 s24, s25, s24
	s_mul_i32 s23, s7, s23
	s_addc_u32 s24, s26, s27
	s_addc_u32 s25, s29, 0
	s_add_u32 s23, s24, s23
	s_addc_u32 s24, 0, s25
	s_add_u32 s20, s20, s23
	s_cselect_b32 s23, -1, 0
	s_mul_hi_u32 s25, s21, s20
	s_cmp_lg_u32 s23, 0
	s_mul_i32 s23, s21, s20
	s_addc_u32 s7, s7, s24
	s_mul_i32 s22, s22, s20
	s_mul_i32 s21, s21, s7
	s_mul_hi_u32 s24, s20, s23
	s_add_i32 s21, s25, s21
	s_mul_hi_u32 s25, s7, s23
	s_add_i32 s21, s21, s22
	s_mul_i32 s22, s7, s23
	s_mul_i32 s27, s20, s21
	s_mul_hi_u32 s26, s20, s21
	s_add_u32 s24, s24, s27
	s_addc_u32 s26, 0, s26
	s_mul_hi_u32 s23, s7, s21
	s_add_u32 s22, s24, s22
	s_mul_i32 s21, s7, s21
	s_addc_u32 s22, s26, s25
	s_addc_u32 s23, s23, 0
	s_add_u32 s21, s22, s21
	s_addc_u32 s22, 0, s23
	s_add_u32 s24, s20, s21
	s_cselect_b32 s20, -1, 0
	s_cmp_lg_u32 s20, 0
	s_addc_u32 s7, s7, s22
	s_ashr_i32 s20, s5, 31
	s_add_u32 s22, s6, s20
	s_mov_b32 s21, s20
	s_addc_u32 s23, s5, s20
	s_xor_b64 s[22:23], s[22:23], s[20:21]
	s_mul_i32 s25, s22, s7
	s_mul_hi_u32 s26, s22, s24
	s_mul_hi_u32 s5, s22, s7
	;; [unrolled: 1-line block ×3, first 2 shown]
	s_mul_i32 s24, s23, s24
	s_add_u32 s25, s26, s25
	s_addc_u32 s5, 0, s5
	s_mul_hi_u32 s27, s23, s7
	s_add_u32 s24, s25, s24
	s_mul_i32 s7, s23, s7
	s_addc_u32 s5, s5, s28
	s_addc_u32 s24, s27, 0
	s_add_u32 s5, s5, s7
	s_addc_u32 s7, 0, s24
	s_mul_hi_u32 s24, s0, s5
	s_mul_i32 s25, s0, s7
	s_mul_i32 s26, s1, s5
	s_add_i32 s24, s24, s25
	s_mul_i32 s25, s0, s5
	s_add_i32 s24, s24, s26
	s_sub_i32 s26, s23, s24
	s_sub_u32 s22, s22, s25
	s_cselect_b32 s25, -1, 0
	s_cmp_lg_u32 s25, 0
	s_subb_u32 s26, s26, s1
	s_sub_u32 s27, s22, s0
	s_cselect_b32 s28, -1, 0
	s_cmp_lg_u32 s28, 0
	s_subb_u32 s26, s26, 0
	s_cmp_ge_u32 s26, s1
	s_cselect_b32 s28, -1, 0
	s_cmp_ge_u32 s27, s0
	s_cselect_b32 s27, -1, 0
	s_cmp_eq_u32 s26, s1
	s_cselect_b32 s26, s27, s28
	s_add_u32 s27, s5, 1
	s_addc_u32 s28, s7, 0
	s_add_u32 s29, s5, 2
	s_addc_u32 s30, s7, 0
	s_cmp_lg_u32 s26, 0
	s_cselect_b32 s26, s29, s27
	s_cselect_b32 s27, s30, s28
	s_cmp_lg_u32 s25, 0
	s_subb_u32 s23, s23, s24
	s_cmp_ge_u32 s23, s1
	s_cselect_b32 s24, -1, 0
	s_cmp_ge_u32 s22, s0
	s_cselect_b32 s0, -1, 0
	s_cmp_eq_u32 s23, s1
	s_cselect_b32 s0, s0, s24
	s_cmp_lg_u32 s0, 0
	s_cselect_b32 s1, s27, s7
	s_cselect_b32 s0, s26, s5
	s_xor_b64 s[20:21], s[20:21], 0
	s_mov_b32 s7, 0
	s_xor_b64 s[0:1], s[0:1], s[20:21]
	s_sub_u32 s0, s0, s20
.LBB26_11:                              ;   in Loop: Header=BB26_9 Depth=1
	s_andn2_b32 vcc_lo, exec_lo, s7
	s_cbranch_vccnz .LBB26_13
; %bb.12:                               ;   in Loop: Header=BB26_9 Depth=1
	v_readfirstlane_b32 s0, v0
	s_mul_i32 s1, s16, s0
	s_mul_hi_u32 s1, s0, s1
	s_add_i32 s0, s0, s1
	s_mul_hi_u32 s0, s6, s0
	s_mul_i32 s1, s0, s9
	s_add_i32 s5, s0, 1
	s_sub_i32 s1, s6, s1
	s_sub_i32 s6, s1, s9
	s_cmp_ge_u32 s1, s9
	s_cselect_b32 s0, s5, s0
	s_cselect_b32 s1, s6, s1
	s_add_i32 s5, s0, 1
	s_cmp_ge_u32 s1, s9
	s_cselect_b32 s0, s5, s0
.LBB26_13:                              ;   in Loop: Header=BB26_9 Depth=1
	s_cmp_lg_u32 s10, s0
	s_mov_b32 s6, -1
                                        ; implicit-def: $sgpr5
                                        ; implicit-def: $vgpr8
                                        ; implicit-def: $vgpr7
                                        ; implicit-def: $vgpr9
                                        ; implicit-def: $sgpr1
                                        ; implicit-def: $sgpr20
	s_cbranch_scc0 .LBB26_18
; %bb.14:                               ;   in Loop: Header=BB26_9 Depth=1
	s_add_i32 s1, s17, s9
	s_mov_b32 s7, s4
	s_lshl_b32 s1, s1, 4
	s_mov_b32 s20, s10
	s_add_i32 s6, s1, s2
	s_mul_hi_u32 s1, s0, s12
	s_lshl_b64 s[6:7], s[6:7], 3
	s_add_u32 s6, s18, s6
	s_addc_u32 s7, s19, s7
	s_add_i32 s1, s1, s0
	s_lshr_b32 s1, s1, s13
	s_mul_i32 s5, s1, s14
	s_cmp_eq_u32 s5, s0
	s_cselect_b32 s5, -1, 0
	s_cmp_lt_u32 s1, s11
	s_cselect_b32 s1, -1, 0
	s_or_b32 s1, s1, s5
	s_mov_b32 s5, -1
	s_and_b32 vcc_lo, exec_lo, s1
	s_mov_b32 s1, s17
	s_cbranch_vccnz .LBB26_16
; %bb.15:                               ;   in Loop: Header=BB26_9 Depth=1
	s_add_i32 s1, s17, -1
	s_mov_b32 s5, 0
	s_mov_b32 s20, s0
.LBB26_16:                              ;   in Loop: Header=BB26_9 Depth=1
	v_mad_u64_u32 v[7:8], null, 0x700, s17, v[3:4]
	s_load_dwordx2 s[6:7], s[6:7], 0x0
	v_ashrrev_i32_e32 v8, 31, v7
	v_lshlrev_b64 v[7:8], 2, v[7:8]
	v_add_co_u32 v7, vcc_lo, s8, v7
	v_add_co_ci_u32_e64 v8, null, s15, v8, vcc_lo
	s_waitcnt lgkmcnt(0)
	v_max_f32_e64 v9, s6, s6
	global_load_dword v8, v[7:8], off
	v_max_f32_e32 v7, v6, v6
	v_max_f32_e32 v7, v7, v9
	v_sub_f32_e32 v9, s6, v7
	v_sub_f32_e32 v10, v6, v7
	v_mul_f32_e32 v11, 0x3fb8aa3b, v9
	v_mul_f32_e32 v12, 0x3fb8aa3b, v10
	v_cmp_ngt_f32_e32 vcc_lo, 0xc2ce8ed0, v9
	v_fma_f32 v13, 0x3fb8aa3b, v9, -v11
	v_rndne_f32_e32 v14, v11
	v_fma_f32 v15, 0x3fb8aa3b, v10, -v12
	v_rndne_f32_e32 v16, v12
	v_fmac_f32_e32 v13, 0x32a5705f, v9
	v_sub_f32_e32 v11, v11, v14
	v_fmac_f32_e32 v15, 0x32a5705f, v10
	v_sub_f32_e32 v12, v12, v16
	v_add_f32_e32 v11, v11, v13
	v_cvt_i32_f32_e32 v13, v14
	v_add_f32_e32 v12, v12, v15
	v_cvt_i32_f32_e32 v14, v16
	v_exp_f32_e32 v11, v11
	v_exp_f32_e32 v12, v12
	v_ldexp_f32 v11, v11, v13
	v_ldexp_f32 v12, v12, v14
	v_cndmask_b32_e32 v11, 0, v11, vcc_lo
	v_cmp_ngt_f32_e32 vcc_lo, 0xc2ce8ed0, v10
	v_cndmask_b32_e32 v12, 0, v12, vcc_lo
	v_cmp_nlt_f32_e32 vcc_lo, 0x42b17218, v9
	v_cndmask_b32_e32 v11, 0x7f800000, v11, vcc_lo
	v_cmp_nlt_f32_e32 vcc_lo, 0x42b17218, v10
	v_cndmask_b32_e32 v12, 0x7f800000, v12, vcc_lo
	v_cmp_le_f32_e32 vcc_lo, 0xc1a00000, v9
	v_cndmask_b32_e32 v9, 0, v11, vcc_lo
	v_cmp_le_f32_e32 vcc_lo, 0xc1a00000, v10
	v_cndmask_b32_e32 v10, 0, v12, vcc_lo
	s_waitcnt vmcnt(0)
	v_mul_f32_e32 v8, v8, v9
	v_mul_f32_e32 v9, s7, v9
	v_fmac_f32_e32 v8, v5, v10
	v_fmac_f32_e32 v9, v4, v10
	s_cbranch_execz .LBB26_19
.LBB26_17:                              ;   in Loop: Header=BB26_9 Depth=1
	s_andn2_b32 vcc_lo, exec_lo, s5
	s_cbranch_vccnz .LBB26_20
	s_branch .LBB26_23
.LBB26_18:                              ;   in Loop: Header=BB26_9 Depth=1
	s_andn2_b32 vcc_lo, exec_lo, s6
	s_cbranch_vccnz .LBB26_17
.LBB26_19:                              ;   in Loop: Header=BB26_9 Depth=1
	v_mov_b32_e32 v9, v4
	v_mov_b32_e32 v7, v6
	s_waitcnt vmcnt(0)
	v_mov_b32_e32 v8, v5
	s_add_i32 s1, s17, -1
	s_mov_b32 s20, s10
	s_cbranch_execz .LBB26_23
.LBB26_20:                              ;   in Loop: Header=BB26_9 Depth=1
	v_mov_b32_e32 v4, v9
	v_mov_b32_e32 v6, v7
	s_waitcnt vmcnt(0)
	v_mov_b32_e32 v5, v8
	s_mov_b32 s10, s20
	s_mov_b32 s17, s1
	s_branch .LBB26_9
.LBB26_21:
                                        ; implicit-def: $sgpr10_sgpr11
	s_load_dwordx4 s[12:15], s[4:5], 0x44
	s_branch .LBB26_2
.LBB26_22:
                                        ; implicit-def: $sgpr18_sgpr19
	s_branch .LBB26_5
.LBB26_23:
	v_div_scale_f32 v0, null, v9, v9, v8
	v_rcp_f32_e32 v3, v0
	v_fma_f32 v4, -v0, v3, 1.0
	v_fmac_f32_e32 v3, v4, v3
	v_div_scale_f32 v4, vcc_lo, v8, v9, v8
	s_waitcnt vmcnt(0)
	v_mul_f32_e32 v5, v4, v3
	v_fma_f32 v6, -v0, v5, v4
	v_fmac_f32_e32 v5, v6, v3
	v_fma_f32 v0, -v0, v5, v4
	v_div_fmas_f32 v0, v0, v3, v5
	v_div_fixup_f32 v0, v0, v9, v8
	global_store_dword v[1:2], v0, off
.LBB26_24:
	s_endpgm
	.section	.rodata,"a",@progbits
	.p2align	6, 0x0
	.amdhsa_kernel _ZL33flash_attn_stream_k_fixup_generalILi112ELi4ELi4EEvPfPK15HIP_vector_typeIfLj2EEiiiiS1_IjLj3EES5_S5_S5_
		.amdhsa_group_segment_fixed_size 0
		.amdhsa_private_segment_fixed_size 0
		.amdhsa_kernarg_size 336
		.amdhsa_user_sgpr_count 6
		.amdhsa_user_sgpr_private_segment_buffer 1
		.amdhsa_user_sgpr_dispatch_ptr 0
		.amdhsa_user_sgpr_queue_ptr 0
		.amdhsa_user_sgpr_kernarg_segment_ptr 1
		.amdhsa_user_sgpr_dispatch_id 0
		.amdhsa_user_sgpr_flat_scratch_init 0
		.amdhsa_user_sgpr_private_segment_size 0
		.amdhsa_wavefront_size32 1
		.amdhsa_uses_dynamic_stack 0
		.amdhsa_system_sgpr_private_segment_wavefront_offset 0
		.amdhsa_system_sgpr_workgroup_id_x 1
		.amdhsa_system_sgpr_workgroup_id_y 1
		.amdhsa_system_sgpr_workgroup_id_z 1
		.amdhsa_system_sgpr_workgroup_info 0
		.amdhsa_system_vgpr_workitem_id 0
		.amdhsa_next_free_vgpr 17
		.amdhsa_next_free_sgpr 31
		.amdhsa_reserve_vcc 1
		.amdhsa_reserve_flat_scratch 0
		.amdhsa_float_round_mode_32 0
		.amdhsa_float_round_mode_16_64 0
		.amdhsa_float_denorm_mode_32 3
		.amdhsa_float_denorm_mode_16_64 3
		.amdhsa_dx10_clamp 1
		.amdhsa_ieee_mode 1
		.amdhsa_fp16_overflow 0
		.amdhsa_workgroup_processor_mode 1
		.amdhsa_memory_ordered 1
		.amdhsa_forward_progress 1
		.amdhsa_shared_vgpr_count 0
		.amdhsa_exception_fp_ieee_invalid_op 0
		.amdhsa_exception_fp_denorm_src 0
		.amdhsa_exception_fp_ieee_div_zero 0
		.amdhsa_exception_fp_ieee_overflow 0
		.amdhsa_exception_fp_ieee_underflow 0
		.amdhsa_exception_fp_ieee_inexact 0
		.amdhsa_exception_int_div_zero 0
	.end_amdhsa_kernel
	.section	.text._ZL33flash_attn_stream_k_fixup_generalILi112ELi4ELi4EEvPfPK15HIP_vector_typeIfLj2EEiiiiS1_IjLj3EES5_S5_S5_,"axG",@progbits,_ZL33flash_attn_stream_k_fixup_generalILi112ELi4ELi4EEvPfPK15HIP_vector_typeIfLj2EEiiiiS1_IjLj3EES5_S5_S5_,comdat
.Lfunc_end26:
	.size	_ZL33flash_attn_stream_k_fixup_generalILi112ELi4ELi4EEvPfPK15HIP_vector_typeIfLj2EEiiiiS1_IjLj3EES5_S5_S5_, .Lfunc_end26-_ZL33flash_attn_stream_k_fixup_generalILi112ELi4ELi4EEvPfPK15HIP_vector_typeIfLj2EEiiiiS1_IjLj3EES5_S5_S5_
                                        ; -- End function
	.set _ZL33flash_attn_stream_k_fixup_generalILi112ELi4ELi4EEvPfPK15HIP_vector_typeIfLj2EEiiiiS1_IjLj3EES5_S5_S5_.num_vgpr, 17
	.set _ZL33flash_attn_stream_k_fixup_generalILi112ELi4ELi4EEvPfPK15HIP_vector_typeIfLj2EEiiiiS1_IjLj3EES5_S5_S5_.num_agpr, 0
	.set _ZL33flash_attn_stream_k_fixup_generalILi112ELi4ELi4EEvPfPK15HIP_vector_typeIfLj2EEiiiiS1_IjLj3EES5_S5_S5_.numbered_sgpr, 31
	.set _ZL33flash_attn_stream_k_fixup_generalILi112ELi4ELi4EEvPfPK15HIP_vector_typeIfLj2EEiiiiS1_IjLj3EES5_S5_S5_.num_named_barrier, 0
	.set _ZL33flash_attn_stream_k_fixup_generalILi112ELi4ELi4EEvPfPK15HIP_vector_typeIfLj2EEiiiiS1_IjLj3EES5_S5_S5_.private_seg_size, 0
	.set _ZL33flash_attn_stream_k_fixup_generalILi112ELi4ELi4EEvPfPK15HIP_vector_typeIfLj2EEiiiiS1_IjLj3EES5_S5_S5_.uses_vcc, 1
	.set _ZL33flash_attn_stream_k_fixup_generalILi112ELi4ELi4EEvPfPK15HIP_vector_typeIfLj2EEiiiiS1_IjLj3EES5_S5_S5_.uses_flat_scratch, 0
	.set _ZL33flash_attn_stream_k_fixup_generalILi112ELi4ELi4EEvPfPK15HIP_vector_typeIfLj2EEiiiiS1_IjLj3EES5_S5_S5_.has_dyn_sized_stack, 0
	.set _ZL33flash_attn_stream_k_fixup_generalILi112ELi4ELi4EEvPfPK15HIP_vector_typeIfLj2EEiiiiS1_IjLj3EES5_S5_S5_.has_recursion, 0
	.set _ZL33flash_attn_stream_k_fixup_generalILi112ELi4ELi4EEvPfPK15HIP_vector_typeIfLj2EEiiiiS1_IjLj3EES5_S5_S5_.has_indirect_call, 0
	.section	.AMDGPU.csdata,"",@progbits
; Kernel info:
; codeLenInByte = 2948
; TotalNumSgprs: 33
; NumVgprs: 17
; ScratchSize: 0
; MemoryBound: 0
; FloatMode: 240
; IeeeMode: 1
; LDSByteSize: 0 bytes/workgroup (compile time only)
; SGPRBlocks: 0
; VGPRBlocks: 2
; NumSGPRsForWavesPerEU: 33
; NumVGPRsForWavesPerEU: 17
; Occupancy: 16
; WaveLimiterHint : 0
; COMPUTE_PGM_RSRC2:SCRATCH_EN: 0
; COMPUTE_PGM_RSRC2:USER_SGPR: 6
; COMPUTE_PGM_RSRC2:TRAP_HANDLER: 0
; COMPUTE_PGM_RSRC2:TGID_X_EN: 1
; COMPUTE_PGM_RSRC2:TGID_Y_EN: 1
; COMPUTE_PGM_RSRC2:TGID_Z_EN: 1
; COMPUTE_PGM_RSRC2:TIDIG_COMP_CNT: 0
	.section	.text._ZL15flash_attn_tileILi112ELi112ELi2ELi4ELb0EEvPKcS1_S1_S1_S1_PKiPfP15HIP_vector_typeIfLj2EEffffjfiS5_IjLj3EEiiiiiiiiiiiliiliiiiil,"axG",@progbits,_ZL15flash_attn_tileILi112ELi112ELi2ELi4ELb0EEvPKcS1_S1_S1_S1_PKiPfP15HIP_vector_typeIfLj2EEffffjfiS5_IjLj3EEiiiiiiiiiiiliiliiiiil,comdat
	.globl	_ZL15flash_attn_tileILi112ELi112ELi2ELi4ELb0EEvPKcS1_S1_S1_S1_PKiPfP15HIP_vector_typeIfLj2EEffffjfiS5_IjLj3EEiiiiiiiiiiiliiliiiiil ; -- Begin function _ZL15flash_attn_tileILi112ELi112ELi2ELi4ELb0EEvPKcS1_S1_S1_S1_PKiPfP15HIP_vector_typeIfLj2EEffffjfiS5_IjLj3EEiiiiiiiiiiiliiliiiiil
	.p2align	8
	.type	_ZL15flash_attn_tileILi112ELi112ELi2ELi4ELb0EEvPKcS1_S1_S1_S1_PKiPfP15HIP_vector_typeIfLj2EEffffjfiS5_IjLj3EEiiiiiiiiiiiliiliiiiil,@function
_ZL15flash_attn_tileILi112ELi112ELi2ELi4ELb0EEvPKcS1_S1_S1_S1_PKiPfP15HIP_vector_typeIfLj2EEffffjfiS5_IjLj3EEiiiiiiiiiiiliiliiiiil: ; @_ZL15flash_attn_tileILi112ELi112ELi2ELi4ELb0EEvPKcS1_S1_S1_S1_PKiPfP15HIP_vector_typeIfLj2EEffffjfiS5_IjLj3EEiiiiiiiiiiiliiliiiiil
; %bb.0:
	s_clause 0x1
	s_load_dwordx4 s[24:27], s[4:5], 0x5c
	s_load_dwordx2 s[36:37], s[4:5], 0x80
	s_mov_b32 s34, s7
	s_mov_b64 s[38:39], 0
	s_waitcnt lgkmcnt(0)
	s_ashr_i32 s0, s27, 31
	s_lshr_b32 s0, s0, 30
	s_add_i32 s0, s27, s0
	s_ashr_i32 s0, s0, 2
	v_cvt_f32_u32_e32 v2, s0
	s_sub_i32 s2, 0, s0
	v_rcp_iflag_f32_e32 v2, v2
	v_mul_f32_e32 v2, 0x4f7ffffe, v2
	v_cvt_u32_f32_e32 v2, v2
	v_readfirstlane_b32 s1, v2
	s_mul_i32 s2, s2, s1
	s_mul_hi_u32 s2, s1, s2
	s_add_i32 s1, s1, s2
	s_mul_hi_u32 s1, s8, s1
	s_mul_i32 s2, s1, s0
	s_add_i32 s3, s1, 1
	s_sub_i32 s2, s8, s2
	s_sub_i32 s7, s2, s0
	s_cmp_ge_u32 s2, s0
	s_cselect_b32 s1, s3, s1
	s_cselect_b32 s2, s7, s2
	s_add_i32 s3, s1, 1
	s_cmp_ge_u32 s2, s0
	s_cselect_b32 s33, s3, s1
	s_abs_i32 s0, s37
	s_abs_i32 s3, s27
	v_cvt_f32_u32_e32 v2, s0
	s_sub_i32 s2, 0, s0
	s_xor_b32 s7, s27, s37
	s_ashr_i32 s7, s7, 31
	v_rcp_iflag_f32_e32 v2, v2
	v_mul_f32_e32 v2, 0x4f7ffffe, v2
	v_cvt_u32_f32_e32 v2, v2
	v_readfirstlane_b32 s1, v2
	s_mul_i32 s2, s2, s1
	s_mul_hi_u32 s2, s1, s2
	s_add_i32 s1, s1, s2
	s_lshl_b32 s2, s8, 2
	s_mul_hi_u32 s1, s3, s1
	s_mul_i32 s8, s1, s0
	s_sub_i32 s3, s3, s8
	s_add_i32 s8, s1, 1
	s_sub_i32 s9, s3, s0
	s_cmp_ge_u32 s3, s0
	s_cselect_b32 s1, s8, s1
	s_cselect_b32 s3, s9, s3
	s_add_i32 s8, s1, 1
	s_cmp_ge_u32 s3, s0
	s_mul_i32 s3, s33, s27
	s_cselect_b32 s0, s8, s1
	s_xor_b32 s0, s0, s7
	s_sub_i32 s35, s0, s7
	s_clause 0x1
	s_load_dwordx16 s[8:23], s[4:5], 0x0
	s_load_dwordx2 s[0:1], s[4:5], 0xb8
	s_abs_i32 s7, s35
	v_cvt_f32_u32_e32 v2, s7
	v_rcp_iflag_f32_e32 v2, v2
	v_mul_f32_e32 v2, 0x4f7ffffe, v2
	s_waitcnt lgkmcnt(0)
	s_cmp_eq_u64 s[14:15], 0
	v_cvt_u32_f32_e32 v2, v2
	v_readfirstlane_b32 s37, v2
	s_cbranch_scc1 .LBB27_2
; %bb.1:
	s_abs_i32 s0, s0
	s_abs_i32 s30, s33
	v_cvt_f32_u32_e32 v2, s0
	s_sub_i32 s29, 0, s0
	v_rcp_iflag_f32_e32 v2, v2
	v_mul_f32_e32 v2, 0x4f7ffffe, v2
	v_cvt_u32_f32_e32 v2, v2
	v_readfirstlane_b32 s28, v2
	s_mul_i32 s29, s29, s28
	s_mul_hi_u32 s29, s28, s29
	s_add_i32 s28, s28, s29
	s_mul_hi_u32 s31, s30, s28
	s_load_dwordx2 s[28:29], s[4:5], 0xc8
	s_mul_i32 s31, s31, s0
	s_sub_i32 s30, s30, s31
	s_ashr_i32 s31, s33, 31
	s_sub_i32 s38, s30, s0
	s_cmp_ge_u32 s30, s0
	s_cselect_b32 s30, s38, s30
	s_sub_i32 s38, s30, s0
	s_cmp_ge_u32 s30, s0
	s_cselect_b32 s0, s38, s30
	s_xor_b32 s0, s0, s31
	s_sub_i32 s0, s0, s31
	s_ashr_i32 s30, s0, 31
	s_waitcnt lgkmcnt(0)
	s_mul_hi_u32 s31, s28, s0
	s_mul_i32 s30, s28, s30
	s_mul_i32 s29, s29, s0
	s_add_i32 s30, s31, s30
	s_mul_i32 s0, s28, s0
	s_add_i32 s30, s30, s29
	s_add_u32 s38, s14, s0
	s_addc_u32 s39, s15, s30
.LBB27_2:
	s_movk_i32 s14, 0xe0
	v_cmp_gt_u32_e64 s0, 28, v0
	v_mad_u32_u24 v55, v1, s14, 0x1040
	v_lshlrev_b32_e32 v58, 3, v0
	v_and_b32_e32 v56, 3, v1
	v_lshrrev_b32_e32 v57, 2, v1
	s_sub_i32 s14, s2, s3
	s_lshl_b32 s15, s6, 1
	s_and_saveexec_b32 s2, s0
	s_cbranch_execz .LBB27_4
; %bb.3:
	v_add_nc_u32_e32 v2, s15, v57
	s_load_dwordx4 s[28:31], s[4:5], 0x70
	v_mul_hi_u32 v3, s24, v2
	v_add_nc_u32_e32 v3, v2, v3
	v_lshrrev_b32_e32 v3, s25, v3
	s_waitcnt lgkmcnt(0)
	s_mul_i32 s3, s33, s30
	s_mul_i32 s31, s14, s29
	v_mul_lo_u32 v3, v3, s26
	s_ashr_i32 s40, s3, 31
	s_add_u32 s3, s8, s3
	s_addc_u32 s8, s9, s40
	s_ashr_i32 s9, s31, 31
	s_add_u32 s3, s3, s31
	s_mov_b32 s30, s29
	s_addc_u32 s40, s8, s9
	s_ashr_i32 s31, s29, 31
	v_sub_nc_u32_e32 v8, v2, v3
	s_ashr_i32 s29, s28, 31
	s_lshr_b64 s[8:9], s[30:31], 2
	v_mad_u64_u32 v[2:3], null, s8, v56, 0
	s_lshr_b64 s[8:9], s[28:29], 2
	v_mad_u64_u32 v[4:5], null, s8, v8, 0
	s_lshr_b32 s8, s31, 2
	v_mad_u64_u32 v[6:7], null, s8, v56, v[3:4]
	s_lshr_b32 s8, s29, 2
	v_mad_u64_u32 v[7:8], null, s8, v8, v[5:6]
	v_mov_b32_e32 v3, v6
	v_lshlrev_b32_e32 v6, 4, v0
	v_lshlrev_b64 v[2:3], 2, v[2:3]
	v_mov_b32_e32 v5, v7
	v_lshlrev_b64 v[4:5], 2, v[4:5]
	v_add_co_u32 v2, vcc_lo, s3, v2
	v_add_co_ci_u32_e64 v3, null, s40, v3, vcc_lo
	s_load_dword s3, s[4:5], 0x40
	v_add_co_u32 v2, vcc_lo, v2, v4
	v_add_co_ci_u32_e64 v3, null, v3, v5, vcc_lo
	v_add_co_u32 v2, vcc_lo, v2, v6
	v_add_co_ci_u32_e64 v3, null, 0, v3, vcc_lo
	v_add_nc_u32_e32 v6, v55, v58
	global_load_dwordx4 v[2:5], v[2:3], off
	s_waitcnt vmcnt(0) lgkmcnt(0)
	v_fma_mixlo_f16 v3, s3, v3, 0
	v_fma_mixlo_f16 v2, s3, v2, 0
	v_fma_mixlo_f16 v4, s3, v4, 0
	v_fma_mixlo_f16 v5, s3, v5, 0
	v_lshlrev_b32_e32 v3, 16, v3
	v_and_b32_e32 v2, 0xffff, v2
	v_and_b32_e32 v4, 0xffff, v4
	v_lshlrev_b32_e32 v5, 16, v5
	v_or_b32_e32 v2, v3, v2
	v_or3_b32 v3, v5, v4, 0
	v_or3_b32 v2, 0, 0, v2
	ds_write_b64 v6, v[2:3]
.LBB27_4:
	s_or_b32 exec_lo, exec_lo, s2
	s_cmp_eq_u64 s[18:19], 0
	s_waitcnt lgkmcnt(0)
	s_barrier
	buffer_gl0_inv
	s_cbranch_scc1 .LBB27_6
; %bb.5:
	s_load_dword s2, s[4:5], 0xd0
	s_mov_b32 s3, 0
	s_waitcnt lgkmcnt(0)
	s_mul_i32 s2, s2, s33
	s_add_i32 s2, s2, s6
	s_lshl_b64 s[2:3], s[2:3], 2
	s_add_u32 s2, s18, s2
	s_addc_u32 s3, s19, s3
	s_load_dword s36, s[2:3], 0x0
.LBB27_6:
	v_mbcnt_lo_u32_b32 v59, -1, 0
	s_lshl_b32 s18, s34, 5
	s_waitcnt lgkmcnt(0)
	s_cmp_lt_i32 s18, s36
	s_cbranch_scc1 .LBB27_9
; %bb.7:
	v_mbcnt_lo_u32_b32 v2, -1, 0
	v_mov_b32_e32 v60, 32
	v_xor_b32_e32 v63, 16, v2
	v_xor_b32_e32 v62, 8, v2
	;; [unrolled: 1-line block ×5, first 2 shown]
	s_cbranch_execz .LBB27_10
; %bb.8:
	v_mov_b32_e32 v70, 0
	v_mov_b32_e32 v83, 0
	;; [unrolled: 1-line block ×4, first 2 shown]
	s_branch .LBB27_38
.LBB27_9:
                                        ; implicit-def: $vgpr2
                                        ; implicit-def: $vgpr60
                                        ; implicit-def: $vgpr63
                                        ; implicit-def: $vgpr62
                                        ; implicit-def: $vgpr80
                                        ; implicit-def: $vgpr81
                                        ; implicit-def: $vgpr82
.LBB27_10:
	s_clause 0x1
	s_load_dwordx4 s[28:31], s[4:5], 0x98
	s_load_dwordx2 s[2:3], s[4:5], 0x8c
	v_add_nc_u32_e32 v7, s15, v57
	s_sub_i32 s6, 0, s7
	v_lshrrev_b32_e32 v3, 2, v0
	s_mul_i32 s6, s6, s37
	s_abs_i32 s40, s14
	v_mul_hi_u32 v4, s24, v7
	s_mul_hi_u32 s6, s37, s6
	v_lshl_add_u32 v9, v1, 3, v3
	s_add_i32 s37, s37, s6
	s_ashr_i32 s6, s1, 1
	s_mul_hi_u32 s1, s40, s37
	s_ashr_i32 s37, s33, 31
	s_ashr_i32 s41, s14, 31
	v_add_nc_u32_e32 v3, v7, v4
	s_ashr_i32 s35, s35, 31
	s_load_dwordx2 s[8:9], s[4:5], 0xa8
	s_mul_i32 s42, s1, s7
	v_lshrrev_b32_e32 v2, 1, v0
	s_waitcnt lgkmcnt(0)
	s_ashr_i32 s19, s30, 2
	s_ashr_i32 s30, s2, 2
	s_mul_hi_u32 s2, s28, s33
	s_mul_i32 s43, s28, s37
	s_mul_i32 s29, s29, s33
	s_add_i32 s2, s2, s43
	s_mul_i32 s28, s28, s33
	v_lshrrev_b32_e32 v3, s25, v3
	s_add_i32 s2, s2, s29
	s_add_u32 s10, s10, s28
	s_addc_u32 s2, s11, s2
	s_sub_i32 s28, s40, s42
	s_xor_b32 s11, s41, s35
	s_add_i32 s29, s1, 1
	s_sub_i32 s35, s28, s7
	v_mul_lo_u32 v12, v3, s26
	s_cmp_ge_u32 s28, s7
	v_lshlrev_b32_e32 v10, 2, v0
	s_cselect_b32 s1, s29, s1
	s_cselect_b32 s28, s35, s28
	s_add_i32 s29, s1, 1
	s_cmp_ge_u32 s28, s7
	s_mul_hi_u32 s7, s8, s33
	s_cselect_b32 s1, s29, s1
	v_sub_nc_u32_e32 v12, v7, v12
	s_xor_b32 s1, s1, s11
	s_mul_i32 s29, s8, s37
	s_sub_i32 s1, s1, s11
	v_lshl_add_u32 v5, v1, 5, v0
	v_mad_u64_u32 v[41:42], null, v12, s6, v[0:1]
	v_lshrrev_b32_e32 v12, 3, v0
	s_mul_i32 s3, s1, s3
	v_lshl_add_u32 v8, v1, 4, v2
	s_ashr_i32 s28, s3, 31
	v_and_b32_e32 v14, 4, v10
	s_add_u32 s11, s10, s3
	s_mul_i32 s9, s9, s33
	s_addc_u32 s28, s2, s28
	s_add_i32 s2, s7, s29
	v_lshl_add_u32 v68, v1, 6, 0x1740
	v_lshl_add_u32 v1, v1, 2, v12
	s_mul_i32 s8, s8, s33
	s_mul_i32 s1, s1, s31
	s_add_i32 s2, s2, s9
	s_add_u32 s3, s12, s8
	v_cmp_gt_u32_e32 vcc_lo, 32, v5
	v_mul_lo_u32 v2, s30, v5
	v_lshlrev_b32_e32 v5, 7, v8
	v_lshlrev_b32_e32 v11, 2, v14
	v_and_b32_e32 v15, 12, v10
	v_mul_u32_u24_e32 v16, 0xe0, v8
	s_addc_u32 s8, s13, s2
	s_ashr_i32 s9, s1, 31
	s_add_u32 s24, s3, s1
	v_cmp_gt_u32_e64 s1, 32, v8
	v_mul_lo_u32 v4, s30, v8
	v_mul_lo_u32 v6, s30, v9
	v_cmp_gt_u32_e64 s3, 16, v8
	v_mul_lo_u32 v8, s19, v8
	v_and_b32_e32 v71, 28, v10
	v_mul_lo_u32 v10, s19, v9
	v_mul_lo_u32 v12, s19, v1
	v_lshlrev_b32_e32 v13, 2, v15
	v_or3_b32 v66, v5, v11, 64
	v_or_b32_e32 v11, v16, v11
	v_mul_u32_u24_e32 v16, 0xe0, v9
	v_cmp_gt_u32_e64 s2, 32, v9
	v_ashrrev_i32_e32 v3, 31, v2
	v_ashrrev_i32_e32 v5, 31, v4
	v_lshl_or_b32 v67, v9, 7, v13
	v_ashrrev_i32_e32 v7, 31, v6
	v_cmp_gt_u32_e64 s6, 16, v9
	v_add_nc_u32_e32 v72, 0xc0, v11
	v_ashrrev_i32_e32 v9, 31, v8
	v_add3_u32 v73, v16, v13, 0x80
	v_ashrrev_i32_e32 v11, 31, v10
	v_ashrrev_i32_e32 v13, 31, v12
	v_lshlrev_b32_e32 v64, 7, v0
	v_lshlrev_b32_e32 v17, 2, v71
	v_lshlrev_b64 v[42:43], 2, v[2:3]
	v_lshlrev_b64 v[44:45], 2, v[4:5]
	;; [unrolled: 1-line block ×6, first 2 shown]
	v_or_b32_e32 v65, 0x60, v64
	v_mov_b32_e32 v61, 0
	v_lshl_add_u32 v69, v0, 1, v68
	v_cmp_gt_u32_e64 s7, 16, v1
	v_mad_u32_u24 v74, 0xe0, v1, v17
	v_mov_b32_e32 v79, 0xfeffffff
	v_mov_b32_e32 v60, 32
	v_lshlrev_b32_e32 v75, 2, v14
	v_lshlrev_b32_e32 v76, 2, v15
	v_xor_b32_e32 v63, 16, v59
	v_xor_b32_e32 v62, 8, v59
	v_mov_b32_e32 v77, 0x10001
	v_mov_b32_e32 v70, 0
	;; [unrolled: 1-line block ×3, first 2 shown]
	s_addc_u32 s25, s8, s9
	s_add_u32 s12, s4, 0xd0
	s_addc_u32 s13, s5, 0
.LBB27_11:                              ; =>This Inner Loop Header: Depth=1
	s_mul_hi_i32 s9, s18, s30
	s_mul_i32 s8, s18, s30
	s_lshl_b64 s[40:41], s[8:9], 2
	s_add_u32 s9, s11, s40
	s_addc_u32 s10, s28, s41
	s_and_saveexec_b32 s29, vcc_lo
	s_cbranch_execnz .LBB27_29
; %bb.12:                               ;   in Loop: Header=BB27_11 Depth=1
	s_or_b32 exec_lo, exec_lo, s29
	s_and_saveexec_b32 s29, s1
	s_cbranch_execnz .LBB27_30
.LBB27_13:                              ;   in Loop: Header=BB27_11 Depth=1
	s_or_b32 exec_lo, exec_lo, s29
	s_and_saveexec_b32 s29, s2
	s_cbranch_execz .LBB27_15
.LBB27_14:                              ;   in Loop: Header=BB27_11 Depth=1
	v_add_co_u32 v1, s8, s9, v46
	v_add_co_ci_u32_e64 v2, null, s10, v47, s8
	v_add_co_u32 v1, s8, v1, v76
	v_add_co_ci_u32_e64 v2, null, 0, v2, s8
	global_load_dwordx4 v[1:4], v[1:2], off
	s_waitcnt vmcnt(0)
	ds_write_b128 v67, v[1:4]
.LBB27_15:                              ;   in Loop: Header=BB27_11 Depth=1
	s_or_b32 exec_lo, exec_lo, s29
	s_waitcnt lgkmcnt(0)
	s_barrier
	buffer_gl0_inv
	ds_read_b128 v[2:5], v64
	ds_read_b128 v[6:9], v55
	v_mov_b32_e32 v1, 0
	s_waitcnt lgkmcnt(0)
	;;#ASMSTART
	v_dot2_f32_f16 v1, v2, v6, v1
	;;#ASMEND
	;;#ASMSTART
	v_dot2_f32_f16 v1, v3, v7, v1
	;;#ASMEND
	;;#ASMSTART
	v_dot2_f32_f16 v1, v4, v8, v1
	;;#ASMEND
	;;#ASMSTART
	v_dot2_f32_f16 v1, v5, v9, v1
	;;#ASMEND
	ds_read_b128 v[2:5], v64 offset:16
	ds_read_b128 v[6:9], v55 offset:16
	s_waitcnt lgkmcnt(0)
	;;#ASMSTART
	v_dot2_f32_f16 v1, v2, v6, v1
	;;#ASMEND
	;;#ASMSTART
	v_dot2_f32_f16 v1, v3, v7, v1
	;;#ASMEND
	;;#ASMSTART
	v_dot2_f32_f16 v1, v4, v8, v1
	;;#ASMEND
	;;#ASMSTART
	v_dot2_f32_f16 v1, v5, v9, v1
	;;#ASMEND
	ds_read_b128 v[2:5], v64 offset:32
	ds_read_b128 v[6:9], v55 offset:32
	;; [unrolled: 15-line block ×6, first 2 shown]
	s_waitcnt lgkmcnt(0)
	;;#ASMSTART
	v_dot2_f32_f16 v1, v2, v6, v1
	;;#ASMEND
	;;#ASMSTART
	v_dot2_f32_f16 v1, v3, v7, v1
	;;#ASMEND
	;; [unrolled: 3-line block ×4, first 2 shown]
	s_barrier
	buffer_gl0_inv
	s_and_saveexec_b32 s29, vcc_lo
	s_cbranch_execnz .LBB27_31
; %bb.16:                               ;   in Loop: Header=BB27_11 Depth=1
	s_or_b32 exec_lo, exec_lo, s29
	s_and_saveexec_b32 s29, s1
	s_cbranch_execnz .LBB27_32
.LBB27_17:                              ;   in Loop: Header=BB27_11 Depth=1
	s_or_b32 exec_lo, exec_lo, s29
	s_and_saveexec_b32 s29, s2
	s_cbranch_execz .LBB27_19
.LBB27_18:                              ;   in Loop: Header=BB27_11 Depth=1
	v_add_co_u32 v2, s8, s9, v46
	v_add_co_ci_u32_e64 v3, null, s10, v47, s8
	v_add_co_u32 v2, s8, v2, v76
	v_add_co_ci_u32_e64 v3, null, 0, v3, s8
	global_load_dwordx4 v[2:5], v[2:3], off offset:112
	s_waitcnt vmcnt(0)
	ds_write_b128 v67, v[2:5]
.LBB27_19:                              ;   in Loop: Header=BB27_11 Depth=1
	s_or_b32 exec_lo, exec_lo, s29
	s_waitcnt lgkmcnt(0)
	s_barrier
	buffer_gl0_inv
	ds_read_b128 v[2:5], v64
	ds_read_b128 v[6:9], v55 offset:112
	v_add_nc_u32_e32 v10, s18, v41
	v_xor_b32_e32 v80, 4, v59
	v_xor_b32_e32 v81, 2, v59
	;; [unrolled: 1-line block ×3, first 2 shown]
	s_mul_hi_i32 s9, s18, s19
	v_ashrrev_i32_e32 v11, 31, v10
	s_waitcnt lgkmcnt(0)
	;;#ASMSTART
	v_dot2_f32_f16 v1, v2, v6, v1
	;;#ASMEND
	;;#ASMSTART
	v_dot2_f32_f16 v1, v3, v7, v1
	;;#ASMEND
	;; [unrolled: 3-line block ×4, first 2 shown]
	ds_read_b128 v[2:5], v64 offset:16
	ds_read_b128 v[6:9], v55 offset:128
	v_lshlrev_b64 v[10:11], 1, v[10:11]
	s_waitcnt lgkmcnt(0)
	;;#ASMSTART
	v_dot2_f32_f16 v1, v2, v6, v1
	;;#ASMEND
	;;#ASMSTART
	v_dot2_f32_f16 v1, v3, v7, v1
	;;#ASMEND
	;; [unrolled: 3-line block ×4, first 2 shown]
	ds_read_b128 v[2:5], v64 offset:32
	ds_read_b128 v[6:9], v55 offset:144
	v_add_co_u32 v10, s8, s38, v10
	v_add_co_ci_u32_e64 v11, null, s39, v11, s8
	v_cmp_gt_i32_e64 s8, 32, v63
	s_waitcnt lgkmcnt(0)
	;;#ASMSTART
	v_dot2_f32_f16 v1, v2, v6, v1
	;;#ASMEND
	;;#ASMSTART
	v_dot2_f32_f16 v1, v3, v7, v1
	;;#ASMEND
	;;#ASMSTART
	v_dot2_f32_f16 v1, v4, v8, v1
	;;#ASMEND
	;;#ASMSTART
	v_dot2_f32_f16 v1, v5, v9, v1
	;;#ASMEND
	ds_read_b128 v[2:5], v64 offset:48
	ds_read_b128 v[6:9], v55 offset:160
	s_waitcnt lgkmcnt(0)
	;;#ASMSTART
	v_dot2_f32_f16 v1, v2, v6, v1
	;;#ASMEND
	;;#ASMSTART
	v_dot2_f32_f16 v1, v3, v7, v1
	;;#ASMEND
	;;#ASMSTART
	v_dot2_f32_f16 v1, v4, v8, v1
	;;#ASMEND
	;;#ASMSTART
	v_dot2_f32_f16 v1, v5, v9, v1
	;;#ASMEND
	ds_read_b128 v[2:5], v64 offset:64
	ds_read_b128 v[6:9], v55 offset:176
	;; [unrolled: 15-line block ×4, first 2 shown]
	s_waitcnt lgkmcnt(0)
	;;#ASMSTART
	v_dot2_f32_f16 v1, v2, v6, v1
	;;#ASMEND
	;;#ASMSTART
	v_dot2_f32_f16 v1, v3, v7, v1
	;;#ASMEND
	;; [unrolled: 3-line block ×4, first 2 shown]
	global_load_ushort v2, v[10:11], off
	v_max_f32_e32 v3, v79, v79
	s_waitcnt vmcnt(0)
	s_barrier
	buffer_gl0_inv
	v_cvt_f32_f16_e32 v2, v2
	v_add_f32_e32 v1, v1, v2
	v_cndmask_b32_e64 v2, v59, v63, s8
	v_cmp_gt_i32_e64 s8, 32, v62
	v_add_f32_e32 v4, 0x40051340, v1
	v_lshlrev_b32_e32 v2, 2, v2
	v_max_f32_e32 v3, v3, v4
	v_cndmask_b32_e64 v4, v59, v62, s8
	v_cmp_gt_i32_e64 s8, 32, v80
	ds_bpermute_b32 v2, v2, v3
	v_lshlrev_b32_e32 v4, 2, v4
	s_waitcnt lgkmcnt(0)
	v_max_f32_e32 v2, v2, v2
	v_max_f32_e32 v2, v3, v2
	ds_bpermute_b32 v3, v4, v2
	v_cndmask_b32_e64 v4, v59, v80, s8
	v_cmp_gt_i32_e64 s8, 32, v81
	v_lshlrev_b32_e32 v4, 2, v4
	s_waitcnt lgkmcnt(0)
	v_max_f32_e32 v3, v3, v3
	v_max_f32_e32 v2, v2, v3
	ds_bpermute_b32 v3, v4, v2
	v_cndmask_b32_e64 v4, v59, v81, s8
	v_cmp_gt_i32_e64 s8, 32, v82
	v_lshlrev_b32_e32 v4, 2, v4
	s_waitcnt lgkmcnt(0)
	v_max_f32_e32 v3, v3, v3
	v_max_f32_e32 v2, v2, v3
	ds_bpermute_b32 v3, v4, v2
	v_cndmask_b32_e64 v4, v59, v82, s8
	v_lshlrev_b32_e32 v4, 2, v4
	s_waitcnt lgkmcnt(0)
	v_max_f32_e32 v3, v3, v3
	v_max_f32_e32 v2, v2, v3
	ds_bpermute_b32 v3, v4, v2
	s_waitcnt lgkmcnt(0)
	v_max_f32_e32 v3, v3, v3
	v_max_f32_e32 v54, v2, v3
	v_sub_f32_e32 v1, v1, v54
	v_mul_f32_e32 v2, 0x3fb8aa3b, v1
	v_cmp_ngt_f32_e64 s8, 0xc2ce8ed0, v1
	v_fma_f32 v3, 0x3fb8aa3b, v1, -v2
	v_rndne_f32_e32 v4, v2
	v_fmac_f32_e32 v3, 0x32a5705f, v1
	v_sub_f32_e32 v2, v2, v4
	v_add_f32_e32 v2, v2, v3
	v_cvt_i32_f32_e32 v3, v4
	v_exp_f32_e32 v2, v2
	v_ldexp_f32 v2, v2, v3
	v_cndmask_b32_e64 v2, 0, v2, s8
	v_cmp_nlt_f32_e64 s8, 0x42b17218, v1
	v_cndmask_b32_e64 v83, 0x7f800000, v2, s8
	s_mul_i32 s8, s18, s19
	s_lshl_b64 s[40:41], s[8:9], 2
	v_cvt_f16_f32_e32 v1, v83
	s_add_u32 s9, s24, s40
	s_addc_u32 s10, s25, s41
	ds_write_b16 v69, v1
	s_and_saveexec_b32 s29, s3
	s_cbranch_execnz .LBB27_33
; %bb.20:                               ;   in Loop: Header=BB27_11 Depth=1
	s_or_b32 exec_lo, exec_lo, s29
	s_and_saveexec_b32 s29, s6
	s_cbranch_execnz .LBB27_34
.LBB27_21:                              ;   in Loop: Header=BB27_11 Depth=1
	s_or_b32 exec_lo, exec_lo, s29
	v_lshlrev_b32_e32 v85, 2, v71
	s_and_saveexec_b32 s29, s7
	s_cbranch_execz .LBB27_23
.LBB27_22:                              ;   in Loop: Header=BB27_11 Depth=1
	v_add_co_u32 v1, s8, s9, v52
	v_add_co_ci_u32_e64 v2, null, s10, v53, s8
	v_add_co_u32 v1, s8, v1, v85
	v_add_co_ci_u32_e64 v2, null, 0, v2, s8
	global_load_dwordx4 v[1:4], v[1:2], off
	s_waitcnt vmcnt(0)
	ds_write_b128 v74, v[1:4]
.LBB27_23:                              ;   in Loop: Header=BB27_11 Depth=1
	s_or_b32 exec_lo, exec_lo, s29
	v_add_nc_u32_e32 v84, 0x800, v58
	s_waitcnt lgkmcnt(0)
	s_barrier
	buffer_gl0_inv
	ds_read2_b64 v[25:28], v58 offset1:28
	ds_read_b128 v[17:20], v68
	ds_read_b128 v[1:4], v68 offset:16
	ds_read2_b64 v[37:40], v58 offset0:56 offset1:84
	ds_read2_b64 v[33:36], v58 offset0:112 offset1:140
	;; [unrolled: 1-line block ×7, first 2 shown]
	v_sub_f32_e32 v79, v79, v54
	s_or_b32 s10, s18, 16
	s_waitcnt lgkmcnt(0)
	s_mul_hi_i32 s41, s10, s19
	s_mul_i32 s40, s10, s19
	v_cmp_ngt_f32_e64 s8, 0xc2ce8ed0, v79
	v_cmp_nlt_f32_e64 s9, 0x42b17218, v79
	s_lshl_b64 s[40:41], s[40:41], 2
	s_barrier
	s_add_u32 s29, s24, s40
	s_addc_u32 s31, s25, s41
	buffer_gl0_inv
	s_and_saveexec_b32 s35, s3
	s_cbranch_execnz .LBB27_35
; %bb.24:                               ;   in Loop: Header=BB27_11 Depth=1
	s_or_b32 exec_lo, exec_lo, s35
	s_and_saveexec_b32 s35, s6
	s_cbranch_execnz .LBB27_36
.LBB27_25:                              ;   in Loop: Header=BB27_11 Depth=1
	s_or_b32 exec_lo, exec_lo, s35
	s_and_saveexec_b32 s35, s7
	s_cbranch_execz .LBB27_27
.LBB27_26:                              ;   in Loop: Header=BB27_11 Depth=1
	v_add_co_u32 v86, s10, s29, v52
	v_add_co_ci_u32_e64 v87, null, s31, v53, s10
	v_add_co_u32 v85, s10, v86, v85
	v_add_co_ci_u32_e64 v86, null, 0, v87, s10
	global_load_dwordx4 v[85:88], v[85:86], off
	s_waitcnt vmcnt(0)
	ds_write_b128 v74, v[85:88]
.LBB27_27:                              ;   in Loop: Header=BB27_11 Depth=1
	s_or_b32 exec_lo, exec_lo, s35
	v_mul_f32_e32 v85, 0x3fb8aa3b, v79
	s_waitcnt lgkmcnt(0)
	s_barrier
	buffer_gl0_inv
	v_fma_f32 v86, 0x3fb8aa3b, v79, -v85
	v_rndne_f32_e32 v87, v85
	v_fmac_f32_e32 v86, 0x32a5705f, v79
	v_sub_f32_e32 v79, v85, v87
	v_cvt_i32_f32_e32 v85, v87
	v_add_f32_e32 v79, v79, v86
	v_exp_f32_e32 v79, v79
	v_ldexp_f32 v79, v79, v85
	v_mul_u32_u24_sdwa v85, v17, v77 dst_sel:DWORD dst_unused:UNUSED_PAD src0_sel:WORD_0 src1_sel:DWORD
	v_mul_u32_u24_sdwa v17, v17, v77 dst_sel:DWORD dst_unused:UNUSED_PAD src0_sel:WORD_1 src1_sel:DWORD
	v_cndmask_b32_e64 v79, 0, v79, s8
	v_pk_mul_f16 v25, v25, v85
	v_pk_mul_f16 v26, v26, v85
	v_cndmask_b32_e64 v79, 0x7f800000, v79, s9
	v_cvt_f16_f32_e32 v86, v79
	v_fmac_f32_e32 v83, v78, v79
	v_mul_u32_u24_sdwa v86, v86, v77 dst_sel:DWORD dst_unused:UNUSED_PAD src0_sel:WORD_0 src1_sel:DWORD
	v_pk_fma_f16 v25, v61, v86, v25
	v_pk_fma_f16 v26, v70, v86, v26
	v_mul_u32_u24_sdwa v61, v18, v77 dst_sel:DWORD dst_unused:UNUSED_PAD src0_sel:WORD_0 src1_sel:DWORD
	v_mul_u32_u24_sdwa v18, v18, v77 dst_sel:DWORD dst_unused:UNUSED_PAD src0_sel:WORD_1 src1_sel:DWORD
	v_pk_fma_f16 v25, v27, v17, v25
	v_pk_fma_f16 v17, v28, v17, v26
	v_mul_u32_u24_sdwa v26, v19, v77 dst_sel:DWORD dst_unused:UNUSED_PAD src0_sel:WORD_0 src1_sel:DWORD
	v_pk_fma_f16 v25, v37, v61, v25
	v_pk_fma_f16 v17, v38, v61, v17
	;; [unrolled: 1-line block ×4, first 2 shown]
	v_mul_u32_u24_sdwa v18, v19, v77 dst_sel:DWORD dst_unused:UNUSED_PAD src0_sel:WORD_1 src1_sel:DWORD
	v_pk_fma_f16 v19, v33, v26, v25
	v_pk_fma_f16 v17, v34, v26, v17
	v_mul_u32_u24_sdwa v25, v20, v77 dst_sel:DWORD dst_unused:UNUSED_PAD src0_sel:WORD_0 src1_sel:DWORD
	v_pk_fma_f16 v19, v35, v18, v19
	v_pk_fma_f16 v17, v36, v18, v17
	v_mul_u32_u24_sdwa v18, v20, v77 dst_sel:DWORD dst_unused:UNUSED_PAD src0_sel:WORD_1 src1_sel:DWORD
	v_mul_u32_u24_sdwa v20, v1, v77 dst_sel:DWORD dst_unused:UNUSED_PAD src0_sel:WORD_0 src1_sel:DWORD
	v_mul_u32_u24_sdwa v1, v1, v77 dst_sel:DWORD dst_unused:UNUSED_PAD src0_sel:WORD_1 src1_sel:DWORD
	v_pk_fma_f16 v19, v29, v25, v19
	v_pk_fma_f16 v17, v30, v25, v17
	;; [unrolled: 1-line block ×6, first 2 shown]
	v_mul_u32_u24_sdwa v19, v2, v77 dst_sel:DWORD dst_unused:UNUSED_PAD src0_sel:WORD_0 src1_sel:DWORD
	v_mul_u32_u24_sdwa v2, v2, v77 dst_sel:DWORD dst_unused:UNUSED_PAD src0_sel:WORD_1 src1_sel:DWORD
	v_mul_u32_u24_sdwa v21, v3, v77 dst_sel:DWORD dst_unused:UNUSED_PAD src0_sel:WORD_0 src1_sel:DWORD
	v_pk_fma_f16 v18, v23, v1, v18
	v_pk_fma_f16 v1, v24, v1, v17
	;; [unrolled: 1-line block ×4, first 2 shown]
	ds_read_b128 v[17:20], v68 offset:32
	v_pk_fma_f16 v22, v15, v2, v13
	v_pk_fma_f16 v1, v16, v2, v1
	v_mul_u32_u24_sdwa v2, v3, v77 dst_sel:DWORD dst_unused:UNUSED_PAD src0_sel:WORD_1 src1_sel:DWORD
	ds_read2_b64 v[13:16], v58 offset1:28
	v_pk_fma_f16 v3, v9, v21, v22
	v_pk_fma_f16 v1, v10, v21, v1
	v_mul_u32_u24_sdwa v9, v4, v77 dst_sel:DWORD dst_unused:UNUSED_PAD src0_sel:WORD_0 src1_sel:DWORD
	v_mul_u32_u24_sdwa v21, v4, v77 dst_sel:DWORD dst_unused:UNUSED_PAD src0_sel:WORD_1 src1_sel:DWORD
	v_pk_fma_f16 v10, v11, v2, v3
	v_pk_fma_f16 v11, v12, v2, v1
	ds_read2_b64 v[1:4], v58 offset0:56 offset1:84
	v_pk_fma_f16 v5, v5, v9, v10
	v_pk_fma_f16 v6, v6, v9, v11
	ds_read_b128 v[9:12], v68 offset:48
	s_waitcnt lgkmcnt(3)
	v_mul_u32_u24_sdwa v22, v17, v77 dst_sel:DWORD dst_unused:UNUSED_PAD src0_sel:WORD_0 src1_sel:DWORD
	v_mul_u32_u24_sdwa v17, v17, v77 dst_sel:DWORD dst_unused:UNUSED_PAD src0_sel:WORD_1 src1_sel:DWORD
	v_pk_fma_f16 v23, v7, v21, v5
	v_pk_fma_f16 v21, v8, v21, v6
	ds_read2_b64 v[5:8], v58 offset0:112 offset1:140
	s_waitcnt lgkmcnt(3)
	v_pk_fma_f16 v13, v13, v22, v23
	v_pk_fma_f16 v14, v14, v22, v21
	v_mul_u32_u24_sdwa v21, v18, v77 dst_sel:DWORD dst_unused:UNUSED_PAD src0_sel:WORD_0 src1_sel:DWORD
	v_mul_u32_u24_sdwa v18, v18, v77 dst_sel:DWORD dst_unused:UNUSED_PAD src0_sel:WORD_1 src1_sel:DWORD
	v_pk_fma_f16 v22, v15, v17, v13
	v_pk_fma_f16 v17, v16, v17, v14
	ds_read2_b64 v[13:16], v58 offset0:168 offset1:196
	s_waitcnt lgkmcnt(3)
	v_pk_fma_f16 v1, v1, v21, v22
	v_pk_fma_f16 v2, v2, v21, v17
	;; [unrolled: 8-line block ×3, first 2 shown]
	v_mul_u32_u24_sdwa v17, v20, v77 dst_sel:DWORD dst_unused:UNUSED_PAD src0_sel:WORD_0 src1_sel:DWORD
	v_mul_u32_u24_sdwa v20, v20, v77 dst_sel:DWORD dst_unused:UNUSED_PAD src0_sel:WORD_1 src1_sel:DWORD
	v_mul_u32_u24_sdwa v21, v10, v77 dst_sel:DWORD dst_unused:UNUSED_PAD src0_sel:WORD_0 src1_sel:DWORD
	v_pk_fma_f16 v18, v7, v19, v5
	v_pk_fma_f16 v19, v8, v19, v6
	ds_read2_b64 v[5:8], v84 offset0:24 offset1:52
	s_waitcnt lgkmcnt(2)
	v_pk_fma_f16 v13, v13, v17, v18
	v_pk_fma_f16 v14, v14, v17, v19
	v_mul_u32_u24_sdwa v17, v9, v77 dst_sel:DWORD dst_unused:UNUSED_PAD src0_sel:WORD_0 src1_sel:DWORD
	v_mul_u32_u24_sdwa v9, v9, v77 dst_sel:DWORD dst_unused:UNUSED_PAD src0_sel:WORD_1 src1_sel:DWORD
	v_pk_fma_f16 v18, v15, v20, v13
	v_pk_fma_f16 v19, v16, v20, v14
	ds_read2_b64 v[13:16], v84 offset0:80 offset1:108
	s_waitcnt lgkmcnt(2)
	v_pk_fma_f16 v1, v1, v17, v18
	v_pk_fma_f16 v2, v2, v17, v19
	ds_read2_b64 v[17:20], v84 offset0:136 offset1:164
	s_waitcnt lgkmcnt(0)
	s_barrier
	v_pk_fma_f16 v1, v3, v9, v1
	v_pk_fma_f16 v2, v4, v9, v2
	v_mul_u32_u24_sdwa v3, v10, v77 dst_sel:DWORD dst_unused:UNUSED_PAD src0_sel:WORD_1 src1_sel:DWORD
	buffer_gl0_inv
	s_load_dword s8, s[12:13], 0x4
	v_pk_fma_f16 v1, v5, v21, v1
	v_pk_fma_f16 v2, v6, v21, v2
	v_mul_u32_u24_sdwa v4, v11, v77 dst_sel:DWORD dst_unused:UNUSED_PAD src0_sel:WORD_0 src1_sel:DWORD
	v_pk_fma_f16 v1, v7, v3, v1
	v_pk_fma_f16 v2, v8, v3, v2
	v_mul_u32_u24_sdwa v3, v11, v77 dst_sel:DWORD dst_unused:UNUSED_PAD src0_sel:WORD_1 src1_sel:DWORD
	v_pk_fma_f16 v1, v13, v4, v1
	v_pk_fma_f16 v2, v14, v4, v2
	v_mul_u32_u24_sdwa v4, v12, v77 dst_sel:DWORD dst_unused:UNUSED_PAD src0_sel:WORD_0 src1_sel:DWORD
	v_pk_fma_f16 v1, v15, v3, v1
	v_pk_fma_f16 v2, v16, v3, v2
	v_mul_u32_u24_sdwa v3, v12, v77 dst_sel:DWORD dst_unused:UNUSED_PAD src0_sel:WORD_1 src1_sel:DWORD
	s_waitcnt lgkmcnt(0)
	s_lshl_b32 s8, s8, 5
	v_pk_fma_f16 v1, v17, v4, v1
	v_pk_fma_f16 v2, v18, v4, v2
	s_add_i32 s18, s8, s18
	s_cmp_ge_i32 s18, s36
	v_pk_fma_f16 v61, v19, v3, v1
	v_pk_fma_f16 v70, v20, v3, v2
	s_cbranch_scc1 .LBB27_37
; %bb.28:                               ;   in Loop: Header=BB27_11 Depth=1
	v_mov_b32_e32 v79, v54
	v_mov_b32_e32 v78, v83
	s_branch .LBB27_11
.LBB27_29:                              ;   in Loop: Header=BB27_11 Depth=1
	v_add_co_u32 v1, s8, s9, v42
	v_add_co_ci_u32_e64 v2, null, s10, v43, s8
	global_load_dwordx4 v[1:4], v[1:2], off offset:96
	s_waitcnt vmcnt(0)
	ds_write_b128 v65, v[1:4]
	s_or_b32 exec_lo, exec_lo, s29
	s_and_saveexec_b32 s29, s1
	s_cbranch_execz .LBB27_13
.LBB27_30:                              ;   in Loop: Header=BB27_11 Depth=1
	v_add_co_u32 v1, s8, s9, v44
	v_add_co_ci_u32_e64 v2, null, s10, v45, s8
	v_add_co_u32 v1, s8, v1, v75
	v_add_co_ci_u32_e64 v2, null, 0, v2, s8
	global_load_dwordx4 v[1:4], v[1:2], off offset:64
	s_waitcnt vmcnt(0)
	ds_write_b128 v66, v[1:4]
	s_or_b32 exec_lo, exec_lo, s29
	s_and_saveexec_b32 s29, s2
	s_cbranch_execnz .LBB27_14
	s_branch .LBB27_15
.LBB27_31:                              ;   in Loop: Header=BB27_11 Depth=1
	v_add_co_u32 v2, s8, s9, v42
	v_add_co_ci_u32_e64 v3, null, s10, v43, s8
	global_load_dwordx4 v[2:5], v[2:3], off offset:208
	s_waitcnt vmcnt(0)
	ds_write_b128 v65, v[2:5]
	s_or_b32 exec_lo, exec_lo, s29
	s_and_saveexec_b32 s29, s1
	s_cbranch_execz .LBB27_17
.LBB27_32:                              ;   in Loop: Header=BB27_11 Depth=1
	v_add_co_u32 v2, s8, s9, v44
	v_add_co_ci_u32_e64 v3, null, s10, v45, s8
	v_add_co_u32 v2, s8, v2, v75
	v_add_co_ci_u32_e64 v3, null, 0, v3, s8
	global_load_dwordx4 v[2:5], v[2:3], off offset:176
	s_waitcnt vmcnt(0)
	ds_write_b128 v66, v[2:5]
	s_or_b32 exec_lo, exec_lo, s29
	s_and_saveexec_b32 s29, s2
	s_cbranch_execnz .LBB27_18
	s_branch .LBB27_19
.LBB27_33:                              ;   in Loop: Header=BB27_11 Depth=1
	v_add_co_u32 v1, s8, s9, v48
	v_add_co_ci_u32_e64 v2, null, s10, v49, s8
	v_add_co_u32 v1, s8, v1, v75
	v_add_co_ci_u32_e64 v2, null, 0, v2, s8
	global_load_dwordx4 v[1:4], v[1:2], off offset:192
	s_waitcnt vmcnt(0)
	ds_write_b128 v72, v[1:4]
	s_or_b32 exec_lo, exec_lo, s29
	s_and_saveexec_b32 s29, s6
	s_cbranch_execz .LBB27_21
.LBB27_34:                              ;   in Loop: Header=BB27_11 Depth=1
	v_add_co_u32 v1, s8, s9, v50
	v_add_co_ci_u32_e64 v2, null, s10, v51, s8
	v_add_co_u32 v1, s8, v1, v76
	v_add_co_ci_u32_e64 v2, null, 0, v2, s8
	global_load_dwordx4 v[1:4], v[1:2], off offset:128
	s_waitcnt vmcnt(0)
	ds_write_b128 v73, v[1:4]
	s_or_b32 exec_lo, exec_lo, s29
	v_lshlrev_b32_e32 v85, 2, v71
	s_and_saveexec_b32 s29, s7
	s_cbranch_execnz .LBB27_22
	s_branch .LBB27_23
.LBB27_35:                              ;   in Loop: Header=BB27_11 Depth=1
	v_add_co_u32 v86, s10, s29, v48
	v_add_co_ci_u32_e64 v87, null, s31, v49, s10
	v_add_co_u32 v86, s10, v86, v75
	v_add_co_ci_u32_e64 v87, null, 0, v87, s10
	global_load_dwordx4 v[86:89], v[86:87], off offset:192
	s_waitcnt vmcnt(0)
	ds_write_b128 v72, v[86:89]
	s_or_b32 exec_lo, exec_lo, s35
	s_and_saveexec_b32 s35, s6
	s_cbranch_execz .LBB27_25
.LBB27_36:                              ;   in Loop: Header=BB27_11 Depth=1
	v_add_co_u32 v86, s10, s29, v50
	v_add_co_ci_u32_e64 v87, null, s31, v51, s10
	v_add_co_u32 v86, s10, v86, v76
	v_add_co_ci_u32_e64 v87, null, 0, v87, s10
	global_load_dwordx4 v[86:89], v[86:87], off offset:128
	s_waitcnt vmcnt(0)
	ds_write_b128 v73, v[86:89]
	s_or_b32 exec_lo, exec_lo, s35
	s_and_saveexec_b32 s35, s7
	s_cbranch_execnz .LBB27_26
	s_branch .LBB27_27
.LBB27_37:
	v_mov_b32_e32 v2, v59
.LBB27_38:
	v_cmp_lt_i32_e32 vcc_lo, v63, v60
	s_cmp_lg_u64 s[16:17], 0
	s_cselect_b32 s1, -1, 0
	s_cmp_eq_u32 s34, 0
	v_cndmask_b32_e32 v1, v2, v63, vcc_lo
	v_cmp_lt_i32_e32 vcc_lo, v62, v60
	s_cselect_b32 s2, -1, 0
	s_and_b32 s1, s2, s1
	v_lshlrev_b32_e32 v1, 2, v1
	v_cndmask_b32_e32 v3, v2, v62, vcc_lo
	v_cmp_lt_i32_e32 vcc_lo, v80, v60
	ds_bpermute_b32 v1, v1, v83
	v_lshlrev_b32_e32 v3, 2, v3
	v_cndmask_b32_e32 v4, v2, v80, vcc_lo
	v_cmp_lt_i32_e32 vcc_lo, v81, v60
	v_lshlrev_b32_e32 v4, 2, v4
	s_waitcnt lgkmcnt(0)
	v_add_f32_e32 v1, v83, v1
	ds_bpermute_b32 v3, v3, v1
	s_waitcnt lgkmcnt(0)
	v_add_f32_e32 v1, v1, v3
	ds_bpermute_b32 v3, v4, v1
	v_cndmask_b32_e32 v4, v2, v81, vcc_lo
	v_cmp_lt_i32_e32 vcc_lo, v82, v60
	v_lshlrev_b32_e32 v4, 2, v4
	v_cndmask_b32_e32 v2, v2, v82, vcc_lo
	s_and_b32 vcc_lo, exec_lo, s1
	v_lshlrev_b32_e32 v2, 2, v2
	s_waitcnt lgkmcnt(0)
	v_add_f32_e32 v1, v1, v3
	ds_bpermute_b32 v3, v4, v1
	s_waitcnt lgkmcnt(0)
	v_add_f32_e32 v1, v1, v3
	ds_bpermute_b32 v2, v2, v1
	s_waitcnt lgkmcnt(0)
	v_add_f32_e32 v55, v1, v2
	s_cbranch_vccz .LBB27_40
; %bb.39:
	v_add_nc_u32_e32 v1, s14, v56
	v_ashrrev_i32_e32 v2, 31, v1
	v_lshlrev_b64 v[1:2], 2, v[1:2]
	v_add_co_u32 v1, vcc_lo, s16, v1
	v_add_co_ci_u32_e64 v2, null, s17, v2, vcc_lo
	global_load_dword v1, v[1:2], off
	v_max_f32_e32 v2, v54, v54
	s_waitcnt vmcnt(0)
	v_max_f32_e32 v3, v1, v1
	v_max_f32_e32 v2, v2, v3
	v_sub_f32_e32 v3, v54, v2
	v_sub_f32_e32 v1, v1, v2
	v_mov_b32_e32 v54, v2
	v_mul_f32_e32 v4, 0x3fb8aa3b, v3
	v_mul_f32_e32 v5, 0x3fb8aa3b, v1
	v_cmp_ngt_f32_e32 vcc_lo, 0xc2ce8ed0, v3
	v_fma_f32 v6, 0x3fb8aa3b, v3, -v4
	v_rndne_f32_e32 v7, v4
	v_fma_f32 v8, 0x3fb8aa3b, v1, -v5
	v_rndne_f32_e32 v9, v5
	v_fmac_f32_e32 v6, 0x32a5705f, v3
	v_sub_f32_e32 v4, v4, v7
	v_fmac_f32_e32 v8, 0x32a5705f, v1
	v_sub_f32_e32 v5, v5, v9
	v_add_f32_e32 v4, v4, v6
	v_cvt_i32_f32_e32 v6, v7
	v_add_f32_e32 v5, v5, v8
	v_cvt_i32_f32_e32 v7, v9
	v_exp_f32_e32 v4, v4
	v_exp_f32_e32 v5, v5
	v_ldexp_f32 v4, v4, v6
	v_ldexp_f32 v5, v5, v7
	v_cndmask_b32_e32 v4, 0, v4, vcc_lo
	v_cmp_ngt_f32_e32 vcc_lo, 0xc2ce8ed0, v1
	v_cndmask_b32_e32 v5, 0, v5, vcc_lo
	v_cmp_nlt_f32_e32 vcc_lo, 0x42b17218, v3
	v_cndmask_b32_e32 v3, 0x7f800000, v4, vcc_lo
	v_cmp_nlt_f32_e32 vcc_lo, 0x42b17218, v1
	v_mov_b32_e32 v4, 0x10001
	v_cndmask_b32_e32 v1, 0x7f800000, v5, vcc_lo
	v_cvt_f16_f32_e32 v5, v3
	v_fmac_f32_e32 v1, v55, v3
	v_mul_u32_u24_sdwa v3, v5, v4 dst_sel:DWORD dst_unused:UNUSED_PAD src0_sel:WORD_0 src1_sel:DWORD
	v_mov_b32_e32 v55, v1
	v_pk_mul_f16 v61, v61, v3
	v_pk_mul_f16 v70, v70, v3
.LBB27_40:
	v_add_nc_u32_e32 v1, s15, v57
	s_mov_b32 s1, exec_lo
	v_cmpx_gt_i32_e64 s26, v1
	s_cbranch_execz .LBB27_45
; %bb.41:
	v_mad_u64_u32 v[1:2], null, s33, s26, v[1:2]
	s_load_dword s1, s[4:5], 0xd4
	v_mul_lo_u32 v1, v1, s27
	v_add3_u32 v1, s14, v56, v1
	s_waitcnt lgkmcnt(0)
	s_cmp_lg_u32 s1, 1
	v_mad_u64_u32 v[1:2], null, s1, v1, s[34:35]
	s_cselect_b32 s1, -1, 0
	s_and_saveexec_b32 s2, s0
	s_cbranch_execz .LBB27_43
; %bb.42:
	v_div_scale_f32 v2, null, v55, v55, 1.0
	v_div_scale_f32 v5, vcc_lo, 1.0, v55, 1.0
	v_cvt_f32_f16_sdwa v8, v70 dst_sel:DWORD dst_unused:UNUSED_PAD src0_sel:WORD_1
	v_rcp_f32_e32 v3, v2
	v_cvt_f32_f16_sdwa v10, v61 dst_sel:DWORD dst_unused:UNUSED_PAD src0_sel:WORD_1
	v_cvt_f32_f16_e32 v11, v61
	v_fma_f32 v4, -v2, v3, 1.0
	v_fmac_f32_e32 v3, v4, v3
	v_mul_f32_e32 v4, v5, v3
	v_fma_f32 v6, -v2, v4, v5
	v_fmac_f32_e32 v4, v6, v3
	v_fma_f32 v2, -v2, v4, v5
	v_div_fmas_f32 v2, v2, v3, v4
	v_mul_lo_u32 v4, 0x70, v1
	v_mov_b32_e32 v3, 0
	v_div_fixup_f32 v5, v2, v55, 1.0
	v_lshl_add_u32 v2, v0, 2, v4
	v_cndmask_b32_e64 v9, v5, 1.0, s1
	v_cvt_f32_f16_e32 v4, v70
	v_lshlrev_b64 v[6:7], 2, v[2:3]
	v_mul_f32_e32 v5, v9, v8
	v_mul_f32_e32 v4, v9, v4
	;; [unrolled: 1-line block ×4, first 2 shown]
	v_add_co_u32 v6, vcc_lo, s20, v6
	v_add_co_ci_u32_e64 v7, null, s21, v7, vcc_lo
	global_store_dwordx4 v[6:7], v[2:5], off
.LBB27_43:
	s_or_b32 exec_lo, exec_lo, s2
	v_cmp_eq_u32_e32 vcc_lo, 0, v0
	s_and_b32 s0, vcc_lo, s1
	s_and_b32 exec_lo, exec_lo, s0
	s_cbranch_execz .LBB27_45
; %bb.44:
	v_ashrrev_i32_e32 v2, 31, v1
	v_lshlrev_b64 v[0:1], 3, v[1:2]
	v_add_co_u32 v0, vcc_lo, s22, v0
	v_add_co_ci_u32_e64 v1, null, s23, v1, vcc_lo
	global_store_dwordx2 v[0:1], v[54:55], off
.LBB27_45:
	s_endpgm
	.section	.rodata,"a",@progbits
	.p2align	6, 0x0
	.amdhsa_kernel _ZL15flash_attn_tileILi112ELi112ELi2ELi4ELb0EEvPKcS1_S1_S1_S1_PKiPfP15HIP_vector_typeIfLj2EEffffjfiS5_IjLj3EEiiiiiiiiiiiliiliiiiil
		.amdhsa_group_segment_fixed_size 6464
		.amdhsa_private_segment_fixed_size 0
		.amdhsa_kernarg_size 464
		.amdhsa_user_sgpr_count 6
		.amdhsa_user_sgpr_private_segment_buffer 1
		.amdhsa_user_sgpr_dispatch_ptr 0
		.amdhsa_user_sgpr_queue_ptr 0
		.amdhsa_user_sgpr_kernarg_segment_ptr 1
		.amdhsa_user_sgpr_dispatch_id 0
		.amdhsa_user_sgpr_flat_scratch_init 0
		.amdhsa_user_sgpr_private_segment_size 0
		.amdhsa_wavefront_size32 1
		.amdhsa_uses_dynamic_stack 0
		.amdhsa_system_sgpr_private_segment_wavefront_offset 0
		.amdhsa_system_sgpr_workgroup_id_x 1
		.amdhsa_system_sgpr_workgroup_id_y 1
		.amdhsa_system_sgpr_workgroup_id_z 1
		.amdhsa_system_sgpr_workgroup_info 0
		.amdhsa_system_vgpr_workitem_id 1
		.amdhsa_next_free_vgpr 90
		.amdhsa_next_free_sgpr 44
		.amdhsa_reserve_vcc 1
		.amdhsa_reserve_flat_scratch 0
		.amdhsa_float_round_mode_32 0
		.amdhsa_float_round_mode_16_64 0
		.amdhsa_float_denorm_mode_32 3
		.amdhsa_float_denorm_mode_16_64 3
		.amdhsa_dx10_clamp 1
		.amdhsa_ieee_mode 1
		.amdhsa_fp16_overflow 0
		.amdhsa_workgroup_processor_mode 1
		.amdhsa_memory_ordered 1
		.amdhsa_forward_progress 1
		.amdhsa_shared_vgpr_count 0
		.amdhsa_exception_fp_ieee_invalid_op 0
		.amdhsa_exception_fp_denorm_src 0
		.amdhsa_exception_fp_ieee_div_zero 0
		.amdhsa_exception_fp_ieee_overflow 0
		.amdhsa_exception_fp_ieee_underflow 0
		.amdhsa_exception_fp_ieee_inexact 0
		.amdhsa_exception_int_div_zero 0
	.end_amdhsa_kernel
	.section	.text._ZL15flash_attn_tileILi112ELi112ELi2ELi4ELb0EEvPKcS1_S1_S1_S1_PKiPfP15HIP_vector_typeIfLj2EEffffjfiS5_IjLj3EEiiiiiiiiiiiliiliiiiil,"axG",@progbits,_ZL15flash_attn_tileILi112ELi112ELi2ELi4ELb0EEvPKcS1_S1_S1_S1_PKiPfP15HIP_vector_typeIfLj2EEffffjfiS5_IjLj3EEiiiiiiiiiiiliiliiiiil,comdat
.Lfunc_end27:
	.size	_ZL15flash_attn_tileILi112ELi112ELi2ELi4ELb0EEvPKcS1_S1_S1_S1_PKiPfP15HIP_vector_typeIfLj2EEffffjfiS5_IjLj3EEiiiiiiiiiiiliiliiiiil, .Lfunc_end27-_ZL15flash_attn_tileILi112ELi112ELi2ELi4ELb0EEvPKcS1_S1_S1_S1_PKiPfP15HIP_vector_typeIfLj2EEffffjfiS5_IjLj3EEiiiiiiiiiiiliiliiiiil
                                        ; -- End function
	.set _ZL15flash_attn_tileILi112ELi112ELi2ELi4ELb0EEvPKcS1_S1_S1_S1_PKiPfP15HIP_vector_typeIfLj2EEffffjfiS5_IjLj3EEiiiiiiiiiiiliiliiiiil.num_vgpr, 90
	.set _ZL15flash_attn_tileILi112ELi112ELi2ELi4ELb0EEvPKcS1_S1_S1_S1_PKiPfP15HIP_vector_typeIfLj2EEffffjfiS5_IjLj3EEiiiiiiiiiiiliiliiiiil.num_agpr, 0
	.set _ZL15flash_attn_tileILi112ELi112ELi2ELi4ELb0EEvPKcS1_S1_S1_S1_PKiPfP15HIP_vector_typeIfLj2EEffffjfiS5_IjLj3EEiiiiiiiiiiiliiliiiiil.numbered_sgpr, 44
	.set _ZL15flash_attn_tileILi112ELi112ELi2ELi4ELb0EEvPKcS1_S1_S1_S1_PKiPfP15HIP_vector_typeIfLj2EEffffjfiS5_IjLj3EEiiiiiiiiiiiliiliiiiil.num_named_barrier, 0
	.set _ZL15flash_attn_tileILi112ELi112ELi2ELi4ELb0EEvPKcS1_S1_S1_S1_PKiPfP15HIP_vector_typeIfLj2EEffffjfiS5_IjLj3EEiiiiiiiiiiiliiliiiiil.private_seg_size, 0
	.set _ZL15flash_attn_tileILi112ELi112ELi2ELi4ELb0EEvPKcS1_S1_S1_S1_PKiPfP15HIP_vector_typeIfLj2EEffffjfiS5_IjLj3EEiiiiiiiiiiiliiliiiiil.uses_vcc, 1
	.set _ZL15flash_attn_tileILi112ELi112ELi2ELi4ELb0EEvPKcS1_S1_S1_S1_PKiPfP15HIP_vector_typeIfLj2EEffffjfiS5_IjLj3EEiiiiiiiiiiiliiliiiiil.uses_flat_scratch, 0
	.set _ZL15flash_attn_tileILi112ELi112ELi2ELi4ELb0EEvPKcS1_S1_S1_S1_PKiPfP15HIP_vector_typeIfLj2EEffffjfiS5_IjLj3EEiiiiiiiiiiiliiliiiiil.has_dyn_sized_stack, 0
	.set _ZL15flash_attn_tileILi112ELi112ELi2ELi4ELb0EEvPKcS1_S1_S1_S1_PKiPfP15HIP_vector_typeIfLj2EEffffjfiS5_IjLj3EEiiiiiiiiiiiliiliiiiil.has_recursion, 0
	.set _ZL15flash_attn_tileILi112ELi112ELi2ELi4ELb0EEvPKcS1_S1_S1_S1_PKiPfP15HIP_vector_typeIfLj2EEffffjfiS5_IjLj3EEiiiiiiiiiiiliiliiiiil.has_indirect_call, 0
	.section	.AMDGPU.csdata,"",@progbits
; Kernel info:
; codeLenInByte = 6392
; TotalNumSgprs: 46
; NumVgprs: 90
; ScratchSize: 0
; MemoryBound: 0
; FloatMode: 240
; IeeeMode: 1
; LDSByteSize: 6464 bytes/workgroup (compile time only)
; SGPRBlocks: 0
; VGPRBlocks: 11
; NumSGPRsForWavesPerEU: 46
; NumVGPRsForWavesPerEU: 90
; Occupancy: 10
; WaveLimiterHint : 1
; COMPUTE_PGM_RSRC2:SCRATCH_EN: 0
; COMPUTE_PGM_RSRC2:USER_SGPR: 6
; COMPUTE_PGM_RSRC2:TRAP_HANDLER: 0
; COMPUTE_PGM_RSRC2:TGID_X_EN: 1
; COMPUTE_PGM_RSRC2:TGID_Y_EN: 1
; COMPUTE_PGM_RSRC2:TGID_Z_EN: 1
; COMPUTE_PGM_RSRC2:TIDIG_COMP_CNT: 1
	.section	.text._ZL33flash_attn_stream_k_fixup_uniformILi112ELi2ELi4EEvPfPK15HIP_vector_typeIfLj2EEiiiiiiS1_IjLj3EES5_S5_,"axG",@progbits,_ZL33flash_attn_stream_k_fixup_uniformILi112ELi2ELi4EEvPfPK15HIP_vector_typeIfLj2EEiiiiiiS1_IjLj3EES5_S5_,comdat
	.globl	_ZL33flash_attn_stream_k_fixup_uniformILi112ELi2ELi4EEvPfPK15HIP_vector_typeIfLj2EEiiiiiiS1_IjLj3EES5_S5_ ; -- Begin function _ZL33flash_attn_stream_k_fixup_uniformILi112ELi2ELi4EEvPfPK15HIP_vector_typeIfLj2EEiiiiiiS1_IjLj3EES5_S5_
	.p2align	8
	.type	_ZL33flash_attn_stream_k_fixup_uniformILi112ELi2ELi4EEvPfPK15HIP_vector_typeIfLj2EEiiiiiiS1_IjLj3EES5_S5_,@function
_ZL33flash_attn_stream_k_fixup_uniformILi112ELi2ELi4EEvPfPK15HIP_vector_typeIfLj2EEiiiiiiS1_IjLj3EES5_S5_: ; @_ZL33flash_attn_stream_k_fixup_uniformILi112ELi2ELi4EEvPfPK15HIP_vector_typeIfLj2EEiiiiiiS1_IjLj3EES5_S5_
; %bb.0:
	s_clause 0x2
	s_load_dwordx8 s[12:19], s[4:5], 0x1c
	s_load_dwordx4 s[20:23], s[4:5], 0x3c
	s_load_dwordx2 s[10:11], s[4:5], 0x10
	s_waitcnt lgkmcnt(0)
	s_mul_hi_u32 s0, s15, s6
	s_add_i32 s0, s6, s0
	s_lshr_b32 s0, s0, s16
	s_mul_i32 s1, s0, s17
	s_sub_i32 s1, s6, s1
	s_mul_hi_u32 s2, s1, s18
	s_add_i32 s2, s1, s2
	s_lshr_b32 s9, s2, s19
	s_mul_i32 s2, s9, s20
	s_sub_i32 s1, s1, s2
	s_mul_hi_u32 s2, s1, s21
	s_add_i32 s2, s1, s2
	s_lshr_b32 s2, s2, s22
	s_mul_i32 s3, s2, s23
	s_lshl_b32 s16, s2, 2
	s_sub_i32 s15, s1, s3
	s_lshl_b32 s1, s15, 1
	s_add_i32 s1, s1, s7
	s_cmp_lt_i32 s1, s10
	s_cselect_b32 s1, -1, 0
	s_add_i32 s16, s16, s8
	s_cmp_lt_i32 s16, s13
	s_cselect_b32 s2, -1, 0
	s_and_b32 s1, s1, s2
	s_andn2_b32 vcc_lo, exec_lo, s1
	s_cbranch_vccnz .LBB28_6
; %bb.1:
	s_mul_i32 s10, s0, s10
	s_load_dwordx4 s[0:3], s[4:5], 0x0
	s_add_i32 s4, s10, s7
	s_mul_i32 s9, s9, s13
	s_mul_i32 s4, s4, s11
	s_add_i32 s5, s16, s9
	s_mul_i32 s9, s11, s15
	s_add_i32 s4, s5, s4
	s_mulk_i32 s9, 0xe0
	s_mulk_i32 s4, 0x70
	s_lshl_b32 s10, s7, 2
	v_add3_u32 v1, s4, s9, v0
	s_mul_i32 s4, s14, s6
	s_add_i32 s11, s4, s14
	v_ashrrev_i32_e32 v2, 31, v1
	v_lshlrev_b64 v[1:2], 2, v[1:2]
	s_waitcnt lgkmcnt(0)
	v_add_co_u32 v1, vcc_lo, s0, v1
	v_add_co_ci_u32_e64 v2, null, s1, v2, vcc_lo
	s_add_i32 s0, s10, s8
	s_lshl_b32 s1, s11, 3
	global_load_dword v5, v[1:2], off
	s_add_i32 s0, s0, s1
	s_add_i32 s0, s0, -8
	s_ashr_i32 s1, s0, 31
	s_lshl_b64 s[0:1], s[0:1], 3
	s_add_u32 s0, s2, s0
	s_addc_u32 s1, s3, s1
	s_add_i32 s5, s11, -2
	s_load_dword s13, s[0:1], 0x4
	s_cmp_lt_i32 s5, s4
	s_cbranch_scc1 .LBB28_4
; %bb.2:
	s_load_dword s15, s[0:1], 0x0
	s_lshl_b32 s16, s12, 5
	s_mulk_i32 s7, 0x1c0
	s_ashr_i32 s17, s16, 31
	s_waitcnt lgkmcnt(0)
	v_mov_b32_e32 v6, s13
	s_lshl_b64 s[0:1], s[16:17], 2
	s_add_u32 s5, s2, s0
	s_addc_u32 s9, s3, s1
	s_add_i32 s6, s6, 1
	s_mul_i32 s0, s14, s6
	s_mul_i32 s6, s8, 0x70
	s_lshl_b32 s1, s0, 3
	s_mulk_i32 s0, 0x380
	s_add_i32 s6, s6, s7
	s_add_i32 s1, s8, s1
	s_lshl_b32 s7, s12, 3
	s_add_i32 s6, s6, s0
	s_add_i32 s0, s1, s7
	v_add3_u32 v3, s6, v0, 0xfffff900
	v_mov_b32_e32 v0, s15
	s_add_i32 s0, s0, s10
	s_add_i32 s6, s11, -1
	s_add_i32 s0, s0, -16
.LBB28_3:                               ; =>This Inner Loop Header: Depth=1
	v_ashrrev_i32_e32 v4, 31, v3
	s_ashr_i32 s1, s0, 31
	s_lshl_b64 s[10:11], s[0:1], 3
	s_add_u32 s10, s2, s10
	v_lshlrev_b64 v[7:8], 2, v[3:4]
	s_addc_u32 s11, s3, s11
	v_add_nc_u32_e32 v3, 0xfffffc80, v3
	s_add_i32 s6, s6, -1
	s_add_i32 s0, s0, -8
	s_cmp_le_i32 s6, s4
	v_add_co_u32 v7, vcc_lo, s5, v7
	v_add_co_ci_u32_e64 v8, null, s9, v8, vcc_lo
	s_load_dwordx2 s[10:11], s[10:11], 0x0
	global_load_dword v4, v[7:8], off
	v_max_f32_e32 v7, v0, v0
	s_waitcnt lgkmcnt(0)
	v_max_f32_e64 v8, s10, s10
	v_max_f32_e32 v7, v7, v8
	v_sub_f32_e32 v8, s10, v7
	v_sub_f32_e32 v0, v0, v7
	v_mul_f32_e32 v9, 0x3fb8aa3b, v8
	v_mul_f32_e32 v12, 0x3fb8aa3b, v0
	v_cmp_ngt_f32_e32 vcc_lo, 0xc2ce8ed0, v8
	v_fma_f32 v10, 0x3fb8aa3b, v8, -v9
	v_rndne_f32_e32 v11, v9
	v_fma_f32 v13, 0x3fb8aa3b, v0, -v12
	v_rndne_f32_e32 v14, v12
	v_fmac_f32_e32 v10, 0x32a5705f, v8
	v_sub_f32_e32 v9, v9, v11
	v_fmac_f32_e32 v13, 0x32a5705f, v0
	v_cvt_i32_f32_e32 v11, v11
	v_add_f32_e32 v9, v9, v10
	v_sub_f32_e32 v10, v12, v14
	v_exp_f32_e32 v9, v9
	v_add_f32_e32 v10, v10, v13
	v_exp_f32_e32 v10, v10
	v_ldexp_f32 v9, v9, v11
	v_cvt_i32_f32_e32 v11, v14
	v_cndmask_b32_e32 v9, 0, v9, vcc_lo
	v_cmp_nlt_f32_e32 vcc_lo, 0x42b17218, v8
	v_ldexp_f32 v10, v10, v11
	v_mov_b32_e32 v11, v6
	v_cndmask_b32_e32 v9, 0x7f800000, v9, vcc_lo
	v_cmp_ngt_f32_e32 vcc_lo, 0xc2ce8ed0, v0
	v_cndmask_b32_e32 v10, 0, v10, vcc_lo
	v_cmp_le_f32_e32 vcc_lo, 0xc1a00000, v8
	v_cndmask_b32_e32 v8, 0, v9, vcc_lo
	v_cmp_nlt_f32_e32 vcc_lo, 0x42b17218, v0
	s_waitcnt vmcnt(1)
	v_mov_b32_e32 v9, v5
	v_cndmask_b32_e32 v5, 0x7f800000, v10, vcc_lo
	v_mul_f32_e32 v10, s11, v8
	v_cmp_le_f32_e32 vcc_lo, 0xc1a00000, v0
	v_mov_b32_e32 v0, v7
	v_mov_b32_e32 v6, v10
	v_cndmask_b32_e32 v12, 0, v5, vcc_lo
	v_fmac_f32_e32 v6, v11, v12
	s_waitcnt vmcnt(0)
	v_mul_f32_e32 v5, v4, v8
	v_fmac_f32_e32 v5, v9, v12
	s_cbranch_scc0 .LBB28_3
	s_branch .LBB28_5
.LBB28_4:
	s_waitcnt lgkmcnt(0)
	v_mov_b32_e32 v6, s13
.LBB28_5:
	s_waitcnt vmcnt(0)
	v_div_scale_f32 v0, null, v6, v6, v5
	v_rcp_f32_e32 v3, v0
	v_fma_f32 v4, -v0, v3, 1.0
	v_fmac_f32_e32 v3, v4, v3
	v_div_scale_f32 v4, vcc_lo, v5, v6, v5
	v_mul_f32_e32 v7, v4, v3
	v_fma_f32 v8, -v0, v7, v4
	v_fmac_f32_e32 v7, v8, v3
	v_fma_f32 v0, -v0, v7, v4
	v_div_fmas_f32 v0, v0, v3, v7
	v_div_fixup_f32 v0, v0, v6, v5
	global_store_dword v[1:2], v0, off
.LBB28_6:
	s_endpgm
	.section	.rodata,"a",@progbits
	.p2align	6, 0x0
	.amdhsa_kernel _ZL33flash_attn_stream_k_fixup_uniformILi112ELi2ELi4EEvPfPK15HIP_vector_typeIfLj2EEiiiiiiS1_IjLj3EES5_S5_
		.amdhsa_group_segment_fixed_size 0
		.amdhsa_private_segment_fixed_size 0
		.amdhsa_kernarg_size 76
		.amdhsa_user_sgpr_count 6
		.amdhsa_user_sgpr_private_segment_buffer 1
		.amdhsa_user_sgpr_dispatch_ptr 0
		.amdhsa_user_sgpr_queue_ptr 0
		.amdhsa_user_sgpr_kernarg_segment_ptr 1
		.amdhsa_user_sgpr_dispatch_id 0
		.amdhsa_user_sgpr_flat_scratch_init 0
		.amdhsa_user_sgpr_private_segment_size 0
		.amdhsa_wavefront_size32 1
		.amdhsa_uses_dynamic_stack 0
		.amdhsa_system_sgpr_private_segment_wavefront_offset 0
		.amdhsa_system_sgpr_workgroup_id_x 1
		.amdhsa_system_sgpr_workgroup_id_y 1
		.amdhsa_system_sgpr_workgroup_id_z 1
		.amdhsa_system_sgpr_workgroup_info 0
		.amdhsa_system_vgpr_workitem_id 0
		.amdhsa_next_free_vgpr 15
		.amdhsa_next_free_sgpr 24
		.amdhsa_reserve_vcc 1
		.amdhsa_reserve_flat_scratch 0
		.amdhsa_float_round_mode_32 0
		.amdhsa_float_round_mode_16_64 0
		.amdhsa_float_denorm_mode_32 3
		.amdhsa_float_denorm_mode_16_64 3
		.amdhsa_dx10_clamp 1
		.amdhsa_ieee_mode 1
		.amdhsa_fp16_overflow 0
		.amdhsa_workgroup_processor_mode 1
		.amdhsa_memory_ordered 1
		.amdhsa_forward_progress 1
		.amdhsa_shared_vgpr_count 0
		.amdhsa_exception_fp_ieee_invalid_op 0
		.amdhsa_exception_fp_denorm_src 0
		.amdhsa_exception_fp_ieee_div_zero 0
		.amdhsa_exception_fp_ieee_overflow 0
		.amdhsa_exception_fp_ieee_underflow 0
		.amdhsa_exception_fp_ieee_inexact 0
		.amdhsa_exception_int_div_zero 0
	.end_amdhsa_kernel
	.section	.text._ZL33flash_attn_stream_k_fixup_uniformILi112ELi2ELi4EEvPfPK15HIP_vector_typeIfLj2EEiiiiiiS1_IjLj3EES5_S5_,"axG",@progbits,_ZL33flash_attn_stream_k_fixup_uniformILi112ELi2ELi4EEvPfPK15HIP_vector_typeIfLj2EEiiiiiiS1_IjLj3EES5_S5_,comdat
.Lfunc_end28:
	.size	_ZL33flash_attn_stream_k_fixup_uniformILi112ELi2ELi4EEvPfPK15HIP_vector_typeIfLj2EEiiiiiiS1_IjLj3EES5_S5_, .Lfunc_end28-_ZL33flash_attn_stream_k_fixup_uniformILi112ELi2ELi4EEvPfPK15HIP_vector_typeIfLj2EEiiiiiiS1_IjLj3EES5_S5_
                                        ; -- End function
	.set _ZL33flash_attn_stream_k_fixup_uniformILi112ELi2ELi4EEvPfPK15HIP_vector_typeIfLj2EEiiiiiiS1_IjLj3EES5_S5_.num_vgpr, 15
	.set _ZL33flash_attn_stream_k_fixup_uniformILi112ELi2ELi4EEvPfPK15HIP_vector_typeIfLj2EEiiiiiiS1_IjLj3EES5_S5_.num_agpr, 0
	.set _ZL33flash_attn_stream_k_fixup_uniformILi112ELi2ELi4EEvPfPK15HIP_vector_typeIfLj2EEiiiiiiS1_IjLj3EES5_S5_.numbered_sgpr, 24
	.set _ZL33flash_attn_stream_k_fixup_uniformILi112ELi2ELi4EEvPfPK15HIP_vector_typeIfLj2EEiiiiiiS1_IjLj3EES5_S5_.num_named_barrier, 0
	.set _ZL33flash_attn_stream_k_fixup_uniformILi112ELi2ELi4EEvPfPK15HIP_vector_typeIfLj2EEiiiiiiS1_IjLj3EES5_S5_.private_seg_size, 0
	.set _ZL33flash_attn_stream_k_fixup_uniformILi112ELi2ELi4EEvPfPK15HIP_vector_typeIfLj2EEiiiiiiS1_IjLj3EES5_S5_.uses_vcc, 1
	.set _ZL33flash_attn_stream_k_fixup_uniformILi112ELi2ELi4EEvPfPK15HIP_vector_typeIfLj2EEiiiiiiS1_IjLj3EES5_S5_.uses_flat_scratch, 0
	.set _ZL33flash_attn_stream_k_fixup_uniformILi112ELi2ELi4EEvPfPK15HIP_vector_typeIfLj2EEiiiiiiS1_IjLj3EES5_S5_.has_dyn_sized_stack, 0
	.set _ZL33flash_attn_stream_k_fixup_uniformILi112ELi2ELi4EEvPfPK15HIP_vector_typeIfLj2EEiiiiiiS1_IjLj3EES5_S5_.has_recursion, 0
	.set _ZL33flash_attn_stream_k_fixup_uniformILi112ELi2ELi4EEvPfPK15HIP_vector_typeIfLj2EEiiiiiiS1_IjLj3EES5_S5_.has_indirect_call, 0
	.section	.AMDGPU.csdata,"",@progbits
; Kernel info:
; codeLenInByte = 848
; TotalNumSgprs: 26
; NumVgprs: 15
; ScratchSize: 0
; MemoryBound: 0
; FloatMode: 240
; IeeeMode: 1
; LDSByteSize: 0 bytes/workgroup (compile time only)
; SGPRBlocks: 0
; VGPRBlocks: 1
; NumSGPRsForWavesPerEU: 26
; NumVGPRsForWavesPerEU: 15
; Occupancy: 16
; WaveLimiterHint : 0
; COMPUTE_PGM_RSRC2:SCRATCH_EN: 0
; COMPUTE_PGM_RSRC2:USER_SGPR: 6
; COMPUTE_PGM_RSRC2:TRAP_HANDLER: 0
; COMPUTE_PGM_RSRC2:TGID_X_EN: 1
; COMPUTE_PGM_RSRC2:TGID_Y_EN: 1
; COMPUTE_PGM_RSRC2:TGID_Z_EN: 1
; COMPUTE_PGM_RSRC2:TIDIG_COMP_CNT: 0
	.section	.text._ZL33flash_attn_stream_k_fixup_generalILi112ELi2ELi4EEvPfPK15HIP_vector_typeIfLj2EEiiiiS1_IjLj3EES5_S5_S5_,"axG",@progbits,_ZL33flash_attn_stream_k_fixup_generalILi112ELi2ELi4EEvPfPK15HIP_vector_typeIfLj2EEiiiiS1_IjLj3EES5_S5_S5_,comdat
	.globl	_ZL33flash_attn_stream_k_fixup_generalILi112ELi2ELi4EEvPfPK15HIP_vector_typeIfLj2EEiiiiS1_IjLj3EES5_S5_S5_ ; -- Begin function _ZL33flash_attn_stream_k_fixup_generalILi112ELi2ELi4EEvPfPK15HIP_vector_typeIfLj2EEiiiiS1_IjLj3EES5_S5_S5_
	.p2align	8
	.type	_ZL33flash_attn_stream_k_fixup_generalILi112ELi2ELi4EEvPfPK15HIP_vector_typeIfLj2EEiiiiS1_IjLj3EES5_S5_S5_,@function
_ZL33flash_attn_stream_k_fixup_generalILi112ELi2ELi4EEvPfPK15HIP_vector_typeIfLj2EEiiiiS1_IjLj3EES5_S5_S5_: ; @_ZL33flash_attn_stream_k_fixup_generalILi112ELi2ELi4EEvPfPK15HIP_vector_typeIfLj2EEiiiiS1_IjLj3EES5_S5_S5_
; %bb.0:
	s_clause 0x1
	s_load_dwordx4 s[0:3], s[4:5], 0x10
	s_load_dword s9, s[4:5], 0x50
	s_mov_b32 s16, 0
	s_waitcnt lgkmcnt(0)
	s_mul_hi_i32 s17, s3, s6
	s_mul_i32 s18, s3, s6
	s_cmp_lg_u64 s[16:17], 0
	s_cbranch_scc0 .LBB29_21
; %bb.1:
	s_add_u32 s10, s9, 0
	s_addc_u32 s11, 0, 0
	s_xor_b64 s[10:11], s[10:11], 0
	v_cvt_f32_u32_e32 v1, s10
	v_cvt_f32_u32_e32 v2, s11
	s_sub_u32 s14, 0, s10
	s_subb_u32 s15, 0, s11
	v_fmamk_f32 v1, v2, 0x4f800000, v1
	v_rcp_f32_e32 v1, v1
	v_mul_f32_e32 v1, 0x5f7ffffc, v1
	v_mul_f32_e32 v2, 0x2f800000, v1
	v_trunc_f32_e32 v2, v2
	v_fmamk_f32 v1, v2, 0xcf800000, v1
	v_cvt_u32_f32_e32 v2, v2
	v_cvt_u32_f32_e32 v1, v1
	v_readfirstlane_b32 s12, v2
	v_readfirstlane_b32 s13, v1
	s_mul_i32 s19, s14, s12
	s_mul_hi_u32 s21, s14, s13
	s_mul_i32 s20, s15, s13
	s_add_i32 s19, s21, s19
	s_mul_i32 s22, s14, s13
	s_add_i32 s19, s19, s20
	s_mul_hi_u32 s21, s13, s22
	s_mul_i32 s24, s13, s19
	s_mul_hi_u32 s23, s12, s22
	s_mul_i32 s20, s12, s22
	s_mul_hi_u32 s22, s13, s19
	s_add_u32 s21, s21, s24
	s_addc_u32 s22, 0, s22
	s_mul_hi_u32 s25, s12, s19
	s_add_u32 s20, s21, s20
	s_mul_i32 s19, s12, s19
	s_addc_u32 s20, s22, s23
	s_addc_u32 s21, s25, 0
	s_add_u32 s19, s20, s19
	s_addc_u32 s20, 0, s21
	s_add_u32 s13, s13, s19
	s_cselect_b32 s19, -1, 0
	s_mul_hi_u32 s21, s14, s13
	s_cmp_lg_u32 s19, 0
	s_mul_i32 s19, s14, s13
	s_addc_u32 s12, s12, s20
	s_mul_i32 s15, s15, s13
	s_mul_i32 s14, s14, s12
	s_mul_hi_u32 s20, s13, s19
	s_add_i32 s14, s21, s14
	s_mul_hi_u32 s21, s12, s19
	s_add_i32 s14, s14, s15
	s_mul_i32 s15, s12, s19
	s_mul_i32 s23, s13, s14
	s_mul_hi_u32 s22, s13, s14
	s_add_u32 s20, s20, s23
	s_addc_u32 s22, 0, s22
	s_mul_hi_u32 s19, s12, s14
	s_add_u32 s15, s20, s15
	s_mul_i32 s14, s12, s14
	s_addc_u32 s15, s22, s21
	s_addc_u32 s19, s19, 0
	s_add_u32 s14, s15, s14
	s_addc_u32 s15, 0, s19
	s_add_u32 s19, s13, s14
	s_cselect_b32 s13, -1, 0
	s_cmp_lg_u32 s13, 0
	s_addc_u32 s20, s12, s15
	s_ashr_i32 s12, s17, 31
	s_add_u32 s14, s18, s12
	s_mov_b32 s13, s12
	s_addc_u32 s15, s17, s12
	s_xor_b64 s[14:15], s[14:15], s[12:13]
	s_mul_i32 s21, s14, s20
	s_mul_hi_u32 s22, s14, s19
	s_mul_hi_u32 s17, s14, s20
	;; [unrolled: 1-line block ×3, first 2 shown]
	s_mul_i32 s19, s15, s19
	s_add_u32 s21, s22, s21
	s_addc_u32 s17, 0, s17
	s_mul_hi_u32 s23, s15, s20
	s_add_u32 s19, s21, s19
	s_mul_i32 s20, s15, s20
	s_addc_u32 s17, s17, s24
	s_addc_u32 s19, s23, 0
	s_add_u32 s17, s17, s20
	s_addc_u32 s19, 0, s19
	s_mul_hi_u32 s20, s10, s17
	s_mul_i32 s21, s10, s19
	s_mul_i32 s22, s11, s17
	s_add_i32 s20, s20, s21
	s_mul_i32 s21, s10, s17
	s_add_i32 s20, s20, s22
	s_sub_i32 s22, s15, s20
	s_sub_u32 s14, s14, s21
	s_cselect_b32 s21, -1, 0
	s_cmp_lg_u32 s21, 0
	s_subb_u32 s22, s22, s11
	s_sub_u32 s23, s14, s10
	s_cselect_b32 s24, -1, 0
	s_cmp_lg_u32 s24, 0
	s_subb_u32 s22, s22, 0
	s_cmp_ge_u32 s22, s11
	s_cselect_b32 s24, -1, 0
	s_cmp_ge_u32 s23, s10
	s_cselect_b32 s23, -1, 0
	s_cmp_eq_u32 s22, s11
	s_cselect_b32 s22, s23, s24
	s_add_u32 s23, s17, 1
	s_addc_u32 s24, s19, 0
	s_add_u32 s25, s17, 2
	s_addc_u32 s26, s19, 0
	s_cmp_lg_u32 s22, 0
	s_cselect_b32 s22, s25, s23
	s_cselect_b32 s23, s26, s24
	s_cmp_lg_u32 s21, 0
	s_subb_u32 s15, s15, s20
	s_cmp_ge_u32 s15, s11
	s_cselect_b32 s20, -1, 0
	s_cmp_ge_u32 s14, s10
	s_cselect_b32 s10, -1, 0
	s_cmp_eq_u32 s15, s11
	s_cselect_b32 s10, s10, s20
	s_cmp_lg_u32 s10, 0
	s_cselect_b32 s11, s23, s19
	s_cselect_b32 s10, s22, s17
	s_xor_b64 s[12:13], s[12:13], 0
	s_xor_b64 s[10:11], s[10:11], s[12:13]
	s_sub_u32 s10, s10, s12
	s_load_dwordx4 s[12:15], s[4:5], 0x44
	s_andn2_b32 vcc_lo, exec_lo, s16
	s_cbranch_vccnz .LBB29_3
.LBB29_2:
	v_cvt_f32_u32_e32 v1, s9
	s_sub_i32 s11, 0, s9
	v_rcp_iflag_f32_e32 v1, v1
	v_mul_f32_e32 v1, 0x4f7ffffe, v1
	v_cvt_u32_f32_e32 v1, v1
	v_readfirstlane_b32 s10, v1
	s_mul_i32 s11, s11, s10
	s_mul_hi_u32 s11, s10, s11
	s_add_i32 s10, s10, s11
	s_mul_hi_u32 s10, s18, s10
	s_mul_i32 s11, s10, s9
	s_waitcnt lgkmcnt(0)
	s_add_i32 s15, s10, 1
	s_sub_i32 s11, s18, s11
	s_sub_i32 s16, s11, s9
	s_cmp_ge_u32 s11, s9
	s_cselect_b32 s10, s15, s10
	s_cselect_b32 s11, s16, s11
	s_add_i32 s15, s10, 1
	s_cmp_ge_u32 s11, s9
	s_cselect_b32 s10, s15, s10
.LBB29_3:
	s_add_i32 s11, s6, 1
	s_mov_b32 s16, 0
	s_mul_hi_i32 s17, s3, s11
	s_mul_i32 s11, s3, s11
	s_cmp_lg_u64 s[16:17], 0
	s_cbranch_scc0 .LBB29_22
; %bb.4:
	s_add_u32 s18, s9, 0
	s_addc_u32 s19, 0, 0
	s_xor_b64 s[18:19], s[18:19], 0
	v_cvt_f32_u32_e32 v1, s18
	v_cvt_f32_u32_e32 v2, s19
	s_sub_u32 s21, 0, s18
	s_subb_u32 s22, 0, s19
	v_fmamk_f32 v1, v2, 0x4f800000, v1
	v_rcp_f32_e32 v1, v1
	v_mul_f32_e32 v1, 0x5f7ffffc, v1
	v_mul_f32_e32 v2, 0x2f800000, v1
	v_trunc_f32_e32 v2, v2
	v_fmamk_f32 v1, v2, 0xcf800000, v1
	v_cvt_u32_f32_e32 v2, v2
	v_cvt_u32_f32_e32 v1, v1
	s_waitcnt lgkmcnt(0)
	v_readfirstlane_b32 s15, v2
	v_readfirstlane_b32 s20, v1
	s_mul_i32 s23, s21, s15
	s_mul_hi_u32 s25, s21, s20
	s_mul_i32 s24, s22, s20
	s_add_i32 s23, s25, s23
	s_mul_i32 s26, s21, s20
	s_add_i32 s23, s23, s24
	s_mul_hi_u32 s25, s20, s26
	s_mul_i32 s28, s20, s23
	s_mul_hi_u32 s27, s15, s26
	s_mul_i32 s24, s15, s26
	s_mul_hi_u32 s26, s20, s23
	s_add_u32 s25, s25, s28
	s_addc_u32 s26, 0, s26
	s_mul_hi_u32 s29, s15, s23
	s_add_u32 s24, s25, s24
	s_mul_i32 s23, s15, s23
	s_addc_u32 s24, s26, s27
	s_addc_u32 s25, s29, 0
	s_add_u32 s23, s24, s23
	s_addc_u32 s24, 0, s25
	s_add_u32 s20, s20, s23
	s_cselect_b32 s23, -1, 0
	s_mul_hi_u32 s25, s21, s20
	s_cmp_lg_u32 s23, 0
	s_mul_i32 s23, s21, s20
	s_addc_u32 s15, s15, s24
	s_mul_i32 s22, s22, s20
	s_mul_i32 s21, s21, s15
	s_mul_hi_u32 s24, s20, s23
	s_add_i32 s21, s25, s21
	s_mul_hi_u32 s25, s15, s23
	s_add_i32 s21, s21, s22
	s_mul_i32 s22, s15, s23
	s_mul_i32 s27, s20, s21
	s_mul_hi_u32 s26, s20, s21
	s_add_u32 s24, s24, s27
	s_addc_u32 s26, 0, s26
	s_mul_hi_u32 s23, s15, s21
	s_add_u32 s22, s24, s22
	s_mul_i32 s21, s15, s21
	s_addc_u32 s22, s26, s25
	s_addc_u32 s23, s23, 0
	s_add_u32 s21, s22, s21
	s_addc_u32 s22, 0, s23
	s_add_u32 s24, s20, s21
	s_cselect_b32 s20, -1, 0
	s_cmp_lg_u32 s20, 0
	s_addc_u32 s15, s15, s22
	s_ashr_i32 s20, s17, 31
	s_add_u32 s22, s11, s20
	s_mov_b32 s21, s20
	s_addc_u32 s23, s17, s20
	s_xor_b64 s[22:23], s[22:23], s[20:21]
	s_mul_i32 s25, s22, s15
	s_mul_hi_u32 s26, s22, s24
	s_mul_hi_u32 s17, s22, s15
	;; [unrolled: 1-line block ×3, first 2 shown]
	s_mul_i32 s24, s23, s24
	s_add_u32 s25, s26, s25
	s_addc_u32 s17, 0, s17
	s_mul_hi_u32 s27, s23, s15
	s_add_u32 s24, s25, s24
	s_mul_i32 s15, s23, s15
	s_addc_u32 s17, s17, s28
	s_addc_u32 s24, s27, 0
	s_add_u32 s15, s17, s15
	s_addc_u32 s17, 0, s24
	s_mul_hi_u32 s24, s18, s15
	s_mul_i32 s25, s18, s17
	s_mul_i32 s26, s19, s15
	s_add_i32 s24, s24, s25
	s_mul_i32 s25, s18, s15
	s_add_i32 s24, s24, s26
	s_sub_i32 s26, s23, s24
	s_sub_u32 s22, s22, s25
	s_cselect_b32 s25, -1, 0
	s_cmp_lg_u32 s25, 0
	s_subb_u32 s26, s26, s19
	s_sub_u32 s27, s22, s18
	s_cselect_b32 s28, -1, 0
	s_cmp_lg_u32 s28, 0
	s_subb_u32 s26, s26, 0
	s_cmp_ge_u32 s26, s19
	s_cselect_b32 s28, -1, 0
	s_cmp_ge_u32 s27, s18
	s_cselect_b32 s27, -1, 0
	s_cmp_eq_u32 s26, s19
	s_cselect_b32 s26, s27, s28
	s_add_u32 s27, s15, 1
	s_addc_u32 s28, s17, 0
	s_add_u32 s29, s15, 2
	s_addc_u32 s30, s17, 0
	s_cmp_lg_u32 s26, 0
	s_cselect_b32 s26, s29, s27
	s_cselect_b32 s27, s30, s28
	s_cmp_lg_u32 s25, 0
	s_subb_u32 s23, s23, s24
	s_cmp_ge_u32 s23, s19
	s_cselect_b32 s24, -1, 0
	s_cmp_ge_u32 s22, s18
	s_cselect_b32 s18, -1, 0
	s_cmp_eq_u32 s23, s19
	s_cselect_b32 s18, s18, s24
	s_cmp_lg_u32 s18, 0
	s_cselect_b32 s19, s27, s17
	s_cselect_b32 s18, s26, s15
	s_xor_b64 s[20:21], s[20:21], 0
	s_xor_b64 s[18:19], s[18:19], s[20:21]
	s_sub_u32 s18, s18, s20
	s_andn2_b32 vcc_lo, exec_lo, s16
	s_cbranch_vccnz .LBB29_6
.LBB29_5:
	v_cvt_f32_u32_e32 v1, s9
	s_sub_i32 s16, 0, s9
	v_rcp_iflag_f32_e32 v1, v1
	v_mul_f32_e32 v1, 0x4f7ffffe, v1
	v_cvt_u32_f32_e32 v1, v1
	s_waitcnt lgkmcnt(0)
	v_readfirstlane_b32 s15, v1
	s_mul_i32 s16, s16, s15
	s_mul_hi_u32 s16, s15, s16
	s_add_i32 s15, s15, s16
	s_mul_hi_u32 s15, s11, s15
	s_mul_i32 s16, s15, s9
	s_sub_i32 s11, s11, s16
	s_add_i32 s16, s15, 1
	s_sub_i32 s17, s11, s9
	s_cmp_ge_u32 s11, s9
	s_cselect_b32 s15, s16, s15
	s_cselect_b32 s11, s17, s11
	s_add_i32 s16, s15, 1
	s_cmp_ge_u32 s11, s9
	s_cselect_b32 s18, s16, s15
.LBB29_6:
	s_cmp_eq_u32 s10, s18
	s_waitcnt lgkmcnt(0)
	s_mul_hi_u32 s11, s10, s12
	s_cselect_b32 s15, -1, 0
	s_add_i32 s11, s11, s10
	s_lshr_b32 s11, s11, s13
	s_mul_i32 s16, s11, s14
	s_cmp_eq_u32 s16, s10
	s_mul_hi_u32 s16, s18, s12
	s_cselect_b32 s17, -1, 0
	s_add_i32 s16, s16, s18
	s_lshr_b32 s16, s16, s13
	s_cmp_eq_u32 s11, s16
	s_mul_i32 s16, s16, s14
	s_cselect_b32 s19, -1, 0
	s_cmp_lg_u32 s16, s18
	s_cselect_b32 s16, -1, 0
	s_or_b32 s15, s15, s17
	s_and_b32 s16, s19, s16
	s_or_b32 s15, s15, s16
	s_and_b32 vcc_lo, exec_lo, s15
	s_cbranch_vccnz .LBB29_24
; %bb.7:
	s_clause 0x1
	s_load_dwordx8 s[20:27], s[4:5], 0x20
	s_load_dword s16, s[4:5], 0x40
	s_waitcnt lgkmcnt(0)
	s_mul_hi_u32 s15, s10, s20
	s_add_i32 s15, s15, s10
	s_lshr_b32 s15, s15, s21
	s_mul_i32 s17, s15, s22
	s_sub_i32 s17, s10, s17
	s_mul_hi_u32 s18, s17, s23
	s_add_i32 s18, s17, s18
	s_lshr_b32 s21, s18, s24
	s_mul_i32 s18, s21, s25
	s_sub_i32 s17, s17, s18
	s_mul_hi_u32 s18, s17, s26
	s_add_i32 s18, s17, s18
	s_lshr_b32 s18, s18, s27
	s_mul_i32 s16, s18, s16
	s_lshl_b32 s22, s18, 2
	s_sub_i32 s16, s17, s16
	s_mul_hi_u32 s17, s16, s12
	s_add_i32 s16, s16, s17
	s_lshr_b32 s20, s16, s13
	s_lshl_b32 s16, s20, 1
	s_add_i32 s16, s16, s7
	s_cmp_lt_i32 s16, s0
	s_cselect_b32 s16, -1, 0
	s_add_i32 s22, s22, s8
	s_cmp_lt_i32 s22, s2
	s_cselect_b32 s17, -1, 0
	s_and_b32 s16, s16, s17
	s_andn2_b32 vcc_lo, exec_lo, s16
	s_cbranch_vccnz .LBB29_24
; %bb.8:
	s_load_dwordx4 s[16:19], s[4:5], 0x0
	s_mov_b32 s4, 0
	s_lshl_b32 s24, s9, 5
	s_mov_b32 s25, s4
	s_lshl_b32 s5, s7, 2
	s_lshl_b64 s[24:25], s[24:25], 2
	s_mul_i32 s21, s21, s2
	s_mul_i32 s0, s15, s0
	s_add_i32 s2, s5, s8
	v_cvt_f32_u32_e32 v3, s9
	v_rcp_iflag_f32_e32 v3, v3
	s_waitcnt lgkmcnt(0)
	s_add_u32 s8, s18, s24
	s_addc_u32 s15, s19, s25
	s_add_i32 s0, s0, s7
	s_add_i32 s5, s22, s21
	s_mul_i32 s0, s0, s1
	s_mul_i32 s1, s1, s20
	s_add_i32 s0, s5, s0
	s_mulk_i32 s1, 0xe0
	s_mulk_i32 s0, 0x70
	v_mul_f32_e32 v7, 0x4f7ffffe, v3
	v_add3_u32 v1, s1, s0, v0
	s_lshl_b32 s0, s6, 3
	s_add_i32 s0, s2, s0
	v_ashrrev_i32_e32 v2, 31, v1
	s_ashr_i32 s1, s0, 31
	s_lshl_b64 s[0:1], s[0:1], 3
	v_lshlrev_b64 v[1:2], 2, v[1:2]
	s_add_u32 s0, s18, s0
	s_addc_u32 s1, s19, s1
	s_load_dwordx2 s[0:1], s[0:1], 0x0
	v_add_co_u32 v1, vcc_lo, s16, v1
	v_add_co_ci_u32_e64 v2, null, s17, v2, vcc_lo
	s_add_i32 s17, s6, -1
	v_mad_u64_u32 v[3:4], null, 0x70, s2, v[0:1]
	global_load_dword v5, v[1:2], off
	v_cvt_u32_f32_e32 v0, v7
	s_sub_i32 s16, 0, s9
	s_waitcnt lgkmcnt(0)
	v_mov_b32_e32 v4, s1
	v_mov_b32_e32 v6, s0
.LBB29_9:                               ; =>This Inner Loop Header: Depth=1
	s_mul_hi_i32 s5, s17, s3
	s_mul_i32 s6, s17, s3
	s_cmp_lg_u64 s[4:5], 0
	s_mov_b32 s7, -1
                                        ; implicit-def: $sgpr0_sgpr1
	s_cbranch_scc0 .LBB29_11
; %bb.10:                               ;   in Loop: Header=BB29_9 Depth=1
	s_add_u32 s0, s9, 0
	s_addc_u32 s1, 0, 0
	s_xor_b64 s[0:1], s[0:1], 0
	v_cvt_f32_u32_e32 v7, s0
	v_cvt_f32_u32_e32 v8, s1
	s_sub_u32 s21, 0, s0
	s_subb_u32 s22, 0, s1
	v_fmac_f32_e32 v7, 0x4f800000, v8
	v_rcp_f32_e32 v7, v7
	v_mul_f32_e32 v7, 0x5f7ffffc, v7
	v_mul_f32_e32 v8, 0x2f800000, v7
	v_trunc_f32_e32 v8, v8
	v_fmac_f32_e32 v7, 0xcf800000, v8
	v_cvt_u32_f32_e32 v8, v8
	v_cvt_u32_f32_e32 v7, v7
	v_readfirstlane_b32 s7, v8
	v_readfirstlane_b32 s20, v7
	s_mul_i32 s23, s21, s7
	s_mul_hi_u32 s25, s21, s20
	s_mul_i32 s24, s22, s20
	s_add_i32 s23, s25, s23
	s_mul_i32 s26, s21, s20
	s_add_i32 s23, s23, s24
	s_mul_hi_u32 s25, s20, s26
	s_mul_i32 s28, s20, s23
	s_mul_hi_u32 s27, s7, s26
	s_mul_i32 s24, s7, s26
	s_mul_hi_u32 s26, s20, s23
	s_add_u32 s25, s25, s28
	s_addc_u32 s26, 0, s26
	s_mul_hi_u32 s29, s7, s23
	s_add_u32 s24, s25, s24
	s_mul_i32 s23, s7, s23
	s_addc_u32 s24, s26, s27
	s_addc_u32 s25, s29, 0
	s_add_u32 s23, s24, s23
	s_addc_u32 s24, 0, s25
	s_add_u32 s20, s20, s23
	s_cselect_b32 s23, -1, 0
	s_mul_hi_u32 s25, s21, s20
	s_cmp_lg_u32 s23, 0
	s_mul_i32 s23, s21, s20
	s_addc_u32 s7, s7, s24
	s_mul_i32 s22, s22, s20
	s_mul_i32 s21, s21, s7
	s_mul_hi_u32 s24, s20, s23
	s_add_i32 s21, s25, s21
	s_mul_hi_u32 s25, s7, s23
	s_add_i32 s21, s21, s22
	s_mul_i32 s22, s7, s23
	s_mul_i32 s27, s20, s21
	s_mul_hi_u32 s26, s20, s21
	s_add_u32 s24, s24, s27
	s_addc_u32 s26, 0, s26
	s_mul_hi_u32 s23, s7, s21
	s_add_u32 s22, s24, s22
	s_mul_i32 s21, s7, s21
	s_addc_u32 s22, s26, s25
	s_addc_u32 s23, s23, 0
	s_add_u32 s21, s22, s21
	s_addc_u32 s22, 0, s23
	s_add_u32 s24, s20, s21
	s_cselect_b32 s20, -1, 0
	s_cmp_lg_u32 s20, 0
	s_addc_u32 s7, s7, s22
	s_ashr_i32 s20, s5, 31
	s_add_u32 s22, s6, s20
	s_mov_b32 s21, s20
	s_addc_u32 s23, s5, s20
	s_xor_b64 s[22:23], s[22:23], s[20:21]
	s_mul_i32 s25, s22, s7
	s_mul_hi_u32 s26, s22, s24
	s_mul_hi_u32 s5, s22, s7
	;; [unrolled: 1-line block ×3, first 2 shown]
	s_mul_i32 s24, s23, s24
	s_add_u32 s25, s26, s25
	s_addc_u32 s5, 0, s5
	s_mul_hi_u32 s27, s23, s7
	s_add_u32 s24, s25, s24
	s_mul_i32 s7, s23, s7
	s_addc_u32 s5, s5, s28
	s_addc_u32 s24, s27, 0
	s_add_u32 s5, s5, s7
	s_addc_u32 s7, 0, s24
	s_mul_hi_u32 s24, s0, s5
	s_mul_i32 s25, s0, s7
	s_mul_i32 s26, s1, s5
	s_add_i32 s24, s24, s25
	s_mul_i32 s25, s0, s5
	s_add_i32 s24, s24, s26
	s_sub_i32 s26, s23, s24
	s_sub_u32 s22, s22, s25
	s_cselect_b32 s25, -1, 0
	s_cmp_lg_u32 s25, 0
	s_subb_u32 s26, s26, s1
	s_sub_u32 s27, s22, s0
	s_cselect_b32 s28, -1, 0
	s_cmp_lg_u32 s28, 0
	s_subb_u32 s26, s26, 0
	s_cmp_ge_u32 s26, s1
	s_cselect_b32 s28, -1, 0
	s_cmp_ge_u32 s27, s0
	s_cselect_b32 s27, -1, 0
	s_cmp_eq_u32 s26, s1
	s_cselect_b32 s26, s27, s28
	s_add_u32 s27, s5, 1
	s_addc_u32 s28, s7, 0
	s_add_u32 s29, s5, 2
	s_addc_u32 s30, s7, 0
	s_cmp_lg_u32 s26, 0
	s_cselect_b32 s26, s29, s27
	s_cselect_b32 s27, s30, s28
	s_cmp_lg_u32 s25, 0
	s_subb_u32 s23, s23, s24
	s_cmp_ge_u32 s23, s1
	s_cselect_b32 s24, -1, 0
	s_cmp_ge_u32 s22, s0
	s_cselect_b32 s0, -1, 0
	s_cmp_eq_u32 s23, s1
	s_cselect_b32 s0, s0, s24
	s_cmp_lg_u32 s0, 0
	s_cselect_b32 s1, s27, s7
	s_cselect_b32 s0, s26, s5
	s_xor_b64 s[20:21], s[20:21], 0
	s_mov_b32 s7, 0
	s_xor_b64 s[0:1], s[0:1], s[20:21]
	s_sub_u32 s0, s0, s20
.LBB29_11:                              ;   in Loop: Header=BB29_9 Depth=1
	s_andn2_b32 vcc_lo, exec_lo, s7
	s_cbranch_vccnz .LBB29_13
; %bb.12:                               ;   in Loop: Header=BB29_9 Depth=1
	v_readfirstlane_b32 s0, v0
	s_mul_i32 s1, s16, s0
	s_mul_hi_u32 s1, s0, s1
	s_add_i32 s0, s0, s1
	s_mul_hi_u32 s0, s6, s0
	s_mul_i32 s1, s0, s9
	s_add_i32 s5, s0, 1
	s_sub_i32 s1, s6, s1
	s_sub_i32 s6, s1, s9
	s_cmp_ge_u32 s1, s9
	s_cselect_b32 s0, s5, s0
	s_cselect_b32 s1, s6, s1
	s_add_i32 s5, s0, 1
	s_cmp_ge_u32 s1, s9
	s_cselect_b32 s0, s5, s0
.LBB29_13:                              ;   in Loop: Header=BB29_9 Depth=1
	s_cmp_lg_u32 s10, s0
	s_mov_b32 s6, -1
                                        ; implicit-def: $sgpr5
                                        ; implicit-def: $vgpr8
                                        ; implicit-def: $vgpr7
                                        ; implicit-def: $vgpr9
                                        ; implicit-def: $sgpr1
                                        ; implicit-def: $sgpr20
	s_cbranch_scc0 .LBB29_18
; %bb.14:                               ;   in Loop: Header=BB29_9 Depth=1
	s_add_i32 s1, s17, s9
	s_mov_b32 s7, s4
	s_lshl_b32 s1, s1, 3
	s_mov_b32 s20, s10
	s_add_i32 s6, s1, s2
	s_mul_hi_u32 s1, s0, s12
	s_lshl_b64 s[6:7], s[6:7], 3
	s_add_u32 s6, s18, s6
	s_addc_u32 s7, s19, s7
	s_add_i32 s1, s1, s0
	s_lshr_b32 s1, s1, s13
	s_mul_i32 s5, s1, s14
	s_cmp_eq_u32 s5, s0
	s_cselect_b32 s5, -1, 0
	s_cmp_lt_u32 s1, s11
	s_cselect_b32 s1, -1, 0
	s_or_b32 s1, s1, s5
	s_mov_b32 s5, -1
	s_and_b32 vcc_lo, exec_lo, s1
	s_mov_b32 s1, s17
	s_cbranch_vccnz .LBB29_16
; %bb.15:                               ;   in Loop: Header=BB29_9 Depth=1
	s_add_i32 s1, s17, -1
	s_mov_b32 s5, 0
	s_mov_b32 s20, s0
.LBB29_16:                              ;   in Loop: Header=BB29_9 Depth=1
	v_mad_u64_u32 v[7:8], null, 0x380, s17, v[3:4]
	s_load_dwordx2 s[6:7], s[6:7], 0x0
	v_ashrrev_i32_e32 v8, 31, v7
	v_lshlrev_b64 v[7:8], 2, v[7:8]
	v_add_co_u32 v7, vcc_lo, s8, v7
	v_add_co_ci_u32_e64 v8, null, s15, v8, vcc_lo
	s_waitcnt lgkmcnt(0)
	v_max_f32_e64 v9, s6, s6
	global_load_dword v8, v[7:8], off
	v_max_f32_e32 v7, v6, v6
	v_max_f32_e32 v7, v7, v9
	v_sub_f32_e32 v9, s6, v7
	v_sub_f32_e32 v10, v6, v7
	v_mul_f32_e32 v11, 0x3fb8aa3b, v9
	v_mul_f32_e32 v12, 0x3fb8aa3b, v10
	v_cmp_ngt_f32_e32 vcc_lo, 0xc2ce8ed0, v9
	v_fma_f32 v13, 0x3fb8aa3b, v9, -v11
	v_rndne_f32_e32 v14, v11
	v_fma_f32 v15, 0x3fb8aa3b, v10, -v12
	v_rndne_f32_e32 v16, v12
	v_fmac_f32_e32 v13, 0x32a5705f, v9
	v_sub_f32_e32 v11, v11, v14
	v_fmac_f32_e32 v15, 0x32a5705f, v10
	v_sub_f32_e32 v12, v12, v16
	v_add_f32_e32 v11, v11, v13
	v_cvt_i32_f32_e32 v13, v14
	v_add_f32_e32 v12, v12, v15
	v_cvt_i32_f32_e32 v14, v16
	v_exp_f32_e32 v11, v11
	v_exp_f32_e32 v12, v12
	v_ldexp_f32 v11, v11, v13
	v_ldexp_f32 v12, v12, v14
	v_cndmask_b32_e32 v11, 0, v11, vcc_lo
	v_cmp_ngt_f32_e32 vcc_lo, 0xc2ce8ed0, v10
	v_cndmask_b32_e32 v12, 0, v12, vcc_lo
	v_cmp_nlt_f32_e32 vcc_lo, 0x42b17218, v9
	v_cndmask_b32_e32 v11, 0x7f800000, v11, vcc_lo
	v_cmp_nlt_f32_e32 vcc_lo, 0x42b17218, v10
	v_cndmask_b32_e32 v12, 0x7f800000, v12, vcc_lo
	v_cmp_le_f32_e32 vcc_lo, 0xc1a00000, v9
	v_cndmask_b32_e32 v9, 0, v11, vcc_lo
	v_cmp_le_f32_e32 vcc_lo, 0xc1a00000, v10
	v_cndmask_b32_e32 v10, 0, v12, vcc_lo
	s_waitcnt vmcnt(0)
	v_mul_f32_e32 v8, v8, v9
	v_mul_f32_e32 v9, s7, v9
	v_fmac_f32_e32 v8, v5, v10
	v_fmac_f32_e32 v9, v4, v10
	s_cbranch_execz .LBB29_19
.LBB29_17:                              ;   in Loop: Header=BB29_9 Depth=1
	s_andn2_b32 vcc_lo, exec_lo, s5
	s_cbranch_vccnz .LBB29_20
	s_branch .LBB29_23
.LBB29_18:                              ;   in Loop: Header=BB29_9 Depth=1
	s_andn2_b32 vcc_lo, exec_lo, s6
	s_cbranch_vccnz .LBB29_17
.LBB29_19:                              ;   in Loop: Header=BB29_9 Depth=1
	v_mov_b32_e32 v9, v4
	v_mov_b32_e32 v7, v6
	s_waitcnt vmcnt(0)
	v_mov_b32_e32 v8, v5
	s_add_i32 s1, s17, -1
	s_mov_b32 s20, s10
	s_cbranch_execz .LBB29_23
.LBB29_20:                              ;   in Loop: Header=BB29_9 Depth=1
	v_mov_b32_e32 v4, v9
	v_mov_b32_e32 v6, v7
	s_waitcnt vmcnt(0)
	v_mov_b32_e32 v5, v8
	s_mov_b32 s10, s20
	s_mov_b32 s17, s1
	s_branch .LBB29_9
.LBB29_21:
                                        ; implicit-def: $sgpr10_sgpr11
	s_load_dwordx4 s[12:15], s[4:5], 0x44
	s_branch .LBB29_2
.LBB29_22:
                                        ; implicit-def: $sgpr18_sgpr19
	s_branch .LBB29_5
.LBB29_23:
	v_div_scale_f32 v0, null, v9, v9, v8
	v_rcp_f32_e32 v3, v0
	v_fma_f32 v4, -v0, v3, 1.0
	v_fmac_f32_e32 v3, v4, v3
	v_div_scale_f32 v4, vcc_lo, v8, v9, v8
	s_waitcnt vmcnt(0)
	v_mul_f32_e32 v5, v4, v3
	v_fma_f32 v6, -v0, v5, v4
	v_fmac_f32_e32 v5, v6, v3
	v_fma_f32 v0, -v0, v5, v4
	v_div_fmas_f32 v0, v0, v3, v5
	v_div_fixup_f32 v0, v0, v9, v8
	global_store_dword v[1:2], v0, off
.LBB29_24:
	s_endpgm
	.section	.rodata,"a",@progbits
	.p2align	6, 0x0
	.amdhsa_kernel _ZL33flash_attn_stream_k_fixup_generalILi112ELi2ELi4EEvPfPK15HIP_vector_typeIfLj2EEiiiiS1_IjLj3EES5_S5_S5_
		.amdhsa_group_segment_fixed_size 0
		.amdhsa_private_segment_fixed_size 0
		.amdhsa_kernarg_size 336
		.amdhsa_user_sgpr_count 6
		.amdhsa_user_sgpr_private_segment_buffer 1
		.amdhsa_user_sgpr_dispatch_ptr 0
		.amdhsa_user_sgpr_queue_ptr 0
		.amdhsa_user_sgpr_kernarg_segment_ptr 1
		.amdhsa_user_sgpr_dispatch_id 0
		.amdhsa_user_sgpr_flat_scratch_init 0
		.amdhsa_user_sgpr_private_segment_size 0
		.amdhsa_wavefront_size32 1
		.amdhsa_uses_dynamic_stack 0
		.amdhsa_system_sgpr_private_segment_wavefront_offset 0
		.amdhsa_system_sgpr_workgroup_id_x 1
		.amdhsa_system_sgpr_workgroup_id_y 1
		.amdhsa_system_sgpr_workgroup_id_z 1
		.amdhsa_system_sgpr_workgroup_info 0
		.amdhsa_system_vgpr_workitem_id 0
		.amdhsa_next_free_vgpr 17
		.amdhsa_next_free_sgpr 31
		.amdhsa_reserve_vcc 1
		.amdhsa_reserve_flat_scratch 0
		.amdhsa_float_round_mode_32 0
		.amdhsa_float_round_mode_16_64 0
		.amdhsa_float_denorm_mode_32 3
		.amdhsa_float_denorm_mode_16_64 3
		.amdhsa_dx10_clamp 1
		.amdhsa_ieee_mode 1
		.amdhsa_fp16_overflow 0
		.amdhsa_workgroup_processor_mode 1
		.amdhsa_memory_ordered 1
		.amdhsa_forward_progress 1
		.amdhsa_shared_vgpr_count 0
		.amdhsa_exception_fp_ieee_invalid_op 0
		.amdhsa_exception_fp_denorm_src 0
		.amdhsa_exception_fp_ieee_div_zero 0
		.amdhsa_exception_fp_ieee_overflow 0
		.amdhsa_exception_fp_ieee_underflow 0
		.amdhsa_exception_fp_ieee_inexact 0
		.amdhsa_exception_int_div_zero 0
	.end_amdhsa_kernel
	.section	.text._ZL33flash_attn_stream_k_fixup_generalILi112ELi2ELi4EEvPfPK15HIP_vector_typeIfLj2EEiiiiS1_IjLj3EES5_S5_S5_,"axG",@progbits,_ZL33flash_attn_stream_k_fixup_generalILi112ELi2ELi4EEvPfPK15HIP_vector_typeIfLj2EEiiiiS1_IjLj3EES5_S5_S5_,comdat
.Lfunc_end29:
	.size	_ZL33flash_attn_stream_k_fixup_generalILi112ELi2ELi4EEvPfPK15HIP_vector_typeIfLj2EEiiiiS1_IjLj3EES5_S5_S5_, .Lfunc_end29-_ZL33flash_attn_stream_k_fixup_generalILi112ELi2ELi4EEvPfPK15HIP_vector_typeIfLj2EEiiiiS1_IjLj3EES5_S5_S5_
                                        ; -- End function
	.set _ZL33flash_attn_stream_k_fixup_generalILi112ELi2ELi4EEvPfPK15HIP_vector_typeIfLj2EEiiiiS1_IjLj3EES5_S5_S5_.num_vgpr, 17
	.set _ZL33flash_attn_stream_k_fixup_generalILi112ELi2ELi4EEvPfPK15HIP_vector_typeIfLj2EEiiiiS1_IjLj3EES5_S5_S5_.num_agpr, 0
	.set _ZL33flash_attn_stream_k_fixup_generalILi112ELi2ELi4EEvPfPK15HIP_vector_typeIfLj2EEiiiiS1_IjLj3EES5_S5_S5_.numbered_sgpr, 31
	.set _ZL33flash_attn_stream_k_fixup_generalILi112ELi2ELi4EEvPfPK15HIP_vector_typeIfLj2EEiiiiS1_IjLj3EES5_S5_S5_.num_named_barrier, 0
	.set _ZL33flash_attn_stream_k_fixup_generalILi112ELi2ELi4EEvPfPK15HIP_vector_typeIfLj2EEiiiiS1_IjLj3EES5_S5_S5_.private_seg_size, 0
	.set _ZL33flash_attn_stream_k_fixup_generalILi112ELi2ELi4EEvPfPK15HIP_vector_typeIfLj2EEiiiiS1_IjLj3EES5_S5_S5_.uses_vcc, 1
	.set _ZL33flash_attn_stream_k_fixup_generalILi112ELi2ELi4EEvPfPK15HIP_vector_typeIfLj2EEiiiiS1_IjLj3EES5_S5_S5_.uses_flat_scratch, 0
	.set _ZL33flash_attn_stream_k_fixup_generalILi112ELi2ELi4EEvPfPK15HIP_vector_typeIfLj2EEiiiiS1_IjLj3EES5_S5_S5_.has_dyn_sized_stack, 0
	.set _ZL33flash_attn_stream_k_fixup_generalILi112ELi2ELi4EEvPfPK15HIP_vector_typeIfLj2EEiiiiS1_IjLj3EES5_S5_S5_.has_recursion, 0
	.set _ZL33flash_attn_stream_k_fixup_generalILi112ELi2ELi4EEvPfPK15HIP_vector_typeIfLj2EEiiiiS1_IjLj3EES5_S5_S5_.has_indirect_call, 0
	.section	.AMDGPU.csdata,"",@progbits
; Kernel info:
; codeLenInByte = 2948
; TotalNumSgprs: 33
; NumVgprs: 17
; ScratchSize: 0
; MemoryBound: 0
; FloatMode: 240
; IeeeMode: 1
; LDSByteSize: 0 bytes/workgroup (compile time only)
; SGPRBlocks: 0
; VGPRBlocks: 2
; NumSGPRsForWavesPerEU: 33
; NumVGPRsForWavesPerEU: 17
; Occupancy: 16
; WaveLimiterHint : 0
; COMPUTE_PGM_RSRC2:SCRATCH_EN: 0
; COMPUTE_PGM_RSRC2:USER_SGPR: 6
; COMPUTE_PGM_RSRC2:TRAP_HANDLER: 0
; COMPUTE_PGM_RSRC2:TGID_X_EN: 1
; COMPUTE_PGM_RSRC2:TGID_Y_EN: 1
; COMPUTE_PGM_RSRC2:TGID_Z_EN: 1
; COMPUTE_PGM_RSRC2:TIDIG_COMP_CNT: 0
	.section	.text._ZL15flash_attn_tileILi112ELi112ELi1ELi4ELb0EEvPKcS1_S1_S1_S1_PKiPfP15HIP_vector_typeIfLj2EEffffjfiS5_IjLj3EEiiiiiiiiiiiliiliiiiil,"axG",@progbits,_ZL15flash_attn_tileILi112ELi112ELi1ELi4ELb0EEvPKcS1_S1_S1_S1_PKiPfP15HIP_vector_typeIfLj2EEffffjfiS5_IjLj3EEiiiiiiiiiiiliiliiiiil,comdat
	.globl	_ZL15flash_attn_tileILi112ELi112ELi1ELi4ELb0EEvPKcS1_S1_S1_S1_PKiPfP15HIP_vector_typeIfLj2EEffffjfiS5_IjLj3EEiiiiiiiiiiiliiliiiiil ; -- Begin function _ZL15flash_attn_tileILi112ELi112ELi1ELi4ELb0EEvPKcS1_S1_S1_S1_PKiPfP15HIP_vector_typeIfLj2EEffffjfiS5_IjLj3EEiiiiiiiiiiiliiliiiiil
	.p2align	8
	.type	_ZL15flash_attn_tileILi112ELi112ELi1ELi4ELb0EEvPKcS1_S1_S1_S1_PKiPfP15HIP_vector_typeIfLj2EEffffjfiS5_IjLj3EEiiiiiiiiiiiliiliiiiil,@function
_ZL15flash_attn_tileILi112ELi112ELi1ELi4ELb0EEvPKcS1_S1_S1_S1_PKiPfP15HIP_vector_typeIfLj2EEffffjfiS5_IjLj3EEiiiiiiiiiiiliiliiiiil: ; @_ZL15flash_attn_tileILi112ELi112ELi1ELi4ELb0EEvPKcS1_S1_S1_S1_PKiPfP15HIP_vector_typeIfLj2EEffffjfiS5_IjLj3EEiiiiiiiiiiiliiliiiiil
; %bb.0:
	s_clause 0x1
	s_load_dwordx4 s[24:27], s[4:5], 0x5c
	s_load_dwordx2 s[36:37], s[4:5], 0x80
	s_mov_b32 s34, s7
	s_mov_b64 s[38:39], 0
	s_waitcnt lgkmcnt(0)
	s_ashr_i32 s0, s27, 31
	s_lshr_b32 s0, s0, 30
	s_add_i32 s0, s27, s0
	s_ashr_i32 s0, s0, 2
	v_cvt_f32_u32_e32 v2, s0
	s_sub_i32 s2, 0, s0
	v_rcp_iflag_f32_e32 v2, v2
	v_mul_f32_e32 v2, 0x4f7ffffe, v2
	v_cvt_u32_f32_e32 v2, v2
	v_readfirstlane_b32 s1, v2
	s_mul_i32 s2, s2, s1
	s_mul_hi_u32 s2, s1, s2
	s_add_i32 s1, s1, s2
	s_mul_hi_u32 s1, s8, s1
	s_mul_i32 s2, s1, s0
	s_add_i32 s3, s1, 1
	s_sub_i32 s2, s8, s2
	s_sub_i32 s7, s2, s0
	s_cmp_ge_u32 s2, s0
	s_cselect_b32 s1, s3, s1
	s_cselect_b32 s2, s7, s2
	s_add_i32 s3, s1, 1
	s_cmp_ge_u32 s2, s0
	s_cselect_b32 s33, s3, s1
	s_abs_i32 s0, s37
	s_abs_i32 s3, s27
	v_cvt_f32_u32_e32 v2, s0
	s_sub_i32 s2, 0, s0
	s_xor_b32 s7, s27, s37
	s_ashr_i32 s7, s7, 31
	v_rcp_iflag_f32_e32 v2, v2
	v_mul_f32_e32 v2, 0x4f7ffffe, v2
	v_cvt_u32_f32_e32 v2, v2
	v_readfirstlane_b32 s1, v2
	s_mul_i32 s2, s2, s1
	s_mul_hi_u32 s2, s1, s2
	s_add_i32 s1, s1, s2
	s_lshl_b32 s2, s8, 2
	s_mul_hi_u32 s1, s3, s1
	s_mul_i32 s8, s1, s0
	s_sub_i32 s3, s3, s8
	s_add_i32 s8, s1, 1
	s_sub_i32 s9, s3, s0
	s_cmp_ge_u32 s3, s0
	s_cselect_b32 s1, s8, s1
	s_cselect_b32 s3, s9, s3
	s_add_i32 s8, s1, 1
	s_cmp_ge_u32 s3, s0
	s_mul_i32 s3, s33, s27
	s_cselect_b32 s0, s8, s1
	s_xor_b32 s0, s0, s7
	s_sub_i32 s35, s0, s7
	s_clause 0x1
	s_load_dwordx16 s[8:23], s[4:5], 0x0
	s_load_dwordx2 s[0:1], s[4:5], 0xb8
	s_abs_i32 s7, s35
	v_cvt_f32_u32_e32 v2, s7
	v_rcp_iflag_f32_e32 v2, v2
	v_mul_f32_e32 v2, 0x4f7ffffe, v2
	s_waitcnt lgkmcnt(0)
	s_cmp_eq_u64 s[14:15], 0
	v_cvt_u32_f32_e32 v2, v2
	v_readfirstlane_b32 s37, v2
	s_cbranch_scc1 .LBB30_2
; %bb.1:
	s_abs_i32 s0, s0
	s_abs_i32 s30, s33
	v_cvt_f32_u32_e32 v2, s0
	s_sub_i32 s29, 0, s0
	v_rcp_iflag_f32_e32 v2, v2
	v_mul_f32_e32 v2, 0x4f7ffffe, v2
	v_cvt_u32_f32_e32 v2, v2
	v_readfirstlane_b32 s28, v2
	s_mul_i32 s29, s29, s28
	s_mul_hi_u32 s29, s28, s29
	s_add_i32 s28, s28, s29
	s_mul_hi_u32 s31, s30, s28
	s_load_dwordx2 s[28:29], s[4:5], 0xc8
	s_mul_i32 s31, s31, s0
	s_sub_i32 s30, s30, s31
	s_ashr_i32 s31, s33, 31
	s_sub_i32 s38, s30, s0
	s_cmp_ge_u32 s30, s0
	s_cselect_b32 s30, s38, s30
	s_sub_i32 s38, s30, s0
	s_cmp_ge_u32 s30, s0
	s_cselect_b32 s0, s38, s30
	s_xor_b32 s0, s0, s31
	s_sub_i32 s0, s0, s31
	s_ashr_i32 s30, s0, 31
	s_waitcnt lgkmcnt(0)
	s_mul_hi_u32 s31, s28, s0
	s_mul_i32 s30, s28, s30
	s_mul_i32 s29, s29, s0
	s_add_i32 s30, s31, s30
	s_mul_i32 s0, s28, s0
	s_add_i32 s30, s30, s29
	s_add_u32 s38, s14, s0
	s_addc_u32 s39, s15, s30
.LBB30_2:
	s_movk_i32 s14, 0xe0
	v_cmp_gt_u32_e64 s0, 28, v0
	v_mad_u32_u24 v57, v1, s14, 0x1040
	v_lshlrev_b32_e32 v58, 3, v0
	v_and_b32_e32 v55, 3, v1
	v_lshrrev_b32_e32 v56, 2, v1
	s_sub_i32 s14, s2, s3
	s_and_saveexec_b32 s2, s0
	s_cbranch_execz .LBB30_4
; %bb.3:
	v_add_nc_u32_e32 v2, s6, v56
	s_load_dwordx4 s[28:31], s[4:5], 0x70
	v_mul_hi_u32 v3, s24, v2
	v_add_nc_u32_e32 v3, v2, v3
	v_lshrrev_b32_e32 v3, s25, v3
	s_waitcnt lgkmcnt(0)
	s_mul_i32 s3, s33, s30
	s_mul_i32 s15, s14, s29
	v_mul_lo_u32 v3, v3, s26
	s_ashr_i32 s31, s3, 31
	s_add_u32 s3, s8, s3
	s_addc_u32 s8, s9, s31
	s_ashr_i32 s9, s15, 31
	s_add_u32 s3, s3, s15
	s_mov_b32 s30, s29
	s_addc_u32 s15, s8, s9
	s_ashr_i32 s31, s29, 31
	v_sub_nc_u32_e32 v8, v2, v3
	s_ashr_i32 s29, s28, 31
	s_lshr_b64 s[8:9], s[30:31], 2
	v_mad_u64_u32 v[2:3], null, s8, v55, 0
	s_lshr_b64 s[8:9], s[28:29], 2
	v_mad_u64_u32 v[4:5], null, s8, v8, 0
	s_lshr_b32 s8, s31, 2
	v_mad_u64_u32 v[6:7], null, s8, v55, v[3:4]
	s_lshr_b32 s8, s29, 2
	v_mad_u64_u32 v[7:8], null, s8, v8, v[5:6]
	v_mov_b32_e32 v3, v6
	v_lshlrev_b32_e32 v6, 4, v0
	v_lshlrev_b64 v[2:3], 2, v[2:3]
	v_mov_b32_e32 v5, v7
	v_lshlrev_b64 v[4:5], 2, v[4:5]
	v_add_co_u32 v2, vcc_lo, s3, v2
	v_add_co_ci_u32_e64 v3, null, s15, v3, vcc_lo
	s_load_dword s3, s[4:5], 0x40
	v_add_co_u32 v2, vcc_lo, v2, v4
	v_add_co_ci_u32_e64 v3, null, v3, v5, vcc_lo
	v_add_co_u32 v2, vcc_lo, v2, v6
	v_add_co_ci_u32_e64 v3, null, 0, v3, vcc_lo
	v_add_nc_u32_e32 v6, v57, v58
	global_load_dwordx4 v[2:5], v[2:3], off
	s_waitcnt vmcnt(0) lgkmcnt(0)
	v_fma_mixlo_f16 v3, s3, v3, 0
	v_fma_mixlo_f16 v2, s3, v2, 0
	;; [unrolled: 1-line block ×4, first 2 shown]
	v_lshlrev_b32_e32 v3, 16, v3
	v_and_b32_e32 v2, 0xffff, v2
	v_and_b32_e32 v4, 0xffff, v4
	v_lshlrev_b32_e32 v5, 16, v5
	v_or_b32_e32 v2, v3, v2
	v_or3_b32 v3, v5, v4, 0
	v_or3_b32 v2, 0, 0, v2
	ds_write_b64 v6, v[2:3]
.LBB30_4:
	s_or_b32 exec_lo, exec_lo, s2
	s_cmp_eq_u64 s[18:19], 0
	s_waitcnt lgkmcnt(0)
	s_barrier
	buffer_gl0_inv
	s_cbranch_scc1 .LBB30_6
; %bb.5:
	s_load_dword s2, s[4:5], 0xd0
	s_mov_b32 s3, 0
	s_waitcnt lgkmcnt(0)
	s_mul_i32 s2, s2, s33
	s_add_i32 s2, s2, s6
	s_lshl_b64 s[2:3], s[2:3], 2
	s_add_u32 s2, s18, s2
	s_addc_u32 s3, s19, s3
	s_load_dword s36, s[2:3], 0x0
.LBB30_6:
	v_mbcnt_lo_u32_b32 v59, -1, 0
	s_lshl_b32 s15, s34, 5
	s_waitcnt lgkmcnt(0)
	s_cmp_lt_i32 s15, s36
	s_cbranch_scc1 .LBB30_9
; %bb.7:
	v_mbcnt_lo_u32_b32 v2, -1, 0
	v_mov_b32_e32 v61, 32
	v_xor_b32_e32 v77, 16, v2
	v_xor_b32_e32 v78, 8, v2
	;; [unrolled: 1-line block ×5, first 2 shown]
	s_cbranch_execz .LBB30_10
; %bb.8:
	v_mov_b32_e32 v67, 0
	v_mov_b32_e32 v83, 0
	;; [unrolled: 1-line block ×4, first 2 shown]
	s_branch .LBB30_30
.LBB30_9:
                                        ; implicit-def: $vgpr2
                                        ; implicit-def: $vgpr61
                                        ; implicit-def: $vgpr77
                                        ; implicit-def: $vgpr78
                                        ; implicit-def: $vgpr79
                                        ; implicit-def: $vgpr81
                                        ; implicit-def: $vgpr82
.LBB30_10:
	s_clause 0x1
	s_load_dwordx4 s[28:31], s[4:5], 0x98
	s_load_dwordx2 s[2:3], s[4:5], 0x8c
	s_sub_i32 s8, 0, s7
	v_add_nc_u32_e32 v8, s6, v56
	s_mul_i32 s8, s8, s37
	s_abs_i32 s40, s14
	s_mul_hi_u32 s18, s37, s8
	s_ashr_i32 s42, s1, 1
	s_add_i32 s37, s37, s18
	v_mul_hi_u32 v4, s24, v8
	s_mul_hi_u32 s1, s40, s37
	s_ashr_i32 s37, s33, 31
	v_lshrrev_b32_e32 v3, 2, v0
	s_ashr_i32 s41, s14, 31
	s_ashr_i32 s35, s35, 31
	s_load_dwordx2 s[8:9], s[4:5], 0xa8
	s_mul_i32 s43, s1, s7
	v_lshl_add_u32 v11, v1, 3, v3
	v_add_nc_u32_e32 v3, v8, v4
	v_lshlrev_b32_e32 v9, 2, v0
	s_waitcnt lgkmcnt(0)
	s_ashr_i32 s18, s30, 2
	s_ashr_i32 s19, s2, 2
	s_mul_hi_u32 s2, s28, s33
	s_mul_i32 s30, s28, s37
	s_mul_i32 s29, s29, s33
	s_add_i32 s2, s2, s30
	s_mul_i32 s28, s28, s33
	s_add_i32 s2, s2, s29
	s_add_u32 s10, s10, s28
	s_addc_u32 s2, s11, s2
	s_sub_i32 s28, s40, s43
	s_xor_b32 s11, s41, s35
	s_add_i32 s29, s1, 1
	s_sub_i32 s30, s28, s7
	s_cmp_ge_u32 s28, s7
	v_lshrrev_b32_e32 v3, s25, v3
	s_cselect_b32 s1, s29, s1
	s_cselect_b32 s28, s30, s28
	s_add_i32 s29, s1, 1
	s_cmp_ge_u32 s28, s7
	v_lshrrev_b32_e32 v2, 1, v0
	s_cselect_b32 s1, s29, s1
	v_mul_lo_u32 v12, v3, s26
	s_xor_b32 s1, s1, s11
	v_and_b32_e32 v15, 4, v9
	s_sub_i32 s1, s1, s11
	v_lshl_add_u32 v10, v1, 4, v2
	v_lshrrev_b32_e32 v17, 3, v0
	s_mul_i32 s3, s1, s3
	s_mul_hi_u32 s7, s8, s33
	s_mul_i32 s30, s8, s37
	s_ashr_i32 s11, s3, 31
	s_add_u32 s28, s10, s3
	s_mul_i32 s9, s9, s33
	s_addc_u32 s29, s2, s11
	s_add_i32 s2, s7, s30
	v_lshl_add_u32 v5, v1, 5, v0
	v_lshlrev_b32_e32 v7, 7, v10
	v_lshlrev_b32_e32 v16, 2, v15
	v_sub_nc_u32_e32 v8, v8, v12
	v_lshl_add_u32 v66, v1, 6, 0x13c0
	v_lshl_add_u32 v1, v1, 2, v17
	v_mul_u32_u24_e32 v12, 0xe0, v10
	s_mul_i32 s8, s8, s33
	s_mul_i32 s1, s1, s31
	s_add_i32 s2, s2, s9
	s_add_u32 s3, s12, s8
	v_and_b32_e32 v14, 12, v9
	s_addc_u32 s7, s13, s2
	s_ashr_i32 s8, s1, 31
	s_add_u32 s12, s3, s1
	v_cmp_gt_u32_e64 s1, 32, v10
	v_mul_lo_u32 v2, s19, v11
	v_mul_lo_u32 v4, s19, v5
	;; [unrolled: 1-line block ×3, first 2 shown]
	v_or3_b32 v65, v7, v16, 64
	v_mad_u64_u32 v[41:42], null, v8, s42, v[0:1]
	v_mul_lo_u32 v8, s18, v1
	v_cmp_gt_u32_e64 s2, 16, v10
	v_or_b32_e32 v16, v12, v16
	v_mul_lo_u32 v10, s18, v10
	v_mul_lo_u32 v12, s18, v11
	v_lshlrev_b32_e32 v13, 2, v14
	v_mul_u32_u24_e32 v18, 0xe0, v11
	v_and_b32_e32 v17, 28, v9
	v_cmp_gt_u32_e32 vcc_lo, 32, v5
	v_ashrrev_i32_e32 v3, 31, v2
	v_lshl_or_b32 v62, v11, 7, v13
	v_ashrrev_i32_e32 v5, 31, v4
	v_ashrrev_i32_e32 v7, 31, v6
	v_cmp_gt_u32_e64 s3, 16, v11
	v_ashrrev_i32_e32 v9, 31, v8
	v_ashrrev_i32_e32 v11, 31, v10
	v_add3_u32 v70, v18, v13, 0x80
	v_ashrrev_i32_e32 v13, 31, v12
	v_lshlrev_b32_e32 v63, 7, v0
	v_lshlrev_b32_e32 v19, 2, v17
	v_lshlrev_b64 v[42:43], 2, v[4:5]
	v_lshlrev_b64 v[44:45], 2, v[6:7]
	;; [unrolled: 1-line block ×6, first 2 shown]
	v_mov_b32_e32 v60, 0
	v_or_b32_e32 v64, 0x60, v63
	v_lshl_add_u32 v68, v0, 1, v66
	v_add_nc_u32_e32 v69, 0xc0, v16
	v_mad_u32_u24 v71, 0xe0, v1, v19
	v_mov_b32_e32 v80, 0xfeffffff
	v_lshlrev_b32_e32 v72, 2, v14
	v_mov_b32_e32 v61, 32
	v_lshlrev_b32_e32 v73, 2, v17
	v_lshlrev_b32_e32 v74, 2, v15
	v_mov_b32_e32 v75, 0x10001
	v_mov_b32_e32 v67, 0
	v_mov_b32_e32 v76, 0
	s_addc_u32 s13, s7, s8
	s_add_u32 s10, s4, 0xd0
	s_addc_u32 s11, s5, 0
.LBB30_11:                              ; =>This Inner Loop Header: Depth=1
	s_mul_hi_i32 s9, s15, s19
	s_mul_i32 s8, s15, s19
	s_lshl_b64 s[8:9], s[8:9], 2
	s_add_u32 s8, s28, s8
	s_addc_u32 s9, s29, s9
	s_and_saveexec_b32 s24, vcc_lo
	s_cbranch_execz .LBB30_13
; %bb.12:                               ;   in Loop: Header=BB30_11 Depth=1
	v_add_co_u32 v1, s7, s8, v42
	v_add_co_ci_u32_e64 v2, null, s9, v43, s7
	global_load_dwordx4 v[1:4], v[1:2], off offset:96
	s_waitcnt vmcnt(0)
	ds_write_b128 v64, v[1:4]
.LBB30_13:                              ;   in Loop: Header=BB30_11 Depth=1
	s_or_b32 exec_lo, exec_lo, s24
	s_and_saveexec_b32 s24, s1
	s_cbranch_execz .LBB30_15
; %bb.14:                               ;   in Loop: Header=BB30_11 Depth=1
	v_add_co_u32 v1, s7, s8, v44
	v_add_co_ci_u32_e64 v2, null, s9, v45, s7
	v_add_co_u32 v1, s7, v1, v74
	v_add_co_ci_u32_e64 v2, null, 0, v2, s7
	global_load_dwordx4 v[1:4], v[1:2], off offset:64
	s_waitcnt vmcnt(0)
	ds_write_b128 v65, v[1:4]
.LBB30_15:                              ;   in Loop: Header=BB30_11 Depth=1
	s_or_b32 exec_lo, exec_lo, s24
	v_add_co_u32 v1, s7, s8, v46
	v_add_co_ci_u32_e64 v2, null, s9, v47, s7
	v_add_co_u32 v1, s7, v1, v72
	v_add_co_ci_u32_e64 v2, null, 0, v2, s7
	global_load_dwordx4 v[3:6], v[1:2], off
	s_waitcnt vmcnt(0)
	ds_write_b128 v62, v[3:6]
	s_waitcnt lgkmcnt(0)
	s_barrier
	buffer_gl0_inv
	ds_read_b128 v[4:7], v63
	ds_read_b128 v[8:11], v57
	v_mov_b32_e32 v3, 0
	s_waitcnt lgkmcnt(0)
	;;#ASMSTART
	v_dot2_f32_f16 v3, v4, v8, v3
	;;#ASMEND
	;;#ASMSTART
	v_dot2_f32_f16 v3, v5, v9, v3
	;;#ASMEND
	;;#ASMSTART
	v_dot2_f32_f16 v3, v6, v10, v3
	;;#ASMEND
	;;#ASMSTART
	v_dot2_f32_f16 v3, v7, v11, v3
	;;#ASMEND
	ds_read_b128 v[4:7], v63 offset:16
	ds_read_b128 v[8:11], v57 offset:16
	s_waitcnt lgkmcnt(0)
	;;#ASMSTART
	v_dot2_f32_f16 v3, v4, v8, v3
	;;#ASMEND
	;;#ASMSTART
	v_dot2_f32_f16 v3, v5, v9, v3
	;;#ASMEND
	;;#ASMSTART
	v_dot2_f32_f16 v3, v6, v10, v3
	;;#ASMEND
	;;#ASMSTART
	v_dot2_f32_f16 v3, v7, v11, v3
	;;#ASMEND
	ds_read_b128 v[4:7], v63 offset:32
	ds_read_b128 v[8:11], v57 offset:32
	;; [unrolled: 15-line block ×6, first 2 shown]
	s_waitcnt lgkmcnt(0)
	;;#ASMSTART
	v_dot2_f32_f16 v3, v4, v8, v3
	;;#ASMEND
	;;#ASMSTART
	v_dot2_f32_f16 v3, v5, v9, v3
	;;#ASMEND
	;; [unrolled: 3-line block ×4, first 2 shown]
	s_barrier
	buffer_gl0_inv
	s_and_saveexec_b32 s24, vcc_lo
	s_cbranch_execz .LBB30_17
; %bb.16:                               ;   in Loop: Header=BB30_11 Depth=1
	v_add_co_u32 v4, s7, s8, v42
	v_add_co_ci_u32_e64 v5, null, s9, v43, s7
	global_load_dwordx4 v[4:7], v[4:5], off offset:208
	s_waitcnt vmcnt(0)
	ds_write_b128 v64, v[4:7]
.LBB30_17:                              ;   in Loop: Header=BB30_11 Depth=1
	s_or_b32 exec_lo, exec_lo, s24
	s_and_saveexec_b32 s24, s1
	s_cbranch_execz .LBB30_19
; %bb.18:                               ;   in Loop: Header=BB30_11 Depth=1
	v_add_co_u32 v4, s7, s8, v44
	v_add_co_ci_u32_e64 v5, null, s9, v45, s7
	v_add_co_u32 v4, s7, v4, v74
	v_add_co_ci_u32_e64 v5, null, 0, v5, s7
	global_load_dwordx4 v[4:7], v[4:5], off offset:176
	s_waitcnt vmcnt(0)
	ds_write_b128 v65, v[4:7]
.LBB30_19:                              ;   in Loop: Header=BB30_11 Depth=1
	s_or_b32 exec_lo, exec_lo, s24
	global_load_dwordx4 v[4:7], v[1:2], off offset:112
	v_add_nc_u32_e32 v1, s15, v41
	v_xor_b32_e32 v77, 16, v59
	v_xor_b32_e32 v78, 8, v59
	;; [unrolled: 1-line block ×4, first 2 shown]
	v_ashrrev_i32_e32 v2, 31, v1
	v_xor_b32_e32 v82, 1, v59
	s_mul_hi_i32 s9, s15, s18
	s_mul_i32 s8, s15, s18
	v_lshlrev_b64 v[1:2], 1, v[1:2]
	s_lshl_b64 s[8:9], s[8:9], 2
	s_add_u32 s8, s12, s8
	s_addc_u32 s9, s13, s9
	v_add_co_u32 v1, s7, s38, v1
	v_add_co_ci_u32_e64 v2, null, s39, v2, s7
	v_cmp_gt_i32_e64 s7, 32, v77
	s_waitcnt vmcnt(0)
	ds_write_b128 v62, v[4:7]
	s_waitcnt lgkmcnt(0)
	s_barrier
	buffer_gl0_inv
	ds_read_b128 v[4:7], v63
	ds_read_b128 v[8:11], v57 offset:112
	s_waitcnt lgkmcnt(0)
	;;#ASMSTART
	v_dot2_f32_f16 v3, v4, v8, v3
	;;#ASMEND
	;;#ASMSTART
	v_dot2_f32_f16 v3, v5, v9, v3
	;;#ASMEND
	;;#ASMSTART
	v_dot2_f32_f16 v3, v6, v10, v3
	;;#ASMEND
	;;#ASMSTART
	v_dot2_f32_f16 v3, v7, v11, v3
	;;#ASMEND
	ds_read_b128 v[4:7], v63 offset:16
	ds_read_b128 v[8:11], v57 offset:128
	s_waitcnt lgkmcnt(0)
	;;#ASMSTART
	v_dot2_f32_f16 v3, v4, v8, v3
	;;#ASMEND
	;;#ASMSTART
	v_dot2_f32_f16 v3, v5, v9, v3
	;;#ASMEND
	;;#ASMSTART
	v_dot2_f32_f16 v3, v6, v10, v3
	;;#ASMEND
	;;#ASMSTART
	v_dot2_f32_f16 v3, v7, v11, v3
	;;#ASMEND
	ds_read_b128 v[4:7], v63 offset:32
	ds_read_b128 v[8:11], v57 offset:144
	s_waitcnt lgkmcnt(0)
	;;#ASMSTART
	v_dot2_f32_f16 v3, v4, v8, v3
	;;#ASMEND
	;;#ASMSTART
	v_dot2_f32_f16 v3, v5, v9, v3
	;;#ASMEND
	;;#ASMSTART
	v_dot2_f32_f16 v3, v6, v10, v3
	;;#ASMEND
	;;#ASMSTART
	v_dot2_f32_f16 v3, v7, v11, v3
	;;#ASMEND
	ds_read_b128 v[4:7], v63 offset:48
	ds_read_b128 v[8:11], v57 offset:160
	s_waitcnt lgkmcnt(0)
	;;#ASMSTART
	v_dot2_f32_f16 v3, v4, v8, v3
	;;#ASMEND
	;;#ASMSTART
	v_dot2_f32_f16 v3, v5, v9, v3
	;;#ASMEND
	;;#ASMSTART
	v_dot2_f32_f16 v3, v6, v10, v3
	;;#ASMEND
	;;#ASMSTART
	v_dot2_f32_f16 v3, v7, v11, v3
	;;#ASMEND
	ds_read_b128 v[4:7], v63 offset:64
	ds_read_b128 v[8:11], v57 offset:176
	s_waitcnt lgkmcnt(0)
	;;#ASMSTART
	v_dot2_f32_f16 v3, v4, v8, v3
	;;#ASMEND
	;;#ASMSTART
	v_dot2_f32_f16 v3, v5, v9, v3
	;;#ASMEND
	;;#ASMSTART
	v_dot2_f32_f16 v3, v6, v10, v3
	;;#ASMEND
	;;#ASMSTART
	v_dot2_f32_f16 v3, v7, v11, v3
	;;#ASMEND
	ds_read_b128 v[4:7], v63 offset:80
	ds_read_b128 v[8:11], v57 offset:192
	s_waitcnt lgkmcnt(0)
	;;#ASMSTART
	v_dot2_f32_f16 v3, v4, v8, v3
	;;#ASMEND
	;;#ASMSTART
	v_dot2_f32_f16 v3, v5, v9, v3
	;;#ASMEND
	;;#ASMSTART
	v_dot2_f32_f16 v3, v6, v10, v3
	;;#ASMEND
	;;#ASMSTART
	v_dot2_f32_f16 v3, v7, v11, v3
	;;#ASMEND
	ds_read_b128 v[4:7], v63 offset:96
	ds_read_b128 v[8:11], v57 offset:208
	s_waitcnt lgkmcnt(0)
	;;#ASMSTART
	v_dot2_f32_f16 v3, v4, v8, v3
	;;#ASMEND
	;;#ASMSTART
	v_dot2_f32_f16 v3, v5, v9, v3
	;;#ASMEND
	;; [unrolled: 3-line block ×4, first 2 shown]
	global_load_ushort v1, v[1:2], off
	v_max_f32_e32 v2, v80, v80
	s_waitcnt vmcnt(0)
	s_barrier
	buffer_gl0_inv
	v_cvt_f32_f16_e32 v1, v1
	v_add_f32_e32 v1, v3, v1
	v_cndmask_b32_e64 v3, v59, v77, s7
	v_cmp_gt_i32_e64 s7, 32, v78
	v_add_f32_e32 v4, 0x40051340, v1
	v_lshlrev_b32_e32 v3, 2, v3
	v_max_f32_e32 v2, v2, v4
	v_cndmask_b32_e64 v4, v59, v78, s7
	v_cmp_gt_i32_e64 s7, 32, v79
	ds_bpermute_b32 v3, v3, v2
	v_lshlrev_b32_e32 v4, 2, v4
	s_waitcnt lgkmcnt(0)
	v_max_f32_e32 v3, v3, v3
	v_max_f32_e32 v2, v2, v3
	ds_bpermute_b32 v3, v4, v2
	v_cndmask_b32_e64 v4, v59, v79, s7
	v_cmp_gt_i32_e64 s7, 32, v81
	v_lshlrev_b32_e32 v4, 2, v4
	s_waitcnt lgkmcnt(0)
	v_max_f32_e32 v3, v3, v3
	v_max_f32_e32 v2, v2, v3
	ds_bpermute_b32 v3, v4, v2
	v_cndmask_b32_e64 v4, v59, v81, s7
	v_cmp_gt_i32_e64 s7, 32, v82
	v_lshlrev_b32_e32 v4, 2, v4
	s_waitcnt lgkmcnt(0)
	v_max_f32_e32 v3, v3, v3
	v_max_f32_e32 v2, v2, v3
	ds_bpermute_b32 v3, v4, v2
	v_cndmask_b32_e64 v4, v59, v82, s7
	v_lshlrev_b32_e32 v4, 2, v4
	s_waitcnt lgkmcnt(0)
	v_max_f32_e32 v3, v3, v3
	v_max_f32_e32 v2, v2, v3
	ds_bpermute_b32 v3, v4, v2
	s_waitcnt lgkmcnt(0)
	v_max_f32_e32 v3, v3, v3
	v_max_f32_e32 v54, v2, v3
	v_sub_f32_e32 v1, v1, v54
	v_mul_f32_e32 v2, 0x3fb8aa3b, v1
	v_cmp_ngt_f32_e64 s7, 0xc2ce8ed0, v1
	v_fma_f32 v3, 0x3fb8aa3b, v1, -v2
	v_rndne_f32_e32 v4, v2
	v_fmac_f32_e32 v3, 0x32a5705f, v1
	v_sub_f32_e32 v2, v2, v4
	v_add_f32_e32 v2, v2, v3
	v_cvt_i32_f32_e32 v3, v4
	v_exp_f32_e32 v2, v2
	v_ldexp_f32 v2, v2, v3
	v_cndmask_b32_e64 v2, 0, v2, s7
	v_cmp_nlt_f32_e64 s7, 0x42b17218, v1
	v_cndmask_b32_e64 v83, 0x7f800000, v2, s7
	v_cvt_f16_f32_e32 v1, v83
	ds_write_b16 v68, v1
	s_and_saveexec_b32 s24, s2
	s_cbranch_execz .LBB30_21
; %bb.20:                               ;   in Loop: Header=BB30_11 Depth=1
	v_add_co_u32 v1, s7, s8, v48
	v_add_co_ci_u32_e64 v2, null, s9, v49, s7
	v_add_co_u32 v1, s7, v1, v74
	v_add_co_ci_u32_e64 v2, null, 0, v2, s7
	global_load_dwordx4 v[1:4], v[1:2], off offset:192
	s_waitcnt vmcnt(0)
	ds_write_b128 v69, v[1:4]
.LBB30_21:                              ;   in Loop: Header=BB30_11 Depth=1
	s_or_b32 exec_lo, exec_lo, s24
	s_and_saveexec_b32 s24, s3
	s_cbranch_execz .LBB30_23
; %bb.22:                               ;   in Loop: Header=BB30_11 Depth=1
	v_add_co_u32 v1, s7, s8, v50
	v_add_co_ci_u32_e64 v2, null, s9, v51, s7
	v_add_co_u32 v1, s7, v1, v72
	v_add_co_ci_u32_e64 v2, null, 0, v2, s7
	global_load_dwordx4 v[1:4], v[1:2], off offset:128
	s_waitcnt vmcnt(0)
	ds_write_b128 v70, v[1:4]
.LBB30_23:                              ;   in Loop: Header=BB30_11 Depth=1
	s_or_b32 exec_lo, exec_lo, s24
	v_add_co_u32 v1, s7, s8, v52
	v_add_co_ci_u32_e64 v2, null, s9, v53, s7
	v_add_nc_u32_e32 v84, 0x800, v58
	v_add_co_u32 v1, s7, v1, v73
	v_add_co_ci_u32_e64 v2, null, 0, v2, s7
	v_sub_f32_e32 v80, v80, v54
	s_or_b32 s9, s15, 16
	s_mul_hi_i32 s25, s9, s18
	global_load_dwordx4 v[1:4], v[1:2], off
	s_mul_i32 s24, s9, s18
	v_cmp_ngt_f32_e64 s7, 0xc2ce8ed0, v80
	v_cmp_nlt_f32_e64 s8, 0x42b17218, v80
	s_lshl_b64 s[24:25], s[24:25], 2
	s_add_u32 s24, s12, s24
	s_addc_u32 s25, s13, s25
	s_waitcnt vmcnt(0)
	ds_write_b128 v71, v[1:4]
	s_waitcnt lgkmcnt(0)
	s_barrier
	buffer_gl0_inv
	ds_read2_b64 v[37:40], v58 offset1:28
	ds_read_b128 v[25:28], v66
	ds_read_b128 v[5:8], v66 offset:16
	ds_read2_b64 v[33:36], v58 offset0:56 offset1:84
	ds_read2_b64 v[29:32], v58 offset0:112 offset1:140
	;; [unrolled: 1-line block ×7, first 2 shown]
	s_waitcnt lgkmcnt(0)
	s_barrier
	buffer_gl0_inv
	s_and_saveexec_b32 s30, s2
	s_cbranch_execz .LBB30_25
; %bb.24:                               ;   in Loop: Header=BB30_11 Depth=1
	v_add_co_u32 v85, s9, s24, v48
	v_add_co_ci_u32_e64 v86, null, s25, v49, s9
	v_add_co_u32 v85, s9, v85, v74
	v_add_co_ci_u32_e64 v86, null, 0, v86, s9
	global_load_dwordx4 v[85:88], v[85:86], off offset:192
	s_waitcnt vmcnt(0)
	ds_write_b128 v69, v[85:88]
.LBB30_25:                              ;   in Loop: Header=BB30_11 Depth=1
	s_or_b32 exec_lo, exec_lo, s30
	s_and_saveexec_b32 s30, s3
	s_cbranch_execz .LBB30_27
; %bb.26:                               ;   in Loop: Header=BB30_11 Depth=1
	v_add_co_u32 v85, s9, s24, v50
	v_add_co_ci_u32_e64 v86, null, s25, v51, s9
	v_add_co_u32 v85, s9, v85, v72
	v_add_co_ci_u32_e64 v86, null, 0, v86, s9
	global_load_dwordx4 v[85:88], v[85:86], off offset:128
	s_waitcnt vmcnt(0)
	ds_write_b128 v70, v[85:88]
.LBB30_27:                              ;   in Loop: Header=BB30_11 Depth=1
	s_or_b32 exec_lo, exec_lo, s30
	v_add_co_u32 v85, s9, s24, v52
	v_add_co_ci_u32_e64 v86, null, s25, v53, s9
	v_mul_f32_e32 v89, 0x3fb8aa3b, v80
	v_add_co_u32 v85, s9, v85, v73
	v_add_co_ci_u32_e64 v86, null, 0, v86, s9
	v_fma_f32 v90, 0x3fb8aa3b, v80, -v89
	v_rndne_f32_e32 v91, v89
	global_load_dwordx4 v[85:88], v[85:86], off
	v_fmac_f32_e32 v90, 0x32a5705f, v80
	v_sub_f32_e32 v80, v89, v91
	v_cvt_i32_f32_e32 v89, v91
	v_add_f32_e32 v80, v80, v90
	v_exp_f32_e32 v80, v80
	v_ldexp_f32 v80, v80, v89
	v_mul_u32_u24_sdwa v89, v25, v75 dst_sel:DWORD dst_unused:UNUSED_PAD src0_sel:WORD_0 src1_sel:DWORD
	v_mul_u32_u24_sdwa v25, v25, v75 dst_sel:DWORD dst_unused:UNUSED_PAD src0_sel:WORD_1 src1_sel:DWORD
	v_cndmask_b32_e64 v80, 0, v80, s7
	v_pk_mul_f16 v37, v37, v89
	v_pk_mul_f16 v38, v38, v89
	v_cndmask_b32_e64 v80, 0x7f800000, v80, s8
	v_cvt_f16_f32_e32 v90, v80
	v_fmac_f32_e32 v83, v76, v80
	v_mul_u32_u24_sdwa v90, v90, v75 dst_sel:DWORD dst_unused:UNUSED_PAD src0_sel:WORD_0 src1_sel:DWORD
	v_pk_fma_f16 v37, v60, v90, v37
	v_pk_fma_f16 v38, v67, v90, v38
	v_mul_u32_u24_sdwa v60, v26, v75 dst_sel:DWORD dst_unused:UNUSED_PAD src0_sel:WORD_0 src1_sel:DWORD
	v_mul_u32_u24_sdwa v26, v26, v75 dst_sel:DWORD dst_unused:UNUSED_PAD src0_sel:WORD_1 src1_sel:DWORD
	v_pk_fma_f16 v37, v39, v25, v37
	v_pk_fma_f16 v25, v40, v25, v38
	v_pk_fma_f16 v33, v33, v60, v37
	v_pk_fma_f16 v25, v34, v60, v25
	v_mul_u32_u24_sdwa v37, v27, v75 dst_sel:DWORD dst_unused:UNUSED_PAD src0_sel:WORD_0 src1_sel:DWORD
	v_mul_u32_u24_sdwa v27, v27, v75 dst_sel:DWORD dst_unused:UNUSED_PAD src0_sel:WORD_1 src1_sel:DWORD
	v_pk_fma_f16 v33, v35, v26, v33
	v_pk_fma_f16 v25, v36, v26, v25
	;; [unrolled: 6-line block ×4, first 2 shown]
	v_pk_fma_f16 v17, v17, v26, v21
	v_pk_fma_f16 v18, v18, v26, v22
	v_mul_u32_u24_sdwa v21, v6, v75 dst_sel:DWORD dst_unused:UNUSED_PAD src0_sel:WORD_0 src1_sel:DWORD
	v_mul_u32_u24_sdwa v6, v6, v75 dst_sel:DWORD dst_unused:UNUSED_PAD src0_sel:WORD_1 src1_sel:DWORD
	v_mul_u32_u24_sdwa v22, v7, v75 dst_sel:DWORD dst_unused:UNUSED_PAD src0_sel:WORD_0 src1_sel:DWORD
	v_pk_fma_f16 v17, v19, v5, v17
	v_pk_fma_f16 v5, v20, v5, v18
	;; [unrolled: 1-line block ×4, first 2 shown]
	v_mul_u32_u24_sdwa v21, v8, v75 dst_sel:DWORD dst_unused:UNUSED_PAD src0_sel:WORD_1 src1_sel:DWORD
	v_pk_fma_f16 v13, v15, v6, v13
	v_pk_fma_f16 v5, v16, v6, v5
	v_mul_u32_u24_sdwa v6, v7, v75 dst_sel:DWORD dst_unused:UNUSED_PAD src0_sel:WORD_1 src1_sel:DWORD
	v_pk_fma_f16 v7, v9, v22, v13
	v_pk_fma_f16 v5, v10, v22, v5
	v_mul_u32_u24_sdwa v9, v8, v75 dst_sel:DWORD dst_unused:UNUSED_PAD src0_sel:WORD_0 src1_sel:DWORD
	v_pk_fma_f16 v7, v11, v6, v7
	v_pk_fma_f16 v10, v12, v6, v5
	;; [unrolled: 1-line block ×6, first 2 shown]
	s_waitcnt vmcnt(0)
	ds_write_b128 v71, v[85:88]
	s_waitcnt lgkmcnt(0)
	s_barrier
	buffer_gl0_inv
	ds_read_b128 v[17:20], v66 offset:32
	ds_read_b128 v[9:12], v66 offset:48
	ds_read2_b64 v[13:16], v58 offset1:28
	ds_read2_b64 v[5:8], v58 offset0:56 offset1:84
	ds_read2_b64 v[1:4], v58 offset0:112 offset1:140
	s_waitcnt lgkmcnt(4)
	v_mul_u32_u24_sdwa v23, v17, v75 dst_sel:DWORD dst_unused:UNUSED_PAD src0_sel:WORD_0 src1_sel:DWORD
	v_mul_u32_u24_sdwa v17, v17, v75 dst_sel:DWORD dst_unused:UNUSED_PAD src0_sel:WORD_1 src1_sel:DWORD
	s_waitcnt lgkmcnt(2)
	v_pk_fma_f16 v13, v13, v23, v22
	v_pk_fma_f16 v14, v14, v23, v21
	v_mul_u32_u24_sdwa v21, v18, v75 dst_sel:DWORD dst_unused:UNUSED_PAD src0_sel:WORD_0 src1_sel:DWORD
	v_mul_u32_u24_sdwa v18, v18, v75 dst_sel:DWORD dst_unused:UNUSED_PAD src0_sel:WORD_1 src1_sel:DWORD
	v_pk_fma_f16 v22, v15, v17, v13
	v_pk_fma_f16 v17, v16, v17, v14
	ds_read2_b64 v[13:16], v58 offset0:168 offset1:196
	s_waitcnt lgkmcnt(2)
	v_pk_fma_f16 v5, v5, v21, v22
	v_pk_fma_f16 v6, v6, v21, v17
	v_mul_u32_u24_sdwa v17, v19, v75 dst_sel:DWORD dst_unused:UNUSED_PAD src0_sel:WORD_0 src1_sel:DWORD
	v_mul_u32_u24_sdwa v19, v19, v75 dst_sel:DWORD dst_unused:UNUSED_PAD src0_sel:WORD_1 src1_sel:DWORD
	v_pk_fma_f16 v21, v7, v18, v5
	v_pk_fma_f16 v18, v8, v18, v6
	ds_read2_b64 v[5:8], v58 offset0:224 offset1:252
	s_waitcnt lgkmcnt(2)
	v_pk_fma_f16 v1, v1, v17, v21
	v_pk_fma_f16 v2, v2, v17, v18
	v_mul_u32_u24_sdwa v17, v20, v75 dst_sel:DWORD dst_unused:UNUSED_PAD src0_sel:WORD_0 src1_sel:DWORD
	v_mul_u32_u24_sdwa v20, v20, v75 dst_sel:DWORD dst_unused:UNUSED_PAD src0_sel:WORD_1 src1_sel:DWORD
	v_mul_u32_u24_sdwa v21, v10, v75 dst_sel:DWORD dst_unused:UNUSED_PAD src0_sel:WORD_0 src1_sel:DWORD
	v_pk_fma_f16 v18, v3, v19, v1
	v_pk_fma_f16 v19, v4, v19, v2
	ds_read2_b64 v[1:4], v84 offset0:24 offset1:52
	s_waitcnt lgkmcnt(2)
	v_pk_fma_f16 v13, v13, v17, v18
	v_pk_fma_f16 v14, v14, v17, v19
	v_mul_u32_u24_sdwa v17, v9, v75 dst_sel:DWORD dst_unused:UNUSED_PAD src0_sel:WORD_0 src1_sel:DWORD
	v_mul_u32_u24_sdwa v9, v9, v75 dst_sel:DWORD dst_unused:UNUSED_PAD src0_sel:WORD_1 src1_sel:DWORD
	v_pk_fma_f16 v18, v15, v20, v13
	v_pk_fma_f16 v19, v16, v20, v14
	ds_read2_b64 v[13:16], v84 offset0:80 offset1:108
	s_waitcnt lgkmcnt(2)
	v_pk_fma_f16 v5, v5, v17, v18
	v_pk_fma_f16 v6, v6, v17, v19
	ds_read2_b64 v[17:20], v84 offset0:136 offset1:164
	s_waitcnt lgkmcnt(0)
	s_barrier
	v_pk_fma_f16 v5, v7, v9, v5
	v_pk_fma_f16 v6, v8, v9, v6
	v_mul_u32_u24_sdwa v7, v10, v75 dst_sel:DWORD dst_unused:UNUSED_PAD src0_sel:WORD_1 src1_sel:DWORD
	buffer_gl0_inv
	s_load_dword s7, s[10:11], 0x4
	v_pk_fma_f16 v1, v1, v21, v5
	v_pk_fma_f16 v2, v2, v21, v6
	v_mul_u32_u24_sdwa v5, v11, v75 dst_sel:DWORD dst_unused:UNUSED_PAD src0_sel:WORD_0 src1_sel:DWORD
	v_pk_fma_f16 v1, v3, v7, v1
	v_pk_fma_f16 v2, v4, v7, v2
	v_mul_u32_u24_sdwa v3, v11, v75 dst_sel:DWORD dst_unused:UNUSED_PAD src0_sel:WORD_1 src1_sel:DWORD
	v_mul_u32_u24_sdwa v4, v12, v75 dst_sel:DWORD dst_unused:UNUSED_PAD src0_sel:WORD_0 src1_sel:DWORD
	v_pk_fma_f16 v1, v13, v5, v1
	v_pk_fma_f16 v2, v14, v5, v2
	;; [unrolled: 1-line block ×4, first 2 shown]
	v_mul_u32_u24_sdwa v3, v12, v75 dst_sel:DWORD dst_unused:UNUSED_PAD src0_sel:WORD_1 src1_sel:DWORD
	s_waitcnt lgkmcnt(0)
	s_lshl_b32 s7, s7, 5
	v_pk_fma_f16 v1, v17, v4, v1
	v_pk_fma_f16 v2, v18, v4, v2
	s_add_i32 s15, s7, s15
	s_cmp_ge_i32 s15, s36
	v_pk_fma_f16 v60, v19, v3, v1
	v_pk_fma_f16 v67, v20, v3, v2
	s_cbranch_scc1 .LBB30_29
; %bb.28:                               ;   in Loop: Header=BB30_11 Depth=1
	v_mov_b32_e32 v80, v54
	v_mov_b32_e32 v76, v83
	s_branch .LBB30_11
.LBB30_29:
	v_mov_b32_e32 v2, v59
.LBB30_30:
	v_cmp_lt_i32_e32 vcc_lo, v77, v61
	s_cmp_lg_u64 s[16:17], 0
	s_cselect_b32 s1, -1, 0
	s_cmp_eq_u32 s34, 0
	v_cndmask_b32_e32 v1, v2, v77, vcc_lo
	v_cmp_lt_i32_e32 vcc_lo, v78, v61
	s_cselect_b32 s2, -1, 0
	s_and_b32 s1, s2, s1
	v_lshlrev_b32_e32 v1, 2, v1
	v_cndmask_b32_e32 v3, v2, v78, vcc_lo
	v_cmp_lt_i32_e32 vcc_lo, v79, v61
	ds_bpermute_b32 v1, v1, v83
	v_lshlrev_b32_e32 v3, 2, v3
	v_cndmask_b32_e32 v4, v2, v79, vcc_lo
	v_cmp_lt_i32_e32 vcc_lo, v81, v61
	v_lshlrev_b32_e32 v4, 2, v4
	s_waitcnt lgkmcnt(0)
	v_add_f32_e32 v1, v83, v1
	ds_bpermute_b32 v3, v3, v1
	s_waitcnt lgkmcnt(0)
	v_add_f32_e32 v1, v1, v3
	ds_bpermute_b32 v3, v4, v1
	v_cndmask_b32_e32 v4, v2, v81, vcc_lo
	v_cmp_lt_i32_e32 vcc_lo, v82, v61
	v_lshlrev_b32_e32 v4, 2, v4
	v_cndmask_b32_e32 v2, v2, v82, vcc_lo
	s_and_b32 vcc_lo, exec_lo, s1
	v_lshlrev_b32_e32 v2, 2, v2
	s_waitcnt lgkmcnt(0)
	v_add_f32_e32 v1, v1, v3
	ds_bpermute_b32 v3, v4, v1
	s_waitcnt lgkmcnt(0)
	v_add_f32_e32 v3, v1, v3
	v_add_nc_u32_e32 v1, s14, v55
	ds_bpermute_b32 v2, v2, v3
	s_waitcnt lgkmcnt(0)
	v_add_f32_e32 v55, v3, v2
	s_cbranch_vccz .LBB30_32
; %bb.31:
	v_ashrrev_i32_e32 v2, 31, v1
	v_lshlrev_b64 v[2:3], 2, v[1:2]
	v_add_co_u32 v2, vcc_lo, s16, v2
	v_add_co_ci_u32_e64 v3, null, s17, v3, vcc_lo
	global_load_dword v2, v[2:3], off
	v_max_f32_e32 v3, v54, v54
	s_waitcnt vmcnt(0)
	v_max_f32_e32 v4, v2, v2
	v_max_f32_e32 v3, v3, v4
	v_sub_f32_e32 v4, v54, v3
	v_sub_f32_e32 v2, v2, v3
	v_mov_b32_e32 v54, v3
	v_mul_f32_e32 v5, 0x3fb8aa3b, v4
	v_mul_f32_e32 v6, 0x3fb8aa3b, v2
	v_cmp_ngt_f32_e32 vcc_lo, 0xc2ce8ed0, v4
	v_fma_f32 v7, 0x3fb8aa3b, v4, -v5
	v_rndne_f32_e32 v8, v5
	v_fma_f32 v9, 0x3fb8aa3b, v2, -v6
	v_rndne_f32_e32 v10, v6
	v_fmac_f32_e32 v7, 0x32a5705f, v4
	v_sub_f32_e32 v5, v5, v8
	v_fmac_f32_e32 v9, 0x32a5705f, v2
	v_sub_f32_e32 v6, v6, v10
	v_add_f32_e32 v5, v5, v7
	v_cvt_i32_f32_e32 v7, v8
	v_add_f32_e32 v6, v6, v9
	v_cvt_i32_f32_e32 v8, v10
	v_exp_f32_e32 v5, v5
	v_exp_f32_e32 v6, v6
	v_ldexp_f32 v5, v5, v7
	v_ldexp_f32 v6, v6, v8
	v_cndmask_b32_e32 v5, 0, v5, vcc_lo
	v_cmp_ngt_f32_e32 vcc_lo, 0xc2ce8ed0, v2
	v_cndmask_b32_e32 v6, 0, v6, vcc_lo
	v_cmp_nlt_f32_e32 vcc_lo, 0x42b17218, v4
	v_cndmask_b32_e32 v4, 0x7f800000, v5, vcc_lo
	v_cmp_nlt_f32_e32 vcc_lo, 0x42b17218, v2
	v_mov_b32_e32 v5, 0x10001
	v_cndmask_b32_e32 v2, 0x7f800000, v6, vcc_lo
	v_cvt_f16_f32_e32 v6, v4
	v_fmac_f32_e32 v2, v55, v4
	v_mul_u32_u24_sdwa v4, v6, v5 dst_sel:DWORD dst_unused:UNUSED_PAD src0_sel:WORD_0 src1_sel:DWORD
	v_mov_b32_e32 v55, v2
	v_pk_mul_f16 v60, v60, v4
	v_pk_mul_f16 v67, v67, v4
.LBB30_32:
	s_load_dword s1, s[4:5], 0xd4
	s_mul_i32 s33, s33, s26
	v_add3_u32 v2, s33, s6, v56
	v_mad_u64_u32 v[1:2], null, v2, s27, v[1:2]
	s_waitcnt lgkmcnt(0)
	v_mad_u64_u32 v[1:2], null, s1, v1, s[34:35]
	s_cmp_lg_u32 s1, 1
	s_cselect_b32 s1, -1, 0
	s_and_saveexec_b32 s2, s0
	s_cbranch_execz .LBB30_34
; %bb.33:
	v_div_scale_f32 v2, null, v55, v55, 1.0
	v_div_scale_f32 v5, vcc_lo, 1.0, v55, 1.0
	v_mul_lo_u32 v7, 0x70, v1
	v_rcp_f32_e32 v4, v2
	v_cvt_f32_f16_e32 v8, v67
	v_cvt_f32_f16_sdwa v9, v60 dst_sel:DWORD dst_unused:UNUSED_PAD src0_sel:WORD_1
	v_cvt_f32_f16_e32 v10, v60
	v_fma_f32 v3, -v2, v4, 1.0
	v_fmac_f32_e32 v4, v3, v4
	v_mul_f32_e32 v6, v5, v4
	v_fma_f32 v3, -v2, v6, v5
	v_fmac_f32_e32 v6, v3, v4
	v_mov_b32_e32 v3, 0
	v_fma_f32 v2, -v2, v6, v5
	v_cvt_f32_f16_sdwa v5, v67 dst_sel:DWORD dst_unused:UNUSED_PAD src0_sel:WORD_1
	v_div_fmas_f32 v4, v2, v4, v6
	v_lshl_add_u32 v2, v0, 2, v7
	v_div_fixup_f32 v4, v4, v55, 1.0
	v_lshlrev_b64 v[2:3], 2, v[2:3]
	v_cndmask_b32_e64 v11, v4, 1.0, s1
	v_add_co_u32 v6, vcc_lo, s20, v2
	v_add_co_ci_u32_e64 v7, null, s21, v3, vcc_lo
	v_mul_f32_e32 v5, v11, v5
	v_mul_f32_e32 v4, v11, v8
	;; [unrolled: 1-line block ×4, first 2 shown]
	global_store_dwordx4 v[6:7], v[2:5], off
.LBB30_34:
	s_or_b32 exec_lo, exec_lo, s2
	v_cmp_eq_u32_e32 vcc_lo, 0, v0
	s_and_b32 s0, vcc_lo, s1
	s_and_saveexec_b32 s1, s0
	s_cbranch_execz .LBB30_36
; %bb.35:
	v_ashrrev_i32_e32 v2, 31, v1
	v_lshlrev_b64 v[0:1], 3, v[1:2]
	v_add_co_u32 v0, vcc_lo, s22, v0
	v_add_co_ci_u32_e64 v1, null, s23, v1, vcc_lo
	global_store_dwordx2 v[0:1], v[54:55], off
.LBB30_36:
	s_endpgm
	.section	.rodata,"a",@progbits
	.p2align	6, 0x0
	.amdhsa_kernel _ZL15flash_attn_tileILi112ELi112ELi1ELi4ELb0EEvPKcS1_S1_S1_S1_PKiPfP15HIP_vector_typeIfLj2EEffffjfiS5_IjLj3EEiiiiiiiiiiiliiliiiiil
		.amdhsa_group_segment_fixed_size 5312
		.amdhsa_private_segment_fixed_size 0
		.amdhsa_kernarg_size 464
		.amdhsa_user_sgpr_count 6
		.amdhsa_user_sgpr_private_segment_buffer 1
		.amdhsa_user_sgpr_dispatch_ptr 0
		.amdhsa_user_sgpr_queue_ptr 0
		.amdhsa_user_sgpr_kernarg_segment_ptr 1
		.amdhsa_user_sgpr_dispatch_id 0
		.amdhsa_user_sgpr_flat_scratch_init 0
		.amdhsa_user_sgpr_private_segment_size 0
		.amdhsa_wavefront_size32 1
		.amdhsa_uses_dynamic_stack 0
		.amdhsa_system_sgpr_private_segment_wavefront_offset 0
		.amdhsa_system_sgpr_workgroup_id_x 1
		.amdhsa_system_sgpr_workgroup_id_y 1
		.amdhsa_system_sgpr_workgroup_id_z 1
		.amdhsa_system_sgpr_workgroup_info 0
		.amdhsa_system_vgpr_workitem_id 1
		.amdhsa_next_free_vgpr 92
		.amdhsa_next_free_sgpr 44
		.amdhsa_reserve_vcc 1
		.amdhsa_reserve_flat_scratch 0
		.amdhsa_float_round_mode_32 0
		.amdhsa_float_round_mode_16_64 0
		.amdhsa_float_denorm_mode_32 3
		.amdhsa_float_denorm_mode_16_64 3
		.amdhsa_dx10_clamp 1
		.amdhsa_ieee_mode 1
		.amdhsa_fp16_overflow 0
		.amdhsa_workgroup_processor_mode 1
		.amdhsa_memory_ordered 1
		.amdhsa_forward_progress 1
		.amdhsa_shared_vgpr_count 0
		.amdhsa_exception_fp_ieee_invalid_op 0
		.amdhsa_exception_fp_denorm_src 0
		.amdhsa_exception_fp_ieee_div_zero 0
		.amdhsa_exception_fp_ieee_overflow 0
		.amdhsa_exception_fp_ieee_underflow 0
		.amdhsa_exception_fp_ieee_inexact 0
		.amdhsa_exception_int_div_zero 0
	.end_amdhsa_kernel
	.section	.text._ZL15flash_attn_tileILi112ELi112ELi1ELi4ELb0EEvPKcS1_S1_S1_S1_PKiPfP15HIP_vector_typeIfLj2EEffffjfiS5_IjLj3EEiiiiiiiiiiiliiliiiiil,"axG",@progbits,_ZL15flash_attn_tileILi112ELi112ELi1ELi4ELb0EEvPKcS1_S1_S1_S1_PKiPfP15HIP_vector_typeIfLj2EEffffjfiS5_IjLj3EEiiiiiiiiiiiliiliiiiil,comdat
.Lfunc_end30:
	.size	_ZL15flash_attn_tileILi112ELi112ELi1ELi4ELb0EEvPKcS1_S1_S1_S1_PKiPfP15HIP_vector_typeIfLj2EEffffjfiS5_IjLj3EEiiiiiiiiiiiliiliiiiil, .Lfunc_end30-_ZL15flash_attn_tileILi112ELi112ELi1ELi4ELb0EEvPKcS1_S1_S1_S1_PKiPfP15HIP_vector_typeIfLj2EEffffjfiS5_IjLj3EEiiiiiiiiiiiliiliiiiil
                                        ; -- End function
	.set _ZL15flash_attn_tileILi112ELi112ELi1ELi4ELb0EEvPKcS1_S1_S1_S1_PKiPfP15HIP_vector_typeIfLj2EEffffjfiS5_IjLj3EEiiiiiiiiiiiliiliiiiil.num_vgpr, 92
	.set _ZL15flash_attn_tileILi112ELi112ELi1ELi4ELb0EEvPKcS1_S1_S1_S1_PKiPfP15HIP_vector_typeIfLj2EEffffjfiS5_IjLj3EEiiiiiiiiiiiliiliiiiil.num_agpr, 0
	.set _ZL15flash_attn_tileILi112ELi112ELi1ELi4ELb0EEvPKcS1_S1_S1_S1_PKiPfP15HIP_vector_typeIfLj2EEffffjfiS5_IjLj3EEiiiiiiiiiiiliiliiiiil.numbered_sgpr, 44
	.set _ZL15flash_attn_tileILi112ELi112ELi1ELi4ELb0EEvPKcS1_S1_S1_S1_PKiPfP15HIP_vector_typeIfLj2EEffffjfiS5_IjLj3EEiiiiiiiiiiiliiliiiiil.num_named_barrier, 0
	.set _ZL15flash_attn_tileILi112ELi112ELi1ELi4ELb0EEvPKcS1_S1_S1_S1_PKiPfP15HIP_vector_typeIfLj2EEffffjfiS5_IjLj3EEiiiiiiiiiiiliiliiiiil.private_seg_size, 0
	.set _ZL15flash_attn_tileILi112ELi112ELi1ELi4ELb0EEvPKcS1_S1_S1_S1_PKiPfP15HIP_vector_typeIfLj2EEffffjfiS5_IjLj3EEiiiiiiiiiiiliiliiiiil.uses_vcc, 1
	.set _ZL15flash_attn_tileILi112ELi112ELi1ELi4ELb0EEvPKcS1_S1_S1_S1_PKiPfP15HIP_vector_typeIfLj2EEffffjfiS5_IjLj3EEiiiiiiiiiiiliiliiiiil.uses_flat_scratch, 0
	.set _ZL15flash_attn_tileILi112ELi112ELi1ELi4ELb0EEvPKcS1_S1_S1_S1_PKiPfP15HIP_vector_typeIfLj2EEffffjfiS5_IjLj3EEiiiiiiiiiiiliiliiiiil.has_dyn_sized_stack, 0
	.set _ZL15flash_attn_tileILi112ELi112ELi1ELi4ELb0EEvPKcS1_S1_S1_S1_PKiPfP15HIP_vector_typeIfLj2EEffffjfiS5_IjLj3EEiiiiiiiiiiiliiliiiiil.has_recursion, 0
	.set _ZL15flash_attn_tileILi112ELi112ELi1ELi4ELb0EEvPKcS1_S1_S1_S1_PKiPfP15HIP_vector_typeIfLj2EEffffjfiS5_IjLj3EEiiiiiiiiiiiliiliiiiil.has_indirect_call, 0
	.section	.AMDGPU.csdata,"",@progbits
; Kernel info:
; codeLenInByte = 6152
; TotalNumSgprs: 46
; NumVgprs: 92
; ScratchSize: 0
; MemoryBound: 0
; FloatMode: 240
; IeeeMode: 1
; LDSByteSize: 5312 bytes/workgroup (compile time only)
; SGPRBlocks: 0
; VGPRBlocks: 11
; NumSGPRsForWavesPerEU: 46
; NumVGPRsForWavesPerEU: 92
; Occupancy: 10
; WaveLimiterHint : 1
; COMPUTE_PGM_RSRC2:SCRATCH_EN: 0
; COMPUTE_PGM_RSRC2:USER_SGPR: 6
; COMPUTE_PGM_RSRC2:TRAP_HANDLER: 0
; COMPUTE_PGM_RSRC2:TGID_X_EN: 1
; COMPUTE_PGM_RSRC2:TGID_Y_EN: 1
; COMPUTE_PGM_RSRC2:TGID_Z_EN: 1
; COMPUTE_PGM_RSRC2:TIDIG_COMP_CNT: 1
	.section	.text._ZL33flash_attn_stream_k_fixup_uniformILi112ELi1ELi4EEvPfPK15HIP_vector_typeIfLj2EEiiiiiiS1_IjLj3EES5_S5_,"axG",@progbits,_ZL33flash_attn_stream_k_fixup_uniformILi112ELi1ELi4EEvPfPK15HIP_vector_typeIfLj2EEiiiiiiS1_IjLj3EES5_S5_,comdat
	.globl	_ZL33flash_attn_stream_k_fixup_uniformILi112ELi1ELi4EEvPfPK15HIP_vector_typeIfLj2EEiiiiiiS1_IjLj3EES5_S5_ ; -- Begin function _ZL33flash_attn_stream_k_fixup_uniformILi112ELi1ELi4EEvPfPK15HIP_vector_typeIfLj2EEiiiiiiS1_IjLj3EES5_S5_
	.p2align	8
	.type	_ZL33flash_attn_stream_k_fixup_uniformILi112ELi1ELi4EEvPfPK15HIP_vector_typeIfLj2EEiiiiiiS1_IjLj3EES5_S5_,@function
_ZL33flash_attn_stream_k_fixup_uniformILi112ELi1ELi4EEvPfPK15HIP_vector_typeIfLj2EEiiiiiiS1_IjLj3EES5_S5_: ; @_ZL33flash_attn_stream_k_fixup_uniformILi112ELi1ELi4EEvPfPK15HIP_vector_typeIfLj2EEiiiiiiS1_IjLj3EES5_S5_
; %bb.0:
	s_clause 0x1
	s_load_dwordx8 s[12:19], s[4:5], 0x1c
	s_load_dwordx4 s[20:23], s[4:5], 0x3c
	s_waitcnt lgkmcnt(0)
	s_mul_hi_u32 s0, s15, s6
	s_add_i32 s0, s6, s0
	s_lshr_b32 s2, s0, s16
	s_mul_i32 s0, s2, s17
	s_sub_i32 s9, s6, s0
	s_load_dwordx2 s[0:1], s[4:5], 0x10
	s_mul_hi_u32 s3, s9, s18
	s_add_i32 s3, s9, s3
	s_lshr_b32 s3, s3, s19
	s_mul_i32 s10, s3, s20
	s_sub_i32 s9, s9, s10
	s_mul_hi_u32 s10, s9, s21
	s_add_i32 s10, s9, s10
	s_lshr_b32 s10, s10, s22
	s_mul_i32 s11, s10, s23
	s_lshl_b32 s10, s10, 2
	s_sub_i32 s9, s9, s11
	s_add_i32 s9, s9, s7
	s_waitcnt lgkmcnt(0)
	s_cmp_lt_i32 s9, s0
	s_cselect_b32 s11, -1, 0
	s_add_i32 s10, s10, s8
	s_cmp_lt_i32 s10, s13
	s_cselect_b32 s15, -1, 0
	s_and_b32 s11, s11, s15
	s_andn2_b32 vcc_lo, exec_lo, s11
	s_cbranch_vccnz .LBB31_6
; %bb.1:
	s_mul_i32 s2, s2, s0
	s_mul_i32 s3, s3, s13
	s_add_i32 s0, s9, s2
	s_add_i32 s9, s10, s3
	s_mul_i32 s10, s0, s1
	s_load_dwordx4 s[0:3], s[4:5], 0x0
	s_add_i32 s9, s9, s10
	s_mul_i32 s4, s14, s6
	v_mad_u64_u32 v[1:2], null, 0x70, s9, v[0:1]
	s_add_i32 s10, s4, s14
	v_ashrrev_i32_e32 v2, 31, v1
	v_lshlrev_b64 v[1:2], 2, v[1:2]
	s_waitcnt lgkmcnt(0)
	v_add_co_u32 v1, vcc_lo, s0, v1
	v_add_co_ci_u32_e64 v2, null, s1, v2, vcc_lo
	s_add_i32 s0, s7, s10
	s_lshl_b32 s0, s0, 2
	global_load_dword v5, v[1:2], off
	s_add_i32 s0, s0, s8
	s_add_i32 s0, s0, -4
	s_ashr_i32 s1, s0, 31
	s_lshl_b64 s[0:1], s[0:1], 3
	s_add_u32 s0, s2, s0
	s_addc_u32 s1, s3, s1
	s_add_i32 s5, s10, -2
	s_load_dword s11, s[0:1], 0x4
	s_cmp_lt_i32 s5, s4
	s_cbranch_scc1 .LBB31_4
; %bb.2:
	s_load_dword s13, s[0:1], 0x0
	s_lshl_b32 s16, s12, 4
	s_waitcnt lgkmcnt(0)
	v_mov_b32_e32 v6, s11
	s_ashr_i32 s17, s16, 31
	s_lshl_b64 s[0:1], s[16:17], 2
	s_add_u32 s5, s2, s0
	s_addc_u32 s9, s3, s1
	s_add_i32 s6, s6, 1
	s_mul_i32 s1, s7, 0x1c0
	s_mul_i32 s0, s14, s6
	;; [unrolled: 1-line block ×3, first 2 shown]
	s_mulk_i32 s0, 0x1c0
	s_add_i32 s1, s6, s1
	s_add_i32 s6, s7, s12
	;; [unrolled: 1-line block ×4, first 2 shown]
	v_add3_u32 v3, s1, v0, 0xfffffc80
	s_lshl_b32 s0, s6, 2
	v_mov_b32_e32 v0, s13
	s_add_i32 s0, s8, s0
	s_add_i32 s6, s10, -1
	s_add_i32 s0, s0, -8
.LBB31_3:                               ; =>This Inner Loop Header: Depth=1
	v_ashrrev_i32_e32 v4, 31, v3
	s_ashr_i32 s1, s0, 31
	s_lshl_b64 s[10:11], s[0:1], 3
	s_add_u32 s10, s2, s10
	v_lshlrev_b64 v[7:8], 2, v[3:4]
	s_addc_u32 s11, s3, s11
	v_add_nc_u32_e32 v3, 0xfffffe40, v3
	s_add_i32 s6, s6, -1
	s_add_i32 s0, s0, -4
	s_cmp_le_i32 s6, s4
	v_add_co_u32 v7, vcc_lo, s5, v7
	v_add_co_ci_u32_e64 v8, null, s9, v8, vcc_lo
	s_load_dwordx2 s[10:11], s[10:11], 0x0
	global_load_dword v4, v[7:8], off
	v_max_f32_e32 v7, v0, v0
	s_waitcnt lgkmcnt(0)
	v_max_f32_e64 v8, s10, s10
	v_max_f32_e32 v7, v7, v8
	v_sub_f32_e32 v8, s10, v7
	v_sub_f32_e32 v0, v0, v7
	v_mul_f32_e32 v9, 0x3fb8aa3b, v8
	v_mul_f32_e32 v12, 0x3fb8aa3b, v0
	v_cmp_ngt_f32_e32 vcc_lo, 0xc2ce8ed0, v8
	v_fma_f32 v10, 0x3fb8aa3b, v8, -v9
	v_rndne_f32_e32 v11, v9
	v_fma_f32 v13, 0x3fb8aa3b, v0, -v12
	v_rndne_f32_e32 v14, v12
	v_fmac_f32_e32 v10, 0x32a5705f, v8
	v_sub_f32_e32 v9, v9, v11
	v_fmac_f32_e32 v13, 0x32a5705f, v0
	v_cvt_i32_f32_e32 v11, v11
	v_add_f32_e32 v9, v9, v10
	v_sub_f32_e32 v10, v12, v14
	v_exp_f32_e32 v9, v9
	v_add_f32_e32 v10, v10, v13
	v_exp_f32_e32 v10, v10
	v_ldexp_f32 v9, v9, v11
	v_cvt_i32_f32_e32 v11, v14
	v_cndmask_b32_e32 v9, 0, v9, vcc_lo
	v_cmp_nlt_f32_e32 vcc_lo, 0x42b17218, v8
	v_ldexp_f32 v10, v10, v11
	v_mov_b32_e32 v11, v6
	v_cndmask_b32_e32 v9, 0x7f800000, v9, vcc_lo
	v_cmp_ngt_f32_e32 vcc_lo, 0xc2ce8ed0, v0
	v_cndmask_b32_e32 v10, 0, v10, vcc_lo
	v_cmp_le_f32_e32 vcc_lo, 0xc1a00000, v8
	v_cndmask_b32_e32 v8, 0, v9, vcc_lo
	v_cmp_nlt_f32_e32 vcc_lo, 0x42b17218, v0
	s_waitcnt vmcnt(1)
	v_mov_b32_e32 v9, v5
	v_cndmask_b32_e32 v5, 0x7f800000, v10, vcc_lo
	v_mul_f32_e32 v10, s11, v8
	v_cmp_le_f32_e32 vcc_lo, 0xc1a00000, v0
	v_mov_b32_e32 v0, v7
	v_mov_b32_e32 v6, v10
	v_cndmask_b32_e32 v12, 0, v5, vcc_lo
	v_fmac_f32_e32 v6, v11, v12
	s_waitcnt vmcnt(0)
	v_mul_f32_e32 v5, v4, v8
	v_fmac_f32_e32 v5, v9, v12
	s_cbranch_scc0 .LBB31_3
	s_branch .LBB31_5
.LBB31_4:
	s_waitcnt lgkmcnt(0)
	v_mov_b32_e32 v6, s11
.LBB31_5:
	s_waitcnt vmcnt(0)
	v_div_scale_f32 v0, null, v6, v6, v5
	v_rcp_f32_e32 v3, v0
	v_fma_f32 v4, -v0, v3, 1.0
	v_fmac_f32_e32 v3, v4, v3
	v_div_scale_f32 v4, vcc_lo, v5, v6, v5
	v_mul_f32_e32 v7, v4, v3
	v_fma_f32 v8, -v0, v7, v4
	v_fmac_f32_e32 v7, v8, v3
	v_fma_f32 v0, -v0, v7, v4
	v_div_fmas_f32 v0, v0, v3, v7
	v_div_fixup_f32 v0, v0, v6, v5
	global_store_dword v[1:2], v0, off
.LBB31_6:
	s_endpgm
	.section	.rodata,"a",@progbits
	.p2align	6, 0x0
	.amdhsa_kernel _ZL33flash_attn_stream_k_fixup_uniformILi112ELi1ELi4EEvPfPK15HIP_vector_typeIfLj2EEiiiiiiS1_IjLj3EES5_S5_
		.amdhsa_group_segment_fixed_size 0
		.amdhsa_private_segment_fixed_size 0
		.amdhsa_kernarg_size 76
		.amdhsa_user_sgpr_count 6
		.amdhsa_user_sgpr_private_segment_buffer 1
		.amdhsa_user_sgpr_dispatch_ptr 0
		.amdhsa_user_sgpr_queue_ptr 0
		.amdhsa_user_sgpr_kernarg_segment_ptr 1
		.amdhsa_user_sgpr_dispatch_id 0
		.amdhsa_user_sgpr_flat_scratch_init 0
		.amdhsa_user_sgpr_private_segment_size 0
		.amdhsa_wavefront_size32 1
		.amdhsa_uses_dynamic_stack 0
		.amdhsa_system_sgpr_private_segment_wavefront_offset 0
		.amdhsa_system_sgpr_workgroup_id_x 1
		.amdhsa_system_sgpr_workgroup_id_y 1
		.amdhsa_system_sgpr_workgroup_id_z 1
		.amdhsa_system_sgpr_workgroup_info 0
		.amdhsa_system_vgpr_workitem_id 0
		.amdhsa_next_free_vgpr 15
		.amdhsa_next_free_sgpr 24
		.amdhsa_reserve_vcc 1
		.amdhsa_reserve_flat_scratch 0
		.amdhsa_float_round_mode_32 0
		.amdhsa_float_round_mode_16_64 0
		.amdhsa_float_denorm_mode_32 3
		.amdhsa_float_denorm_mode_16_64 3
		.amdhsa_dx10_clamp 1
		.amdhsa_ieee_mode 1
		.amdhsa_fp16_overflow 0
		.amdhsa_workgroup_processor_mode 1
		.amdhsa_memory_ordered 1
		.amdhsa_forward_progress 1
		.amdhsa_shared_vgpr_count 0
		.amdhsa_exception_fp_ieee_invalid_op 0
		.amdhsa_exception_fp_denorm_src 0
		.amdhsa_exception_fp_ieee_div_zero 0
		.amdhsa_exception_fp_ieee_overflow 0
		.amdhsa_exception_fp_ieee_underflow 0
		.amdhsa_exception_fp_ieee_inexact 0
		.amdhsa_exception_int_div_zero 0
	.end_amdhsa_kernel
	.section	.text._ZL33flash_attn_stream_k_fixup_uniformILi112ELi1ELi4EEvPfPK15HIP_vector_typeIfLj2EEiiiiiiS1_IjLj3EES5_S5_,"axG",@progbits,_ZL33flash_attn_stream_k_fixup_uniformILi112ELi1ELi4EEvPfPK15HIP_vector_typeIfLj2EEiiiiiiS1_IjLj3EES5_S5_,comdat
.Lfunc_end31:
	.size	_ZL33flash_attn_stream_k_fixup_uniformILi112ELi1ELi4EEvPfPK15HIP_vector_typeIfLj2EEiiiiiiS1_IjLj3EES5_S5_, .Lfunc_end31-_ZL33flash_attn_stream_k_fixup_uniformILi112ELi1ELi4EEvPfPK15HIP_vector_typeIfLj2EEiiiiiiS1_IjLj3EES5_S5_
                                        ; -- End function
	.set _ZL33flash_attn_stream_k_fixup_uniformILi112ELi1ELi4EEvPfPK15HIP_vector_typeIfLj2EEiiiiiiS1_IjLj3EES5_S5_.num_vgpr, 15
	.set _ZL33flash_attn_stream_k_fixup_uniformILi112ELi1ELi4EEvPfPK15HIP_vector_typeIfLj2EEiiiiiiS1_IjLj3EES5_S5_.num_agpr, 0
	.set _ZL33flash_attn_stream_k_fixup_uniformILi112ELi1ELi4EEvPfPK15HIP_vector_typeIfLj2EEiiiiiiS1_IjLj3EES5_S5_.numbered_sgpr, 24
	.set _ZL33flash_attn_stream_k_fixup_uniformILi112ELi1ELi4EEvPfPK15HIP_vector_typeIfLj2EEiiiiiiS1_IjLj3EES5_S5_.num_named_barrier, 0
	.set _ZL33flash_attn_stream_k_fixup_uniformILi112ELi1ELi4EEvPfPK15HIP_vector_typeIfLj2EEiiiiiiS1_IjLj3EES5_S5_.private_seg_size, 0
	.set _ZL33flash_attn_stream_k_fixup_uniformILi112ELi1ELi4EEvPfPK15HIP_vector_typeIfLj2EEiiiiiiS1_IjLj3EES5_S5_.uses_vcc, 1
	.set _ZL33flash_attn_stream_k_fixup_uniformILi112ELi1ELi4EEvPfPK15HIP_vector_typeIfLj2EEiiiiiiS1_IjLj3EES5_S5_.uses_flat_scratch, 0
	.set _ZL33flash_attn_stream_k_fixup_uniformILi112ELi1ELi4EEvPfPK15HIP_vector_typeIfLj2EEiiiiiiS1_IjLj3EES5_S5_.has_dyn_sized_stack, 0
	.set _ZL33flash_attn_stream_k_fixup_uniformILi112ELi1ELi4EEvPfPK15HIP_vector_typeIfLj2EEiiiiiiS1_IjLj3EES5_S5_.has_recursion, 0
	.set _ZL33flash_attn_stream_k_fixup_uniformILi112ELi1ELi4EEvPfPK15HIP_vector_typeIfLj2EEiiiiiiS1_IjLj3EES5_S5_.has_indirect_call, 0
	.section	.AMDGPU.csdata,"",@progbits
; Kernel info:
; codeLenInByte = 836
; TotalNumSgprs: 26
; NumVgprs: 15
; ScratchSize: 0
; MemoryBound: 0
; FloatMode: 240
; IeeeMode: 1
; LDSByteSize: 0 bytes/workgroup (compile time only)
; SGPRBlocks: 0
; VGPRBlocks: 1
; NumSGPRsForWavesPerEU: 26
; NumVGPRsForWavesPerEU: 15
; Occupancy: 16
; WaveLimiterHint : 0
; COMPUTE_PGM_RSRC2:SCRATCH_EN: 0
; COMPUTE_PGM_RSRC2:USER_SGPR: 6
; COMPUTE_PGM_RSRC2:TRAP_HANDLER: 0
; COMPUTE_PGM_RSRC2:TGID_X_EN: 1
; COMPUTE_PGM_RSRC2:TGID_Y_EN: 1
; COMPUTE_PGM_RSRC2:TGID_Z_EN: 1
; COMPUTE_PGM_RSRC2:TIDIG_COMP_CNT: 0
	.section	.text._ZL33flash_attn_stream_k_fixup_generalILi112ELi1ELi4EEvPfPK15HIP_vector_typeIfLj2EEiiiiS1_IjLj3EES5_S5_S5_,"axG",@progbits,_ZL33flash_attn_stream_k_fixup_generalILi112ELi1ELi4EEvPfPK15HIP_vector_typeIfLj2EEiiiiS1_IjLj3EES5_S5_S5_,comdat
	.globl	_ZL33flash_attn_stream_k_fixup_generalILi112ELi1ELi4EEvPfPK15HIP_vector_typeIfLj2EEiiiiS1_IjLj3EES5_S5_S5_ ; -- Begin function _ZL33flash_attn_stream_k_fixup_generalILi112ELi1ELi4EEvPfPK15HIP_vector_typeIfLj2EEiiiiS1_IjLj3EES5_S5_S5_
	.p2align	8
	.type	_ZL33flash_attn_stream_k_fixup_generalILi112ELi1ELi4EEvPfPK15HIP_vector_typeIfLj2EEiiiiS1_IjLj3EES5_S5_S5_,@function
_ZL33flash_attn_stream_k_fixup_generalILi112ELi1ELi4EEvPfPK15HIP_vector_typeIfLj2EEiiiiS1_IjLj3EES5_S5_S5_: ; @_ZL33flash_attn_stream_k_fixup_generalILi112ELi1ELi4EEvPfPK15HIP_vector_typeIfLj2EEiiiiS1_IjLj3EES5_S5_S5_
; %bb.0:
	s_clause 0x1
	s_load_dwordx4 s[0:3], s[4:5], 0x10
	s_load_dword s9, s[4:5], 0x50
	s_mov_b32 s16, 0
	s_waitcnt lgkmcnt(0)
	s_mul_hi_i32 s17, s3, s6
	s_mul_i32 s18, s3, s6
	s_cmp_lg_u64 s[16:17], 0
	s_cbranch_scc0 .LBB32_21
; %bb.1:
	s_add_u32 s10, s9, 0
	s_addc_u32 s11, 0, 0
	s_xor_b64 s[10:11], s[10:11], 0
	v_cvt_f32_u32_e32 v1, s10
	v_cvt_f32_u32_e32 v2, s11
	s_sub_u32 s14, 0, s10
	s_subb_u32 s15, 0, s11
	v_fmamk_f32 v1, v2, 0x4f800000, v1
	v_rcp_f32_e32 v1, v1
	v_mul_f32_e32 v1, 0x5f7ffffc, v1
	v_mul_f32_e32 v2, 0x2f800000, v1
	v_trunc_f32_e32 v2, v2
	v_fmamk_f32 v1, v2, 0xcf800000, v1
	v_cvt_u32_f32_e32 v2, v2
	v_cvt_u32_f32_e32 v1, v1
	v_readfirstlane_b32 s12, v2
	v_readfirstlane_b32 s13, v1
	s_mul_i32 s19, s14, s12
	s_mul_hi_u32 s21, s14, s13
	s_mul_i32 s20, s15, s13
	s_add_i32 s19, s21, s19
	s_mul_i32 s22, s14, s13
	s_add_i32 s19, s19, s20
	s_mul_hi_u32 s21, s13, s22
	s_mul_i32 s24, s13, s19
	s_mul_hi_u32 s23, s12, s22
	s_mul_i32 s20, s12, s22
	s_mul_hi_u32 s22, s13, s19
	s_add_u32 s21, s21, s24
	s_addc_u32 s22, 0, s22
	s_mul_hi_u32 s25, s12, s19
	s_add_u32 s20, s21, s20
	s_mul_i32 s19, s12, s19
	s_addc_u32 s20, s22, s23
	s_addc_u32 s21, s25, 0
	s_add_u32 s19, s20, s19
	s_addc_u32 s20, 0, s21
	s_add_u32 s13, s13, s19
	s_cselect_b32 s19, -1, 0
	s_mul_hi_u32 s21, s14, s13
	s_cmp_lg_u32 s19, 0
	s_mul_i32 s19, s14, s13
	s_addc_u32 s12, s12, s20
	s_mul_i32 s15, s15, s13
	s_mul_i32 s14, s14, s12
	s_mul_hi_u32 s20, s13, s19
	s_add_i32 s14, s21, s14
	s_mul_hi_u32 s21, s12, s19
	s_add_i32 s14, s14, s15
	s_mul_i32 s15, s12, s19
	s_mul_i32 s23, s13, s14
	s_mul_hi_u32 s22, s13, s14
	s_add_u32 s20, s20, s23
	s_addc_u32 s22, 0, s22
	s_mul_hi_u32 s19, s12, s14
	s_add_u32 s15, s20, s15
	s_mul_i32 s14, s12, s14
	s_addc_u32 s15, s22, s21
	s_addc_u32 s19, s19, 0
	s_add_u32 s14, s15, s14
	s_addc_u32 s15, 0, s19
	s_add_u32 s19, s13, s14
	s_cselect_b32 s13, -1, 0
	s_cmp_lg_u32 s13, 0
	s_addc_u32 s20, s12, s15
	s_ashr_i32 s12, s17, 31
	s_add_u32 s14, s18, s12
	s_mov_b32 s13, s12
	s_addc_u32 s15, s17, s12
	s_xor_b64 s[14:15], s[14:15], s[12:13]
	s_mul_i32 s21, s14, s20
	s_mul_hi_u32 s22, s14, s19
	s_mul_hi_u32 s17, s14, s20
	;; [unrolled: 1-line block ×3, first 2 shown]
	s_mul_i32 s19, s15, s19
	s_add_u32 s21, s22, s21
	s_addc_u32 s17, 0, s17
	s_mul_hi_u32 s23, s15, s20
	s_add_u32 s19, s21, s19
	s_mul_i32 s20, s15, s20
	s_addc_u32 s17, s17, s24
	s_addc_u32 s19, s23, 0
	s_add_u32 s17, s17, s20
	s_addc_u32 s19, 0, s19
	s_mul_hi_u32 s20, s10, s17
	s_mul_i32 s21, s10, s19
	s_mul_i32 s22, s11, s17
	s_add_i32 s20, s20, s21
	s_mul_i32 s21, s10, s17
	s_add_i32 s20, s20, s22
	s_sub_i32 s22, s15, s20
	s_sub_u32 s14, s14, s21
	s_cselect_b32 s21, -1, 0
	s_cmp_lg_u32 s21, 0
	s_subb_u32 s22, s22, s11
	s_sub_u32 s23, s14, s10
	s_cselect_b32 s24, -1, 0
	s_cmp_lg_u32 s24, 0
	s_subb_u32 s22, s22, 0
	s_cmp_ge_u32 s22, s11
	s_cselect_b32 s24, -1, 0
	s_cmp_ge_u32 s23, s10
	s_cselect_b32 s23, -1, 0
	s_cmp_eq_u32 s22, s11
	s_cselect_b32 s22, s23, s24
	s_add_u32 s23, s17, 1
	s_addc_u32 s24, s19, 0
	s_add_u32 s25, s17, 2
	s_addc_u32 s26, s19, 0
	s_cmp_lg_u32 s22, 0
	s_cselect_b32 s22, s25, s23
	s_cselect_b32 s23, s26, s24
	s_cmp_lg_u32 s21, 0
	s_subb_u32 s15, s15, s20
	s_cmp_ge_u32 s15, s11
	s_cselect_b32 s20, -1, 0
	s_cmp_ge_u32 s14, s10
	s_cselect_b32 s10, -1, 0
	s_cmp_eq_u32 s15, s11
	s_cselect_b32 s10, s10, s20
	s_cmp_lg_u32 s10, 0
	s_cselect_b32 s11, s23, s19
	s_cselect_b32 s10, s22, s17
	s_xor_b64 s[12:13], s[12:13], 0
	s_xor_b64 s[10:11], s[10:11], s[12:13]
	s_sub_u32 s10, s10, s12
	s_load_dwordx4 s[12:15], s[4:5], 0x44
	s_andn2_b32 vcc_lo, exec_lo, s16
	s_cbranch_vccnz .LBB32_3
.LBB32_2:
	v_cvt_f32_u32_e32 v1, s9
	s_sub_i32 s11, 0, s9
	v_rcp_iflag_f32_e32 v1, v1
	v_mul_f32_e32 v1, 0x4f7ffffe, v1
	v_cvt_u32_f32_e32 v1, v1
	v_readfirstlane_b32 s10, v1
	s_mul_i32 s11, s11, s10
	s_mul_hi_u32 s11, s10, s11
	s_add_i32 s10, s10, s11
	s_mul_hi_u32 s10, s18, s10
	s_mul_i32 s11, s10, s9
	s_waitcnt lgkmcnt(0)
	s_add_i32 s15, s10, 1
	s_sub_i32 s11, s18, s11
	s_sub_i32 s16, s11, s9
	s_cmp_ge_u32 s11, s9
	s_cselect_b32 s10, s15, s10
	s_cselect_b32 s11, s16, s11
	s_add_i32 s15, s10, 1
	s_cmp_ge_u32 s11, s9
	s_cselect_b32 s10, s15, s10
.LBB32_3:
	s_add_i32 s11, s6, 1
	s_mov_b32 s16, 0
	s_mul_hi_i32 s17, s3, s11
	s_mul_i32 s11, s3, s11
	s_cmp_lg_u64 s[16:17], 0
	s_cbranch_scc0 .LBB32_22
; %bb.4:
	s_add_u32 s18, s9, 0
	s_addc_u32 s19, 0, 0
	s_xor_b64 s[18:19], s[18:19], 0
	v_cvt_f32_u32_e32 v1, s18
	v_cvt_f32_u32_e32 v2, s19
	s_sub_u32 s21, 0, s18
	s_subb_u32 s22, 0, s19
	v_fmamk_f32 v1, v2, 0x4f800000, v1
	v_rcp_f32_e32 v1, v1
	v_mul_f32_e32 v1, 0x5f7ffffc, v1
	v_mul_f32_e32 v2, 0x2f800000, v1
	v_trunc_f32_e32 v2, v2
	v_fmamk_f32 v1, v2, 0xcf800000, v1
	v_cvt_u32_f32_e32 v2, v2
	v_cvt_u32_f32_e32 v1, v1
	s_waitcnt lgkmcnt(0)
	v_readfirstlane_b32 s15, v2
	v_readfirstlane_b32 s20, v1
	s_mul_i32 s23, s21, s15
	s_mul_hi_u32 s25, s21, s20
	s_mul_i32 s24, s22, s20
	s_add_i32 s23, s25, s23
	s_mul_i32 s26, s21, s20
	s_add_i32 s23, s23, s24
	s_mul_hi_u32 s25, s20, s26
	s_mul_i32 s28, s20, s23
	s_mul_hi_u32 s27, s15, s26
	s_mul_i32 s24, s15, s26
	s_mul_hi_u32 s26, s20, s23
	s_add_u32 s25, s25, s28
	s_addc_u32 s26, 0, s26
	s_mul_hi_u32 s29, s15, s23
	s_add_u32 s24, s25, s24
	s_mul_i32 s23, s15, s23
	s_addc_u32 s24, s26, s27
	s_addc_u32 s25, s29, 0
	s_add_u32 s23, s24, s23
	s_addc_u32 s24, 0, s25
	s_add_u32 s20, s20, s23
	s_cselect_b32 s23, -1, 0
	s_mul_hi_u32 s25, s21, s20
	s_cmp_lg_u32 s23, 0
	s_mul_i32 s23, s21, s20
	s_addc_u32 s15, s15, s24
	s_mul_i32 s22, s22, s20
	s_mul_i32 s21, s21, s15
	s_mul_hi_u32 s24, s20, s23
	s_add_i32 s21, s25, s21
	s_mul_hi_u32 s25, s15, s23
	s_add_i32 s21, s21, s22
	s_mul_i32 s22, s15, s23
	s_mul_i32 s27, s20, s21
	s_mul_hi_u32 s26, s20, s21
	s_add_u32 s24, s24, s27
	s_addc_u32 s26, 0, s26
	s_mul_hi_u32 s23, s15, s21
	s_add_u32 s22, s24, s22
	s_mul_i32 s21, s15, s21
	s_addc_u32 s22, s26, s25
	s_addc_u32 s23, s23, 0
	s_add_u32 s21, s22, s21
	s_addc_u32 s22, 0, s23
	s_add_u32 s24, s20, s21
	s_cselect_b32 s20, -1, 0
	s_cmp_lg_u32 s20, 0
	s_addc_u32 s15, s15, s22
	s_ashr_i32 s20, s17, 31
	s_add_u32 s22, s11, s20
	s_mov_b32 s21, s20
	s_addc_u32 s23, s17, s20
	s_xor_b64 s[22:23], s[22:23], s[20:21]
	s_mul_i32 s25, s22, s15
	s_mul_hi_u32 s26, s22, s24
	s_mul_hi_u32 s17, s22, s15
	s_mul_hi_u32 s28, s23, s24
	s_mul_i32 s24, s23, s24
	s_add_u32 s25, s26, s25
	s_addc_u32 s17, 0, s17
	s_mul_hi_u32 s27, s23, s15
	s_add_u32 s24, s25, s24
	s_mul_i32 s15, s23, s15
	s_addc_u32 s17, s17, s28
	s_addc_u32 s24, s27, 0
	s_add_u32 s15, s17, s15
	s_addc_u32 s17, 0, s24
	s_mul_hi_u32 s24, s18, s15
	s_mul_i32 s25, s18, s17
	s_mul_i32 s26, s19, s15
	s_add_i32 s24, s24, s25
	s_mul_i32 s25, s18, s15
	s_add_i32 s24, s24, s26
	s_sub_i32 s26, s23, s24
	s_sub_u32 s22, s22, s25
	s_cselect_b32 s25, -1, 0
	s_cmp_lg_u32 s25, 0
	s_subb_u32 s26, s26, s19
	s_sub_u32 s27, s22, s18
	s_cselect_b32 s28, -1, 0
	s_cmp_lg_u32 s28, 0
	s_subb_u32 s26, s26, 0
	s_cmp_ge_u32 s26, s19
	s_cselect_b32 s28, -1, 0
	s_cmp_ge_u32 s27, s18
	s_cselect_b32 s27, -1, 0
	s_cmp_eq_u32 s26, s19
	s_cselect_b32 s26, s27, s28
	s_add_u32 s27, s15, 1
	s_addc_u32 s28, s17, 0
	s_add_u32 s29, s15, 2
	s_addc_u32 s30, s17, 0
	s_cmp_lg_u32 s26, 0
	s_cselect_b32 s26, s29, s27
	s_cselect_b32 s27, s30, s28
	s_cmp_lg_u32 s25, 0
	s_subb_u32 s23, s23, s24
	s_cmp_ge_u32 s23, s19
	s_cselect_b32 s24, -1, 0
	s_cmp_ge_u32 s22, s18
	s_cselect_b32 s18, -1, 0
	s_cmp_eq_u32 s23, s19
	s_cselect_b32 s18, s18, s24
	s_cmp_lg_u32 s18, 0
	s_cselect_b32 s19, s27, s17
	s_cselect_b32 s18, s26, s15
	s_xor_b64 s[20:21], s[20:21], 0
	s_xor_b64 s[18:19], s[18:19], s[20:21]
	s_sub_u32 s18, s18, s20
	s_andn2_b32 vcc_lo, exec_lo, s16
	s_cbranch_vccnz .LBB32_6
.LBB32_5:
	v_cvt_f32_u32_e32 v1, s9
	s_sub_i32 s16, 0, s9
	v_rcp_iflag_f32_e32 v1, v1
	v_mul_f32_e32 v1, 0x4f7ffffe, v1
	v_cvt_u32_f32_e32 v1, v1
	s_waitcnt lgkmcnt(0)
	v_readfirstlane_b32 s15, v1
	s_mul_i32 s16, s16, s15
	s_mul_hi_u32 s16, s15, s16
	s_add_i32 s15, s15, s16
	s_mul_hi_u32 s15, s11, s15
	s_mul_i32 s16, s15, s9
	s_sub_i32 s11, s11, s16
	s_add_i32 s16, s15, 1
	s_sub_i32 s17, s11, s9
	s_cmp_ge_u32 s11, s9
	s_cselect_b32 s15, s16, s15
	s_cselect_b32 s11, s17, s11
	s_add_i32 s16, s15, 1
	s_cmp_ge_u32 s11, s9
	s_cselect_b32 s18, s16, s15
.LBB32_6:
	s_cmp_eq_u32 s10, s18
	s_waitcnt lgkmcnt(0)
	s_mul_hi_u32 s11, s10, s12
	s_cselect_b32 s15, -1, 0
	s_add_i32 s11, s11, s10
	s_lshr_b32 s11, s11, s13
	s_mul_i32 s16, s11, s14
	s_cmp_eq_u32 s16, s10
	s_mul_hi_u32 s16, s18, s12
	s_cselect_b32 s17, -1, 0
	s_add_i32 s16, s16, s18
	s_lshr_b32 s16, s16, s13
	s_cmp_eq_u32 s11, s16
	s_mul_i32 s16, s16, s14
	s_cselect_b32 s19, -1, 0
	s_cmp_lg_u32 s16, s18
	s_cselect_b32 s16, -1, 0
	s_or_b32 s15, s15, s17
	s_and_b32 s16, s19, s16
	s_or_b32 s15, s15, s16
	s_and_b32 vcc_lo, exec_lo, s15
	s_cbranch_vccnz .LBB32_24
; %bb.7:
	s_load_dwordx8 s[16:23], s[4:5], 0x20
	s_waitcnt lgkmcnt(0)
	s_mul_hi_u32 s15, s10, s16
	s_load_dword s16, s[4:5], 0x40
	s_add_i32 s15, s15, s10
	s_lshr_b32 s15, s15, s17
	s_mul_i32 s17, s15, s18
	s_sub_i32 s17, s10, s17
	s_mul_hi_u32 s18, s17, s19
	s_add_i32 s18, s17, s18
	s_lshr_b32 s20, s18, s20
	s_mul_i32 s18, s20, s21
	s_sub_i32 s17, s17, s18
	s_mul_hi_u32 s18, s17, s22
	s_add_i32 s18, s17, s18
	s_lshr_b32 s18, s18, s23
	s_waitcnt lgkmcnt(0)
	s_mul_i32 s16, s18, s16
	s_lshl_b32 s22, s18, 2
	s_sub_i32 s16, s17, s16
	s_mul_hi_u32 s17, s16, s12
	s_add_i32 s16, s16, s17
	s_lshr_b32 s21, s16, s13
	s_add_i32 s21, s21, s7
	s_cmp_lt_i32 s21, s0
	s_cselect_b32 s16, -1, 0
	s_add_i32 s22, s22, s8
	s_cmp_lt_i32 s22, s2
	s_cselect_b32 s17, -1, 0
	s_and_b32 s16, s16, s17
	s_andn2_b32 vcc_lo, exec_lo, s16
	s_cbranch_vccnz .LBB32_24
; %bb.8:
	s_load_dwordx4 s[16:19], s[4:5], 0x0
	s_mov_b32 s4, 0
	s_lshl_b32 s24, s9, 4
	s_mov_b32 s25, s4
	s_lshl_b32 s5, s7, 2
	s_lshl_b64 s[24:25], s[24:25], 2
	s_mul_i32 s0, s15, s0
	s_add_i32 s5, s5, s8
	s_mul_i32 s20, s20, s2
	v_cvt_f32_u32_e32 v3, s9
	v_rcp_iflag_f32_e32 v3, v3
	s_waitcnt lgkmcnt(0)
	s_add_u32 s2, s18, s24
	s_addc_u32 s15, s19, s25
	s_add_i32 s0, s21, s0
	s_add_i32 s20, s22, s20
	s_mul_i32 s0, s0, s1
	v_mul_f32_e32 v7, 0x4f7ffffe, v3
	s_add_i32 s20, s20, s0
	s_add_i32 s0, s7, s6
	v_mad_u64_u32 v[1:2], null, 0x70, s20, v[0:1]
	s_lshl_b32 s0, s0, 2
	s_add_i32 s0, s0, s8
	s_ashr_i32 s1, s0, 31
	v_ashrrev_i32_e32 v2, 31, v1
	s_lshl_b64 s[0:1], s[0:1], 3
	s_add_u32 s0, s18, s0
	s_addc_u32 s1, s19, s1
	v_lshlrev_b64 v[1:2], 2, v[1:2]
	s_load_dwordx2 s[0:1], s[0:1], 0x0
	v_add_co_u32 v1, vcc_lo, s16, v1
	v_add_co_ci_u32_e64 v2, null, s17, v2, vcc_lo
	s_add_i32 s17, s6, -1
	v_mad_u64_u32 v[3:4], null, 0x70, s5, v[0:1]
	global_load_dword v5, v[1:2], off
	v_cvt_u32_f32_e32 v0, v7
	s_add_i32 s16, s9, s7
	s_waitcnt lgkmcnt(0)
	v_mov_b32_e32 v4, s1
	v_mov_b32_e32 v6, s0
.LBB32_9:                               ; =>This Inner Loop Header: Depth=1
	s_mul_hi_i32 s5, s17, s3
	s_mul_i32 s6, s17, s3
	s_cmp_lg_u64 s[4:5], 0
	s_mov_b32 s7, -1
                                        ; implicit-def: $sgpr0_sgpr1
	s_cbranch_scc0 .LBB32_11
; %bb.10:                               ;   in Loop: Header=BB32_9 Depth=1
	s_add_u32 s0, s9, 0
	s_addc_u32 s1, 0, 0
	s_xor_b64 s[0:1], s[0:1], 0
	v_cvt_f32_u32_e32 v7, s0
	v_cvt_f32_u32_e32 v8, s1
	s_sub_u32 s21, 0, s0
	s_subb_u32 s22, 0, s1
	v_fmac_f32_e32 v7, 0x4f800000, v8
	v_rcp_f32_e32 v7, v7
	v_mul_f32_e32 v7, 0x5f7ffffc, v7
	v_mul_f32_e32 v8, 0x2f800000, v7
	v_trunc_f32_e32 v8, v8
	v_fmac_f32_e32 v7, 0xcf800000, v8
	v_cvt_u32_f32_e32 v8, v8
	v_cvt_u32_f32_e32 v7, v7
	v_readfirstlane_b32 s7, v8
	v_readfirstlane_b32 s20, v7
	s_mul_i32 s23, s21, s7
	s_mul_hi_u32 s25, s21, s20
	s_mul_i32 s24, s22, s20
	s_add_i32 s23, s25, s23
	s_mul_i32 s26, s21, s20
	s_add_i32 s23, s23, s24
	s_mul_hi_u32 s25, s20, s26
	s_mul_i32 s28, s20, s23
	s_mul_hi_u32 s27, s7, s26
	s_mul_i32 s24, s7, s26
	s_mul_hi_u32 s26, s20, s23
	s_add_u32 s25, s25, s28
	s_addc_u32 s26, 0, s26
	s_mul_hi_u32 s29, s7, s23
	s_add_u32 s24, s25, s24
	s_mul_i32 s23, s7, s23
	s_addc_u32 s24, s26, s27
	s_addc_u32 s25, s29, 0
	s_add_u32 s23, s24, s23
	s_addc_u32 s24, 0, s25
	s_add_u32 s20, s20, s23
	s_cselect_b32 s23, -1, 0
	s_mul_hi_u32 s25, s21, s20
	s_cmp_lg_u32 s23, 0
	s_mul_i32 s23, s21, s20
	s_addc_u32 s7, s7, s24
	s_mul_i32 s22, s22, s20
	s_mul_i32 s21, s21, s7
	s_mul_hi_u32 s24, s20, s23
	s_add_i32 s21, s25, s21
	s_mul_hi_u32 s25, s7, s23
	s_add_i32 s21, s21, s22
	s_mul_i32 s22, s7, s23
	s_mul_i32 s27, s20, s21
	s_mul_hi_u32 s26, s20, s21
	s_add_u32 s24, s24, s27
	s_addc_u32 s26, 0, s26
	s_mul_hi_u32 s23, s7, s21
	s_add_u32 s22, s24, s22
	s_mul_i32 s21, s7, s21
	s_addc_u32 s22, s26, s25
	s_addc_u32 s23, s23, 0
	s_add_u32 s21, s22, s21
	s_addc_u32 s22, 0, s23
	s_add_u32 s24, s20, s21
	s_cselect_b32 s20, -1, 0
	s_cmp_lg_u32 s20, 0
	s_addc_u32 s7, s7, s22
	s_ashr_i32 s20, s5, 31
	s_add_u32 s22, s6, s20
	s_mov_b32 s21, s20
	s_addc_u32 s23, s5, s20
	s_xor_b64 s[22:23], s[22:23], s[20:21]
	s_mul_i32 s25, s22, s7
	s_mul_hi_u32 s26, s22, s24
	s_mul_hi_u32 s5, s22, s7
	s_mul_hi_u32 s28, s23, s24
	s_mul_i32 s24, s23, s24
	s_add_u32 s25, s26, s25
	s_addc_u32 s5, 0, s5
	s_mul_hi_u32 s27, s23, s7
	s_add_u32 s24, s25, s24
	s_mul_i32 s7, s23, s7
	s_addc_u32 s5, s5, s28
	s_addc_u32 s24, s27, 0
	s_add_u32 s5, s5, s7
	s_addc_u32 s7, 0, s24
	s_mul_hi_u32 s24, s0, s5
	s_mul_i32 s25, s0, s7
	s_mul_i32 s26, s1, s5
	s_add_i32 s24, s24, s25
	s_mul_i32 s25, s0, s5
	s_add_i32 s24, s24, s26
	s_sub_i32 s26, s23, s24
	s_sub_u32 s22, s22, s25
	s_cselect_b32 s25, -1, 0
	s_cmp_lg_u32 s25, 0
	s_subb_u32 s26, s26, s1
	s_sub_u32 s27, s22, s0
	s_cselect_b32 s28, -1, 0
	s_cmp_lg_u32 s28, 0
	s_subb_u32 s26, s26, 0
	s_cmp_ge_u32 s26, s1
	s_cselect_b32 s28, -1, 0
	s_cmp_ge_u32 s27, s0
	s_cselect_b32 s27, -1, 0
	s_cmp_eq_u32 s26, s1
	s_cselect_b32 s26, s27, s28
	s_add_u32 s27, s5, 1
	s_addc_u32 s28, s7, 0
	s_add_u32 s29, s5, 2
	s_addc_u32 s30, s7, 0
	s_cmp_lg_u32 s26, 0
	s_cselect_b32 s26, s29, s27
	s_cselect_b32 s27, s30, s28
	s_cmp_lg_u32 s25, 0
	s_subb_u32 s23, s23, s24
	s_cmp_ge_u32 s23, s1
	s_cselect_b32 s24, -1, 0
	s_cmp_ge_u32 s22, s0
	s_cselect_b32 s0, -1, 0
	s_cmp_eq_u32 s23, s1
	s_cselect_b32 s0, s0, s24
	s_cmp_lg_u32 s0, 0
	s_cselect_b32 s1, s27, s7
	s_cselect_b32 s0, s26, s5
	s_xor_b64 s[20:21], s[20:21], 0
	s_mov_b32 s7, 0
	s_xor_b64 s[0:1], s[0:1], s[20:21]
	s_sub_u32 s0, s0, s20
.LBB32_11:                              ;   in Loop: Header=BB32_9 Depth=1
	s_andn2_b32 vcc_lo, exec_lo, s7
	s_cbranch_vccnz .LBB32_13
; %bb.12:                               ;   in Loop: Header=BB32_9 Depth=1
	v_readfirstlane_b32 s0, v0
	s_sub_i32 s1, 0, s9
	s_mul_i32 s1, s1, s0
	s_mul_hi_u32 s1, s0, s1
	s_add_i32 s0, s0, s1
	s_mul_hi_u32 s0, s6, s0
	s_mul_i32 s1, s0, s9
	s_add_i32 s5, s0, 1
	s_sub_i32 s1, s6, s1
	s_sub_i32 s6, s1, s9
	s_cmp_ge_u32 s1, s9
	s_cselect_b32 s0, s5, s0
	s_cselect_b32 s1, s6, s1
	s_add_i32 s5, s0, 1
	s_cmp_ge_u32 s1, s9
	s_cselect_b32 s0, s5, s0
.LBB32_13:                              ;   in Loop: Header=BB32_9 Depth=1
	s_cmp_lg_u32 s10, s0
	s_mov_b32 s6, -1
                                        ; implicit-def: $sgpr5
                                        ; implicit-def: $vgpr8
                                        ; implicit-def: $vgpr7
                                        ; implicit-def: $vgpr9
                                        ; implicit-def: $sgpr1
                                        ; implicit-def: $sgpr20
	s_cbranch_scc0 .LBB32_18
; %bb.14:                               ;   in Loop: Header=BB32_9 Depth=1
	s_add_i32 s1, s16, s17
	s_mov_b32 s7, s4
	s_lshl_b32 s1, s1, 2
	s_mov_b32 s20, s10
	s_add_i32 s6, s1, s8
	s_mul_hi_u32 s1, s0, s12
	s_lshl_b64 s[6:7], s[6:7], 3
	s_add_u32 s6, s18, s6
	s_addc_u32 s7, s19, s7
	s_add_i32 s1, s1, s0
	s_lshr_b32 s1, s1, s13
	s_mul_i32 s5, s1, s14
	s_cmp_eq_u32 s5, s0
	s_cselect_b32 s5, -1, 0
	s_cmp_lt_u32 s1, s11
	s_cselect_b32 s1, -1, 0
	s_or_b32 s1, s1, s5
	s_mov_b32 s5, -1
	s_and_b32 vcc_lo, exec_lo, s1
	s_mov_b32 s1, s17
	s_cbranch_vccnz .LBB32_16
; %bb.15:                               ;   in Loop: Header=BB32_9 Depth=1
	s_add_i32 s1, s17, -1
	s_mov_b32 s5, 0
	s_mov_b32 s20, s0
.LBB32_16:                              ;   in Loop: Header=BB32_9 Depth=1
	v_mad_u64_u32 v[7:8], null, 0x1c0, s17, v[3:4]
	s_load_dwordx2 s[6:7], s[6:7], 0x0
	v_ashrrev_i32_e32 v8, 31, v7
	v_lshlrev_b64 v[7:8], 2, v[7:8]
	v_add_co_u32 v7, vcc_lo, s2, v7
	v_add_co_ci_u32_e64 v8, null, s15, v8, vcc_lo
	s_waitcnt lgkmcnt(0)
	v_max_f32_e64 v9, s6, s6
	global_load_dword v8, v[7:8], off
	v_max_f32_e32 v7, v6, v6
	v_max_f32_e32 v7, v7, v9
	v_sub_f32_e32 v9, s6, v7
	v_sub_f32_e32 v10, v6, v7
	v_mul_f32_e32 v11, 0x3fb8aa3b, v9
	v_mul_f32_e32 v12, 0x3fb8aa3b, v10
	v_cmp_ngt_f32_e32 vcc_lo, 0xc2ce8ed0, v9
	v_fma_f32 v13, 0x3fb8aa3b, v9, -v11
	v_rndne_f32_e32 v14, v11
	v_fma_f32 v15, 0x3fb8aa3b, v10, -v12
	v_rndne_f32_e32 v16, v12
	v_fmac_f32_e32 v13, 0x32a5705f, v9
	v_sub_f32_e32 v11, v11, v14
	v_fmac_f32_e32 v15, 0x32a5705f, v10
	v_sub_f32_e32 v12, v12, v16
	v_add_f32_e32 v11, v11, v13
	v_cvt_i32_f32_e32 v13, v14
	v_add_f32_e32 v12, v12, v15
	v_cvt_i32_f32_e32 v14, v16
	v_exp_f32_e32 v11, v11
	v_exp_f32_e32 v12, v12
	v_ldexp_f32 v11, v11, v13
	v_ldexp_f32 v12, v12, v14
	v_cndmask_b32_e32 v11, 0, v11, vcc_lo
	v_cmp_ngt_f32_e32 vcc_lo, 0xc2ce8ed0, v10
	v_cndmask_b32_e32 v12, 0, v12, vcc_lo
	v_cmp_nlt_f32_e32 vcc_lo, 0x42b17218, v9
	v_cndmask_b32_e32 v11, 0x7f800000, v11, vcc_lo
	v_cmp_nlt_f32_e32 vcc_lo, 0x42b17218, v10
	v_cndmask_b32_e32 v12, 0x7f800000, v12, vcc_lo
	v_cmp_le_f32_e32 vcc_lo, 0xc1a00000, v9
	v_cndmask_b32_e32 v9, 0, v11, vcc_lo
	v_cmp_le_f32_e32 vcc_lo, 0xc1a00000, v10
	v_cndmask_b32_e32 v10, 0, v12, vcc_lo
	s_waitcnt vmcnt(0)
	v_mul_f32_e32 v8, v8, v9
	v_mul_f32_e32 v9, s7, v9
	v_fmac_f32_e32 v8, v5, v10
	v_fmac_f32_e32 v9, v4, v10
	s_cbranch_execz .LBB32_19
.LBB32_17:                              ;   in Loop: Header=BB32_9 Depth=1
	s_andn2_b32 vcc_lo, exec_lo, s5
	s_cbranch_vccnz .LBB32_20
	s_branch .LBB32_23
.LBB32_18:                              ;   in Loop: Header=BB32_9 Depth=1
	s_andn2_b32 vcc_lo, exec_lo, s6
	s_cbranch_vccnz .LBB32_17
.LBB32_19:                              ;   in Loop: Header=BB32_9 Depth=1
	v_mov_b32_e32 v9, v4
	v_mov_b32_e32 v7, v6
	s_waitcnt vmcnt(0)
	v_mov_b32_e32 v8, v5
	s_add_i32 s1, s17, -1
	s_mov_b32 s20, s10
	s_cbranch_execz .LBB32_23
.LBB32_20:                              ;   in Loop: Header=BB32_9 Depth=1
	v_mov_b32_e32 v4, v9
	v_mov_b32_e32 v6, v7
	s_waitcnt vmcnt(0)
	v_mov_b32_e32 v5, v8
	s_mov_b32 s10, s20
	s_mov_b32 s17, s1
	s_branch .LBB32_9
.LBB32_21:
                                        ; implicit-def: $sgpr10_sgpr11
	s_load_dwordx4 s[12:15], s[4:5], 0x44
	s_branch .LBB32_2
.LBB32_22:
                                        ; implicit-def: $sgpr18_sgpr19
	s_branch .LBB32_5
.LBB32_23:
	v_div_scale_f32 v0, null, v9, v9, v8
	v_rcp_f32_e32 v3, v0
	v_fma_f32 v4, -v0, v3, 1.0
	v_fmac_f32_e32 v3, v4, v3
	v_div_scale_f32 v4, vcc_lo, v8, v9, v8
	s_waitcnt vmcnt(0)
	v_mul_f32_e32 v5, v4, v3
	v_fma_f32 v6, -v0, v5, v4
	v_fmac_f32_e32 v5, v6, v3
	v_fma_f32 v0, -v0, v5, v4
	v_div_fmas_f32 v0, v0, v3, v5
	v_div_fixup_f32 v0, v0, v9, v8
	global_store_dword v[1:2], v0, off
.LBB32_24:
	s_endpgm
	.section	.rodata,"a",@progbits
	.p2align	6, 0x0
	.amdhsa_kernel _ZL33flash_attn_stream_k_fixup_generalILi112ELi1ELi4EEvPfPK15HIP_vector_typeIfLj2EEiiiiS1_IjLj3EES5_S5_S5_
		.amdhsa_group_segment_fixed_size 0
		.amdhsa_private_segment_fixed_size 0
		.amdhsa_kernarg_size 336
		.amdhsa_user_sgpr_count 6
		.amdhsa_user_sgpr_private_segment_buffer 1
		.amdhsa_user_sgpr_dispatch_ptr 0
		.amdhsa_user_sgpr_queue_ptr 0
		.amdhsa_user_sgpr_kernarg_segment_ptr 1
		.amdhsa_user_sgpr_dispatch_id 0
		.amdhsa_user_sgpr_flat_scratch_init 0
		.amdhsa_user_sgpr_private_segment_size 0
		.amdhsa_wavefront_size32 1
		.amdhsa_uses_dynamic_stack 0
		.amdhsa_system_sgpr_private_segment_wavefront_offset 0
		.amdhsa_system_sgpr_workgroup_id_x 1
		.amdhsa_system_sgpr_workgroup_id_y 1
		.amdhsa_system_sgpr_workgroup_id_z 1
		.amdhsa_system_sgpr_workgroup_info 0
		.amdhsa_system_vgpr_workitem_id 0
		.amdhsa_next_free_vgpr 17
		.amdhsa_next_free_sgpr 31
		.amdhsa_reserve_vcc 1
		.amdhsa_reserve_flat_scratch 0
		.amdhsa_float_round_mode_32 0
		.amdhsa_float_round_mode_16_64 0
		.amdhsa_float_denorm_mode_32 3
		.amdhsa_float_denorm_mode_16_64 3
		.amdhsa_dx10_clamp 1
		.amdhsa_ieee_mode 1
		.amdhsa_fp16_overflow 0
		.amdhsa_workgroup_processor_mode 1
		.amdhsa_memory_ordered 1
		.amdhsa_forward_progress 1
		.amdhsa_shared_vgpr_count 0
		.amdhsa_exception_fp_ieee_invalid_op 0
		.amdhsa_exception_fp_denorm_src 0
		.amdhsa_exception_fp_ieee_div_zero 0
		.amdhsa_exception_fp_ieee_overflow 0
		.amdhsa_exception_fp_ieee_underflow 0
		.amdhsa_exception_fp_ieee_inexact 0
		.amdhsa_exception_int_div_zero 0
	.end_amdhsa_kernel
	.section	.text._ZL33flash_attn_stream_k_fixup_generalILi112ELi1ELi4EEvPfPK15HIP_vector_typeIfLj2EEiiiiS1_IjLj3EES5_S5_S5_,"axG",@progbits,_ZL33flash_attn_stream_k_fixup_generalILi112ELi1ELi4EEvPfPK15HIP_vector_typeIfLj2EEiiiiS1_IjLj3EES5_S5_S5_,comdat
.Lfunc_end32:
	.size	_ZL33flash_attn_stream_k_fixup_generalILi112ELi1ELi4EEvPfPK15HIP_vector_typeIfLj2EEiiiiS1_IjLj3EES5_S5_S5_, .Lfunc_end32-_ZL33flash_attn_stream_k_fixup_generalILi112ELi1ELi4EEvPfPK15HIP_vector_typeIfLj2EEiiiiS1_IjLj3EES5_S5_S5_
                                        ; -- End function
	.set _ZL33flash_attn_stream_k_fixup_generalILi112ELi1ELi4EEvPfPK15HIP_vector_typeIfLj2EEiiiiS1_IjLj3EES5_S5_S5_.num_vgpr, 17
	.set _ZL33flash_attn_stream_k_fixup_generalILi112ELi1ELi4EEvPfPK15HIP_vector_typeIfLj2EEiiiiS1_IjLj3EES5_S5_S5_.num_agpr, 0
	.set _ZL33flash_attn_stream_k_fixup_generalILi112ELi1ELi4EEvPfPK15HIP_vector_typeIfLj2EEiiiiS1_IjLj3EES5_S5_S5_.numbered_sgpr, 31
	.set _ZL33flash_attn_stream_k_fixup_generalILi112ELi1ELi4EEvPfPK15HIP_vector_typeIfLj2EEiiiiS1_IjLj3EES5_S5_S5_.num_named_barrier, 0
	.set _ZL33flash_attn_stream_k_fixup_generalILi112ELi1ELi4EEvPfPK15HIP_vector_typeIfLj2EEiiiiS1_IjLj3EES5_S5_S5_.private_seg_size, 0
	.set _ZL33flash_attn_stream_k_fixup_generalILi112ELi1ELi4EEvPfPK15HIP_vector_typeIfLj2EEiiiiS1_IjLj3EES5_S5_S5_.uses_vcc, 1
	.set _ZL33flash_attn_stream_k_fixup_generalILi112ELi1ELi4EEvPfPK15HIP_vector_typeIfLj2EEiiiiS1_IjLj3EES5_S5_S5_.uses_flat_scratch, 0
	.set _ZL33flash_attn_stream_k_fixup_generalILi112ELi1ELi4EEvPfPK15HIP_vector_typeIfLj2EEiiiiS1_IjLj3EES5_S5_S5_.has_dyn_sized_stack, 0
	.set _ZL33flash_attn_stream_k_fixup_generalILi112ELi1ELi4EEvPfPK15HIP_vector_typeIfLj2EEiiiiS1_IjLj3EES5_S5_S5_.has_recursion, 0
	.set _ZL33flash_attn_stream_k_fixup_generalILi112ELi1ELi4EEvPfPK15HIP_vector_typeIfLj2EEiiiiS1_IjLj3EES5_S5_S5_.has_indirect_call, 0
	.section	.AMDGPU.csdata,"",@progbits
; Kernel info:
; codeLenInByte = 2944
; TotalNumSgprs: 33
; NumVgprs: 17
; ScratchSize: 0
; MemoryBound: 0
; FloatMode: 240
; IeeeMode: 1
; LDSByteSize: 0 bytes/workgroup (compile time only)
; SGPRBlocks: 0
; VGPRBlocks: 2
; NumSGPRsForWavesPerEU: 33
; NumVGPRsForWavesPerEU: 17
; Occupancy: 16
; WaveLimiterHint : 0
; COMPUTE_PGM_RSRC2:SCRATCH_EN: 0
; COMPUTE_PGM_RSRC2:USER_SGPR: 6
; COMPUTE_PGM_RSRC2:TRAP_HANDLER: 0
; COMPUTE_PGM_RSRC2:TGID_X_EN: 1
; COMPUTE_PGM_RSRC2:TGID_Y_EN: 1
; COMPUTE_PGM_RSRC2:TGID_Z_EN: 1
; COMPUTE_PGM_RSRC2:TIDIG_COMP_CNT: 0
	.section	.text._ZL15flash_attn_tileILi112ELi112ELi32ELi2ELb0EEvPKcS1_S1_S1_S1_PKiPfP15HIP_vector_typeIfLj2EEffffjfiS5_IjLj3EEiiiiiiiiiiiliiliiiiil,"axG",@progbits,_ZL15flash_attn_tileILi112ELi112ELi32ELi2ELb0EEvPKcS1_S1_S1_S1_PKiPfP15HIP_vector_typeIfLj2EEffffjfiS5_IjLj3EEiiiiiiiiiiiliiliiiiil,comdat
	.globl	_ZL15flash_attn_tileILi112ELi112ELi32ELi2ELb0EEvPKcS1_S1_S1_S1_PKiPfP15HIP_vector_typeIfLj2EEffffjfiS5_IjLj3EEiiiiiiiiiiiliiliiiiil ; -- Begin function _ZL15flash_attn_tileILi112ELi112ELi32ELi2ELb0EEvPKcS1_S1_S1_S1_PKiPfP15HIP_vector_typeIfLj2EEffffjfiS5_IjLj3EEiiiiiiiiiiiliiliiiiil
	.p2align	8
	.type	_ZL15flash_attn_tileILi112ELi112ELi32ELi2ELb0EEvPKcS1_S1_S1_S1_PKiPfP15HIP_vector_typeIfLj2EEffffjfiS5_IjLj3EEiiiiiiiiiiiliiliiiiil,@function
_ZL15flash_attn_tileILi112ELi112ELi32ELi2ELb0EEvPKcS1_S1_S1_S1_PKiPfP15HIP_vector_typeIfLj2EEffffjfiS5_IjLj3EEiiiiiiiiiiiliiliiiiil: ; @_ZL15flash_attn_tileILi112ELi112ELi32ELi2ELb0EEvPKcS1_S1_S1_S1_PKiPfP15HIP_vector_typeIfLj2EEffffjfiS5_IjLj3EEiiiiiiiiiiiliiliiiiil
; %bb.0:
	s_clause 0x1
	s_load_dwordx4 s[24:27], s[4:5], 0x5c
	s_load_dwordx2 s[34:35], s[4:5], 0x80
	s_mov_b32 s28, s7
	s_mov_b64 s[52:53], 0
	s_waitcnt lgkmcnt(0)
	s_lshr_b32 s0, s27, 31
	s_add_i32 s0, s27, s0
	s_ashr_i32 s0, s0, 1
	v_cvt_f32_u32_e32 v2, s0
	s_sub_i32 s2, 0, s0
	v_rcp_iflag_f32_e32 v2, v2
	v_mul_f32_e32 v2, 0x4f7ffffe, v2
	v_cvt_u32_f32_e32 v2, v2
	v_readfirstlane_b32 s1, v2
	s_mul_i32 s2, s2, s1
	s_mul_hi_u32 s2, s1, s2
	s_add_i32 s1, s1, s2
	s_mul_hi_u32 s1, s8, s1
	s_mul_i32 s2, s1, s0
	s_add_i32 s3, s1, 1
	s_sub_i32 s2, s8, s2
	s_sub_i32 s7, s2, s0
	s_cmp_ge_u32 s2, s0
	s_cselect_b32 s1, s3, s1
	s_cselect_b32 s2, s7, s2
	s_add_i32 s3, s1, 1
	s_cmp_ge_u32 s2, s0
	s_cselect_b32 s33, s3, s1
	s_abs_i32 s0, s35
	s_lshl_b32 s3, s8, 1
	v_cvt_f32_u32_e32 v2, s0
	s_sub_i32 s2, 0, s0
	s_abs_i32 s8, s27
	s_mul_i32 s7, s33, s27
	v_rcp_iflag_f32_e32 v2, v2
	s_sub_i32 s30, s3, s7
	v_mul_f32_e32 v2, 0x4f7ffffe, v2
	v_cvt_u32_f32_e32 v2, v2
	v_readfirstlane_b32 s1, v2
	s_mul_i32 s2, s2, s1
	s_mul_hi_u32 s2, s1, s2
	s_add_i32 s1, s1, s2
	s_xor_b32 s2, s27, s35
	s_mul_hi_u32 s1, s8, s1
	s_ashr_i32 s2, s2, 31
	s_mul_i32 s3, s1, s0
	s_add_i32 s7, s1, 1
	s_sub_i32 s3, s8, s3
	s_sub_i32 s8, s3, s0
	s_cmp_ge_u32 s3, s0
	s_cselect_b32 s1, s7, s1
	s_cselect_b32 s3, s8, s3
	s_add_i32 s7, s1, 1
	s_cmp_ge_u32 s3, s0
	s_cselect_b32 s0, s7, s1
	s_xor_b32 s0, s0, s2
	s_sub_i32 s12, s0, s2
	s_clause 0x1
	s_load_dwordx16 s[36:51], s[4:5], 0x0
	s_load_dwordx2 s[0:1], s[4:5], 0xb8
	s_abs_i32 s7, s12
	v_cvt_f32_u32_e32 v2, s7
	v_rcp_iflag_f32_e32 v2, v2
	v_mul_f32_e32 v2, 0x4f7ffffe, v2
	s_waitcnt lgkmcnt(0)
	s_cmp_eq_u64 s[42:43], 0
	v_cvt_u32_f32_e32 v2, v2
	v_readfirstlane_b32 s13, v2
	s_cbranch_scc1 .LBB33_2
; %bb.1:
	s_abs_i32 s0, s0
	s_abs_i32 s8, s33
	v_cvt_f32_u32_e32 v2, s0
	s_sub_i32 s3, 0, s0
	v_rcp_iflag_f32_e32 v2, v2
	v_mul_f32_e32 v2, 0x4f7ffffe, v2
	v_cvt_u32_f32_e32 v2, v2
	v_readfirstlane_b32 s2, v2
	s_mul_i32 s3, s3, s2
	s_mul_hi_u32 s3, s2, s3
	s_add_i32 s2, s2, s3
	s_mul_hi_u32 s9, s8, s2
	s_load_dwordx2 s[2:3], s[4:5], 0xc8
	s_mul_i32 s9, s9, s0
	s_sub_i32 s8, s8, s9
	s_ashr_i32 s9, s33, 31
	s_sub_i32 s10, s8, s0
	s_cmp_ge_u32 s8, s0
	s_cselect_b32 s8, s10, s8
	s_sub_i32 s10, s8, s0
	s_cmp_ge_u32 s8, s0
	s_cselect_b32 s0, s10, s8
	s_xor_b32 s0, s0, s9
	s_sub_i32 s0, s0, s9
	s_ashr_i32 s8, s0, 31
	s_waitcnt lgkmcnt(0)
	s_mul_hi_u32 s9, s2, s0
	s_mul_i32 s8, s2, s8
	s_mul_i32 s3, s3, s0
	s_add_i32 s8, s9, s8
	s_mul_i32 s0, s2, s0
	s_add_i32 s8, s8, s3
	s_add_u32 s52, s42, s0
	s_addc_u32 s53, s43, s8
.LBB33_2:
	s_clause 0x1
	s_load_dwordx4 s[16:19], s[4:5], 0x70
	s_load_dword s10, s[4:5], 0x40
	v_lshlrev_b32_e32 v105, 2, v0
	s_lshl_b32 s29, s6, 5
	v_cmp_gt_u32_e64 s0, 28, v0
	v_lshlrev_b32_e32 v126, 3, v0
	v_lshlrev_b32_e32 v3, 2, v105
	s_waitcnt lgkmcnt(0)
	s_mul_i32 s3, s33, s18
	s_mul_i32 s8, s30, s17
	s_ashr_i32 s9, s3, 31
	s_add_u32 s3, s36, s3
	s_addc_u32 s9, s37, s9
	s_ashr_i32 s14, s8, 31
	s_add_u32 s11, s3, s8
	s_mov_b32 s2, s17
	s_addc_u32 s14, s9, s14
	s_ashr_i32 s3, s17, 31
	s_ashr_i32 s17, s16, 31
	s_lshr_b64 s[2:3], s[2:3], 2
	s_lshr_b64 s[8:9], s[16:17], 2
	s_and_saveexec_b32 s15, s0
	s_cbranch_execz .LBB33_4
; %bb.3:
	v_lshl_add_u32 v2, v1, 2, s29
	s_lshl_b64 s[16:17], s[2:3], 2
	s_add_u32 s16, s11, s16
	s_addc_u32 s17, s14, s17
	v_mul_hi_u32 v4, v2, s24
	v_add_nc_u32_e32 v4, v2, v4
	v_lshrrev_b32_e32 v4, s25, v4
	v_mul_lo_u32 v4, v4, s26
	v_sub_nc_u32_e32 v6, v2, v4
	v_mad_u64_u32 v[4:5], null, s8, v6, 0
	v_mov_b32_e32 v2, v5
	v_mad_u64_u32 v[5:6], null, s9, v6, v[2:3]
	v_lshlrev_b64 v[4:5], 2, v[4:5]
	v_add_co_u32 v2, vcc_lo, s11, v4
	v_add_co_ci_u32_e64 v6, null, s14, v5, vcc_lo
	v_add_co_u32 v7, vcc_lo, s16, v4
	v_add_co_ci_u32_e64 v9, null, s17, v5, vcc_lo
	;; [unrolled: 2-line block ×4, first 2 shown]
	s_clause 0x1
	global_load_dwordx4 v[4:7], v[4:5], off
	global_load_dwordx4 v[8:11], v[8:9], off
	s_waitcnt vmcnt(1)
	v_fma_mixlo_f16 v2, s10, v4, 0
	v_fma_mixlo_f16 v4, s10, v5, 0
	;; [unrolled: 1-line block ×4, first 2 shown]
	s_waitcnt vmcnt(0)
	v_fma_mixlo_f16 v7, s10, v8, 0
	v_fma_mixlo_f16 v8, s10, v9, 0
	;; [unrolled: 1-line block ×4, first 2 shown]
	v_lshlrev_b32_e32 v4, 16, v4
	v_and_b32_e32 v2, 0xffff, v2
	v_lshlrev_b32_e32 v8, 16, v8
	v_and_b32_e32 v7, 0xffff, v7
	;; [unrolled: 2-line block ×4, first 2 shown]
	v_or_b32_e32 v2, v4, v2
	v_or_b32_e32 v8, v8, v7
	v_mad_u32_u24 v11, 0x700, v1, v126
	v_or3_b32 v5, v6, v5, 0
	v_or3_b32 v7, v10, v9, 0
	;; [unrolled: 1-line block ×4, first 2 shown]
	ds_write2_b64 v11, v[4:5], v[6:7] offset1:28
.LBB33_4:
	s_or_b32 exec_lo, exec_lo, s15
	v_lshlrev_b32_e32 v2, 3, v1
	v_or_b32_e32 v4, 2, v2
	v_lshrrev_b32_e32 v123, 1, v4
	s_and_saveexec_b32 s15, s0
	s_cbranch_execnz .LBB33_16
; %bb.5:
	s_or_b32 exec_lo, exec_lo, s15
	v_or_b32_e32 v122, 3, v2
	s_and_saveexec_b32 s15, s0
	s_cbranch_execnz .LBB33_17
.LBB33_6:
	s_or_b32 exec_lo, exec_lo, s15
	v_or_b32_e32 v121, 4, v2
	s_and_saveexec_b32 s15, s0
	s_cbranch_execnz .LBB33_18
.LBB33_7:
	s_or_b32 exec_lo, exec_lo, s15
	v_or_b32_e32 v120, 5, v2
	s_and_saveexec_b32 s15, s0
	s_cbranch_execnz .LBB33_19
.LBB33_8:
	s_or_b32 exec_lo, exec_lo, s15
	v_or_b32_e32 v119, 6, v2
	s_and_saveexec_b32 s15, s0
	s_cbranch_execnz .LBB33_20
.LBB33_9:
	s_or_b32 exec_lo, exec_lo, s15
	v_or_b32_e32 v118, 7, v2
	s_and_saveexec_b32 s15, s0
	s_cbranch_execz .LBB33_11
.LBB33_10:
	v_lshrrev_b32_e32 v4, 1, v118
	s_lshl_b64 s[2:3], s[2:3], 2
	v_mad_u32_u24 v7, 0xe0, v118, v126
	s_add_u32 s2, s11, s2
	s_addc_u32 s3, s14, s3
	v_add_nc_u32_e32 v4, s29, v4
	v_mul_hi_u32 v5, v4, s24
	v_add_nc_u32_e32 v5, v4, v5
	v_lshrrev_b32_e32 v5, s25, v5
	v_mul_lo_u32 v5, v5, s26
	v_sub_nc_u32_e32 v6, v4, v5
	v_mad_u64_u32 v[4:5], null, s8, v6, 0
	v_mad_u64_u32 v[5:6], null, s9, v6, v[5:6]
	v_lshlrev_b64 v[4:5], 2, v[4:5]
	v_add_co_u32 v4, vcc_lo, s2, v4
	v_add_co_ci_u32_e64 v5, null, s3, v5, vcc_lo
	v_add_co_u32 v3, vcc_lo, v4, v3
	v_add_co_ci_u32_e64 v4, null, 0, v5, vcc_lo
	global_load_dwordx4 v[3:6], v[3:4], off
	s_waitcnt vmcnt(0)
	v_fma_mixlo_f16 v4, s10, v4, 0
	v_fma_mixlo_f16 v3, s10, v3, 0
	;; [unrolled: 1-line block ×4, first 2 shown]
	v_lshlrev_b32_e32 v4, 16, v4
	v_and_b32_e32 v3, 0xffff, v3
	v_and_b32_e32 v5, 0xffff, v5
	v_lshlrev_b32_e32 v6, 16, v6
	v_or_b32_e32 v3, v4, v3
	v_or3_b32 v4, v6, v5, 0
	v_or3_b32 v3, 0, 0, v3
	ds_write_b64 v7, v[3:4]
.LBB33_11:
	s_or_b32 exec_lo, exec_lo, s15
	s_cmp_eq_u64 s[46:47], 0
	s_waitcnt lgkmcnt(0)
	s_barrier
	buffer_gl0_inv
	s_cbranch_scc1 .LBB33_13
; %bb.12:
	s_load_dword s2, s[4:5], 0xd0
	s_mov_b32 s3, 0
	s_waitcnt lgkmcnt(0)
	s_mul_i32 s2, s2, s33
	s_add_i32 s2, s2, s6
	s_lshl_b64 s[2:3], s[2:3], 2
	s_add_u32 s2, s46, s2
	s_addc_u32 s3, s47, s3
	s_load_dword s34, s[2:3], 0x0
.LBB33_13:
	v_mbcnt_lo_u32_b32 v135, -1, 0
	s_lshl_b32 s31, s28, 5
	s_waitcnt lgkmcnt(0)
	s_cmp_lt_i32 s31, s34
	s_cbranch_scc1 .LBB33_21
; %bb.14:
	v_mbcnt_lo_u32_b32 v9, -1, 0
	v_mov_b32_e32 v137, 32
	v_xor_b32_e32 v172, 16, v9
	v_xor_b32_e32 v170, 8, v9
	;; [unrolled: 1-line block ×5, first 2 shown]
	v_lshlrev_b32_e32 v124, 2, v1
	s_cbranch_execz .LBB33_22
; %bb.15:
	v_mov_b32_e32 v146, 0
	v_mov_b32_e32 v175, 0
	v_mov_b32_e32 v8, 0xfeffffff
	v_mov_b32_e32 v7, 0xfeffffff
	v_mov_b32_e32 v6, 0xfeffffff
	v_mov_b32_e32 v5, 0xfeffffff
	v_mov_b32_e32 v4, 0xfeffffff
	v_mov_b32_e32 v3, 0xfeffffff
	v_mov_b32_e32 v2, 0xfeffffff
	v_mov_b32_e32 v1, 0xfeffffff
	v_mov_b32_e32 v176, 0
	v_mov_b32_e32 v177, 0
	v_mov_b32_e32 v178, 0
	v_mov_b32_e32 v179, 0
	v_mov_b32_e32 v180, 0
	v_mov_b32_e32 v181, 0
	v_mov_b32_e32 v182, 0
	v_mov_b32_e32 v153, 0
	v_mov_b32_e32 v140, 0
	v_mov_b32_e32 v141, 0
	v_mov_b32_e32 v138, 0
	v_mov_b32_e32 v139, 0
	v_mov_b32_e32 v134, 0
	v_mov_b32_e32 v136, 0
	v_mov_b32_e32 v132, 0
	v_mov_b32_e32 v133, 0
	v_mov_b32_e32 v130, 0
	v_mov_b32_e32 v131, 0
	v_mov_b32_e32 v128, 0
	v_mov_b32_e32 v129, 0
	v_mov_b32_e32 v127, 0
	v_mov_b32_e32 v125, 0
	s_branch .LBB33_50
.LBB33_16:
	v_add_nc_u32_e32 v5, s29, v123
	v_mad_u32_u24 v9, 0xe0, v4, v126
	v_mul_hi_u32 v6, v5, s24
	v_add_nc_u32_e32 v6, v5, v6
	v_lshrrev_b32_e32 v6, s25, v6
	v_mul_lo_u32 v6, v6, s26
	v_sub_nc_u32_e32 v7, v5, v6
	v_mad_u64_u32 v[5:6], null, s8, v7, 0
	v_mad_u64_u32 v[6:7], null, s9, v7, v[6:7]
	v_lshlrev_b64 v[5:6], 2, v[5:6]
	v_add_co_u32 v5, vcc_lo, s11, v5
	v_add_co_ci_u32_e64 v6, null, s14, v6, vcc_lo
	v_add_co_u32 v5, vcc_lo, v5, v3
	v_add_co_ci_u32_e64 v6, null, 0, v6, vcc_lo
	global_load_dwordx4 v[5:8], v[5:6], off
	s_waitcnt vmcnt(0)
	v_fma_mixlo_f16 v6, s10, v6, 0
	v_fma_mixlo_f16 v5, s10, v5, 0
	;; [unrolled: 1-line block ×4, first 2 shown]
	v_lshlrev_b32_e32 v6, 16, v6
	v_and_b32_e32 v5, 0xffff, v5
	v_and_b32_e32 v7, 0xffff, v7
	v_lshlrev_b32_e32 v8, 16, v8
	v_or_b32_e32 v6, v6, v5
	v_or3_b32 v5, v8, v7, 0
	v_or3_b32 v4, 0, 0, v6
	ds_write_b64 v9, v[4:5]
	s_or_b32 exec_lo, exec_lo, s15
	v_or_b32_e32 v122, 3, v2
	s_and_saveexec_b32 s15, s0
	s_cbranch_execz .LBB33_6
.LBB33_17:
	v_lshrrev_b32_e32 v4, 1, v122
	s_lshl_b64 s[16:17], s[2:3], 2
	v_mad_u32_u24 v8, 0xe0, v122, v126
	s_add_u32 s16, s11, s16
	s_addc_u32 s17, s14, s17
	v_add_nc_u32_e32 v4, s29, v4
	v_mul_hi_u32 v5, v4, s24
	v_add_nc_u32_e32 v5, v4, v5
	v_lshrrev_b32_e32 v5, s25, v5
	v_mul_lo_u32 v5, v5, s26
	v_sub_nc_u32_e32 v6, v4, v5
	v_mad_u64_u32 v[4:5], null, s8, v6, 0
	v_mad_u64_u32 v[5:6], null, s9, v6, v[5:6]
	v_lshlrev_b64 v[4:5], 2, v[4:5]
	v_add_co_u32 v4, vcc_lo, s16, v4
	v_add_co_ci_u32_e64 v5, null, s17, v5, vcc_lo
	v_add_co_u32 v4, vcc_lo, v4, v3
	v_add_co_ci_u32_e64 v5, null, 0, v5, vcc_lo
	global_load_dwordx4 v[4:7], v[4:5], off
	s_waitcnt vmcnt(0)
	v_fma_mixlo_f16 v5, s10, v5, 0
	v_fma_mixlo_f16 v4, s10, v4, 0
	;; [unrolled: 1-line block ×4, first 2 shown]
	v_lshlrev_b32_e32 v5, 16, v5
	v_and_b32_e32 v4, 0xffff, v4
	v_and_b32_e32 v6, 0xffff, v6
	v_lshlrev_b32_e32 v7, 16, v7
	v_or_b32_e32 v4, v5, v4
	v_or3_b32 v5, v7, v6, 0
	v_or3_b32 v4, 0, 0, v4
	ds_write_b64 v8, v[4:5]
	s_or_b32 exec_lo, exec_lo, s15
	v_or_b32_e32 v121, 4, v2
	s_and_saveexec_b32 s15, s0
	s_cbranch_execz .LBB33_7
.LBB33_18:
	v_lshrrev_b32_e32 v4, 1, v121
	v_mad_u32_u24 v8, 0xe0, v121, v126
	v_add_nc_u32_e32 v4, s29, v4
	v_mul_hi_u32 v5, v4, s24
	v_add_nc_u32_e32 v5, v4, v5
	v_lshrrev_b32_e32 v5, s25, v5
	v_mul_lo_u32 v5, v5, s26
	v_sub_nc_u32_e32 v6, v4, v5
	v_mad_u64_u32 v[4:5], null, s8, v6, 0
	v_mad_u64_u32 v[5:6], null, s9, v6, v[5:6]
	v_lshlrev_b64 v[4:5], 2, v[4:5]
	v_add_co_u32 v4, vcc_lo, s11, v4
	v_add_co_ci_u32_e64 v5, null, s14, v5, vcc_lo
	v_add_co_u32 v4, vcc_lo, v4, v3
	v_add_co_ci_u32_e64 v5, null, 0, v5, vcc_lo
	global_load_dwordx4 v[4:7], v[4:5], off
	s_waitcnt vmcnt(0)
	v_fma_mixlo_f16 v5, s10, v5, 0
	v_fma_mixlo_f16 v4, s10, v4, 0
	;; [unrolled: 1-line block ×4, first 2 shown]
	v_lshlrev_b32_e32 v5, 16, v5
	v_and_b32_e32 v4, 0xffff, v4
	v_and_b32_e32 v6, 0xffff, v6
	v_lshlrev_b32_e32 v7, 16, v7
	v_or_b32_e32 v4, v5, v4
	v_or3_b32 v5, v7, v6, 0
	v_or3_b32 v4, 0, 0, v4
	ds_write_b64 v8, v[4:5]
	s_or_b32 exec_lo, exec_lo, s15
	v_or_b32_e32 v120, 5, v2
	s_and_saveexec_b32 s15, s0
	s_cbranch_execz .LBB33_8
.LBB33_19:
	v_lshrrev_b32_e32 v4, 1, v120
	s_lshl_b64 s[16:17], s[2:3], 2
	v_mad_u32_u24 v8, 0xe0, v120, v126
	s_add_u32 s16, s11, s16
	s_addc_u32 s17, s14, s17
	v_add_nc_u32_e32 v4, s29, v4
	v_mul_hi_u32 v5, v4, s24
	v_add_nc_u32_e32 v5, v4, v5
	v_lshrrev_b32_e32 v5, s25, v5
	v_mul_lo_u32 v5, v5, s26
	v_sub_nc_u32_e32 v6, v4, v5
	v_mad_u64_u32 v[4:5], null, s8, v6, 0
	v_mad_u64_u32 v[5:6], null, s9, v6, v[5:6]
	v_lshlrev_b64 v[4:5], 2, v[4:5]
	v_add_co_u32 v4, vcc_lo, s16, v4
	v_add_co_ci_u32_e64 v5, null, s17, v5, vcc_lo
	v_add_co_u32 v4, vcc_lo, v4, v3
	v_add_co_ci_u32_e64 v5, null, 0, v5, vcc_lo
	global_load_dwordx4 v[4:7], v[4:5], off
	s_waitcnt vmcnt(0)
	v_fma_mixlo_f16 v5, s10, v5, 0
	v_fma_mixlo_f16 v4, s10, v4, 0
	;; [unrolled: 1-line block ×4, first 2 shown]
	v_lshlrev_b32_e32 v5, 16, v5
	v_and_b32_e32 v4, 0xffff, v4
	v_and_b32_e32 v6, 0xffff, v6
	v_lshlrev_b32_e32 v7, 16, v7
	v_or_b32_e32 v4, v5, v4
	v_or3_b32 v5, v7, v6, 0
	v_or3_b32 v4, 0, 0, v4
	ds_write_b64 v8, v[4:5]
	s_or_b32 exec_lo, exec_lo, s15
	v_or_b32_e32 v119, 6, v2
	s_and_saveexec_b32 s15, s0
	s_cbranch_execz .LBB33_9
.LBB33_20:
	v_lshrrev_b32_e32 v4, 1, v119
	v_mad_u32_u24 v8, 0xe0, v119, v126
	v_add_nc_u32_e32 v4, s29, v4
	v_mul_hi_u32 v5, v4, s24
	v_add_nc_u32_e32 v5, v4, v5
	v_lshrrev_b32_e32 v5, s25, v5
	v_mul_lo_u32 v5, v5, s26
	v_sub_nc_u32_e32 v6, v4, v5
	v_mad_u64_u32 v[4:5], null, s8, v6, 0
	v_mad_u64_u32 v[5:6], null, s9, v6, v[5:6]
	v_lshlrev_b64 v[4:5], 2, v[4:5]
	v_add_co_u32 v4, vcc_lo, s11, v4
	v_add_co_ci_u32_e64 v5, null, s14, v5, vcc_lo
	v_add_co_u32 v4, vcc_lo, v4, v3
	v_add_co_ci_u32_e64 v5, null, 0, v5, vcc_lo
	global_load_dwordx4 v[4:7], v[4:5], off
	s_waitcnt vmcnt(0)
	v_fma_mixlo_f16 v5, s10, v5, 0
	v_fma_mixlo_f16 v4, s10, v4, 0
	;; [unrolled: 1-line block ×4, first 2 shown]
	v_lshlrev_b32_e32 v5, 16, v5
	v_and_b32_e32 v4, 0xffff, v4
	v_and_b32_e32 v6, 0xffff, v6
	v_lshlrev_b32_e32 v7, 16, v7
	v_or_b32_e32 v4, v5, v4
	v_or3_b32 v5, v7, v6, 0
	v_or3_b32 v4, 0, 0, v4
	ds_write_b64 v8, v[4:5]
	s_or_b32 exec_lo, exec_lo, s15
	v_or_b32_e32 v118, 7, v2
	s_and_saveexec_b32 s15, s0
	s_cbranch_execnz .LBB33_10
	s_branch .LBB33_11
.LBB33_21:
                                        ; implicit-def: $vgpr9
                                        ; implicit-def: $vgpr137
                                        ; implicit-def: $vgpr172
                                        ; implicit-def: $vgpr170
                                        ; implicit-def: $vgpr171
                                        ; implicit-def: $vgpr173
                                        ; implicit-def: $vgpr174
	v_lshlrev_b32_e32 v124, 2, v1
.LBB33_22:
	s_clause 0x1
	s_load_dwordx4 s[8:11], s[4:5], 0x98
	s_load_dwordx2 s[2:3], s[4:5], 0x8c
	v_add_nc_u32_e32 v7, s29, v124
	s_sub_i32 s6, 0, s7
	v_lshrrev_b32_e32 v4, 2, v0
	s_mul_i32 s6, s6, s13
	v_lshl_add_u32 v5, v1, 5, v0
	v_add_nc_u32_e32 v11, 1, v7
	v_add_nc_u32_e32 v12, 2, v7
	s_mul_hi_u32 s6, s13, s6
	v_add_nc_u32_e32 v9, v4, v2
	v_lshlrev_b32_e32 v2, 7, v0
	v_mul_hi_u32 v6, s24, v11
	v_mul_hi_u32 v14, s24, v12
	v_add_nc_u32_e32 v13, 3, v7
	s_abs_i32 s16, s30
	s_add_i32 s13, s13, s6
	s_ashr_i32 s6, s1, 1
	s_mul_hi_u32 s1, s16, s13
	s_ashr_i32 s13, s33, 31
	s_waitcnt lgkmcnt(0)
	s_ashr_i32 s35, s10, 2
	s_ashr_i32 s42, s2, 2
	s_mul_hi_u32 s2, s8, s33
	s_mul_i32 s10, s8, s13
	v_cmp_gt_u32_e32 vcc_lo, 32, v5
	v_add_nc_u32_e32 v142, 0x3800, v2
	v_add_nc_u32_e32 v144, 0x3860, v2
	v_mul_lo_u32 v2, s42, v5
	v_mul_hi_u32 v5, s24, v7
	v_mul_hi_u32 v15, s24, v13
	v_add_nc_u32_e32 v6, v11, v6
	v_add_nc_u32_e32 v14, v12, v14
	s_mul_i32 s9, s9, s33
	s_add_i32 s2, s2, s10
	s_mul_i32 s8, s8, s33
	s_ashr_i32 s17, s30, 31
	s_ashr_i32 s12, s12, 31
	s_load_dwordx2 s[14:15], s[4:5], 0xa8
	s_mul_i32 s18, s1, s7
	s_add_i32 s2, s2, s9
	s_add_u32 s8, s38, s8
	v_lshrrev_b32_e32 v20, s25, v6
	v_lshrrev_b32_e32 v14, s25, v14
	s_addc_u32 s2, s39, s2
	s_sub_i32 s10, s16, s18
	s_xor_b32 s9, s17, s12
	s_add_i32 s12, s1, 1
	s_sub_i32 s16, s10, s7
	v_add_nc_u32_e32 v5, v7, v5
	v_add_nc_u32_e32 v15, v13, v15
	s_cmp_ge_u32 s10, s7
	v_mul_lo_u32 v20, v20, s26
	v_mul_lo_u32 v14, v14, s26
	s_cselect_b32 s1, s12, s1
	v_and_b32_e32 v17, 12, v105
	s_cselect_b32 s10, s16, s10
	v_lshrrev_b32_e32 v3, 1, v0
	s_add_i32 s12, s1, 1
	v_and_b32_e32 v16, 4, v105
	v_lshrrev_b32_e32 v5, s25, v5
	v_lshrrev_b32_e32 v15, s25, v15
	s_cmp_ge_u32 s10, s7
	v_lshlrev_b32_e32 v18, 2, v17
	s_cselect_b32 s1, s12, s1
	v_lshl_add_u32 v8, v1, 4, v3
	s_xor_b32 s1, s1, s9
	v_lshlrev_b32_e32 v10, 2, v16
	v_mul_lo_u32 v21, v5, s26
	v_mul_lo_u32 v15, v15, s26
	v_sub_nc_u32_e32 v11, v11, v20
	v_sub_nc_u32_e32 v12, v12, v14
	v_lshrrev_b32_e32 v14, 3, v0
	s_sub_i32 s1, s1, s9
	v_lshl_or_b32 v19, v9, 7, v18
	s_mul_i32 s3, s1, s3
	v_lshl_or_b32 v4, v8, 7, v10
	v_mul_lo_u32 v149, v11, s6
	v_mul_lo_u32 v150, v12, s6
	v_add_nc_u32_e32 v11, v14, v124
	v_mul_u32_u24_e32 v12, 0xe0, v8
	s_waitcnt lgkmcnt(0)
	s_mul_hi_u32 s7, s14, s33
	s_mul_i32 s10, s14, s13
	s_ashr_i32 s13, s3, 31
	s_add_u32 s38, s8, s3
	s_mul_i32 s9, s15, s33
	s_addc_u32 s39, s2, s13
	s_add_i32 s2, s7, s10
	v_add_nc_u32_e32 v147, 0x3800, v19
	v_sub_nc_u32_e32 v19, v7, v21
	v_sub_nc_u32_e32 v13, v13, v15
	v_and_b32_e32 v154, 28, v105
	s_mul_i32 s12, s14, s33
	s_mul_i32 s1, s1, s11
	s_add_i32 s2, s2, s9
	v_mul_u32_u24_e32 v143, 0x700, v1
	v_add_nc_u32_e32 v145, 0x3840, v4
	v_mul_lo_u32 v4, s42, v8
	v_mul_lo_u32 v6, s42, v9
	v_lshl_add_u32 v152, v1, 9, 0x4840
	v_or_b32_e32 v1, v12, v10
	v_mul_lo_u32 v10, s35, v8
	v_mul_lo_u32 v12, s35, v9
	;; [unrolled: 1-line block ×3, first 2 shown]
	s_add_u32 s3, s40, s12
	s_addc_u32 s8, s41, s2
	s_ashr_i32 s9, s1, 31
	s_add_u32 s40, s3, s1
	v_cmp_gt_u32_e64 s1, 32, v8
	v_cmp_gt_u32_e64 s2, 32, v9
	v_mul_lo_u32 v148, v19, s6
	v_mul_lo_u32 v151, v13, s6
	v_cmp_gt_u32_e64 s3, 16, v8
	v_cmp_gt_u32_e64 s6, 16, v9
	v_mul_u32_u24_e32 v8, 0xe0, v9
	v_mul_u32_u24_e32 v9, 0xe0, v11
	v_lshlrev_b32_e32 v15, 2, v154
	v_ashrrev_i32_e32 v3, 31, v2
	v_ashrrev_i32_e32 v5, 31, v4
	;; [unrolled: 1-line block ×3, first 2 shown]
	v_cmp_gt_u32_e64 s7, 16, v11
	v_ashrrev_i32_e32 v11, 31, v10
	v_ashrrev_i32_e32 v13, 31, v12
	v_add3_u32 v157, v9, v15, 0x3800
	v_ashrrev_i32_e32 v15, 31, v14
	v_lshlrev_b32_e32 v19, 4, v0
	v_lshlrev_b64 v[106:107], 2, v[2:3]
	v_lshlrev_b64 v[108:109], 2, v[4:5]
	;; [unrolled: 1-line block ×6, first 2 shown]
	v_mov_b32_e32 v125, 0
	v_add_nc_u32_e32 v155, 0x38c0, v1
	v_add3_u32 v156, v8, v18, 0x3880
	v_mov_b32_e32 v9, 0xfeffffff
	v_mov_b32_e32 v137, 32
	v_add_nc_u32_e32 v158, v152, v19
	v_lshlrev_b32_e32 v159, 2, v16
	v_lshlrev_b32_e32 v160, 2, v17
	v_mov_b32_e32 v161, 0x10001
	v_mov_b32_e32 v127, 0
	;; [unrolled: 1-line block ×31, first 2 shown]
	s_addc_u32 s41, s8, s9
	s_add_u32 s36, s4, 0xd0
	s_addc_u32 s37, s5, 0
.LBB33_23:                              ; =>This Inner Loop Header: Depth=1
	s_mul_hi_i32 s9, s31, s42
	s_mul_i32 s8, s31, s42
	s_lshl_b64 s[10:11], s[8:9], 2
	s_add_u32 s9, s38, s10
	s_addc_u32 s10, s39, s11
	s_and_saveexec_b32 s11, vcc_lo
	s_cbranch_execnz .LBB33_41
; %bb.24:                               ;   in Loop: Header=BB33_23 Depth=1
	s_or_b32 exec_lo, exec_lo, s11
	s_and_saveexec_b32 s11, s1
	s_cbranch_execnz .LBB33_42
.LBB33_25:                              ;   in Loop: Header=BB33_23 Depth=1
	s_or_b32 exec_lo, exec_lo, s11
	s_and_saveexec_b32 s11, s2
	s_cbranch_execz .LBB33_27
.LBB33_26:                              ;   in Loop: Header=BB33_23 Depth=1
	v_add_co_u32 v1, s8, s9, v110
	v_add_co_ci_u32_e64 v2, null, s10, v111, s8
	v_add_co_u32 v1, s8, v1, v160
	v_add_co_ci_u32_e64 v2, null, 0, v2, s8
	global_load_dwordx4 v[1:4], v[1:2], off
	s_waitcnt vmcnt(0)
	ds_write_b128 v147, v[1:4]
.LBB33_27:                              ;   in Loop: Header=BB33_23 Depth=1
	s_or_b32 exec_lo, exec_lo, s11
	s_waitcnt lgkmcnt(0)
	s_barrier
	buffer_gl0_inv
	ds_read_b128 v[17:20], v142
	ds_read_b128 v[21:24], v143
	ds_read_b128 v[25:28], v143 offset:224
	ds_read_b128 v[29:32], v143 offset:448
	;; [unrolled: 1-line block ×7, first 2 shown]
	v_mov_b32_e32 v1, 0
	v_mov_b32_e32 v2, 0
	;; [unrolled: 1-line block ×8, first 2 shown]
	s_waitcnt lgkmcnt(7)
	;;#ASMSTART
	v_dot2_f32_f16 v1, v17, v21, v1
	;;#ASMEND
	;;#ASMSTART
	v_dot2_f32_f16 v1, v18, v22, v1
	;;#ASMEND
	;;#ASMSTART
	v_dot2_f32_f16 v1, v19, v23, v1
	;;#ASMEND
	;;#ASMSTART
	v_dot2_f32_f16 v1, v20, v24, v1
	;;#ASMEND
	s_waitcnt lgkmcnt(6)
	;;#ASMSTART
	v_dot2_f32_f16 v2, v17, v25, v2
	;;#ASMEND
	;;#ASMSTART
	v_dot2_f32_f16 v2, v18, v26, v2
	;;#ASMEND
	;;#ASMSTART
	v_dot2_f32_f16 v2, v19, v27, v2
	;;#ASMEND
	;;#ASMSTART
	v_dot2_f32_f16 v2, v20, v28, v2
	;;#ASMEND
	;; [unrolled: 13-line block ×8, first 2 shown]
	ds_read_b128 v[17:20], v142 offset:16
	ds_read_b128 v[21:24], v143 offset:16
	ds_read_b128 v[25:28], v143 offset:240
	ds_read_b128 v[29:32], v143 offset:464
	ds_read_b128 v[33:36], v143 offset:688
	ds_read_b128 v[37:40], v143 offset:912
	ds_read_b128 v[41:44], v143 offset:1136
	ds_read_b128 v[45:48], v143 offset:1360
	ds_read_b128 v[49:52], v143 offset:1584
	s_waitcnt lgkmcnt(7)
	;;#ASMSTART
	v_dot2_f32_f16 v1, v17, v21, v1
	;;#ASMEND
	;;#ASMSTART
	v_dot2_f32_f16 v1, v18, v22, v1
	;;#ASMEND
	;;#ASMSTART
	v_dot2_f32_f16 v1, v19, v23, v1
	;;#ASMEND
	;;#ASMSTART
	v_dot2_f32_f16 v1, v20, v24, v1
	;;#ASMEND
	s_waitcnt lgkmcnt(6)
	;;#ASMSTART
	v_dot2_f32_f16 v2, v17, v25, v2
	;;#ASMEND
	;;#ASMSTART
	v_dot2_f32_f16 v2, v18, v26, v2
	;;#ASMEND
	;;#ASMSTART
	v_dot2_f32_f16 v2, v19, v27, v2
	;;#ASMEND
	;;#ASMSTART
	v_dot2_f32_f16 v2, v20, v28, v2
	;;#ASMEND
	;; [unrolled: 13-line block ×8, first 2 shown]
	ds_read_b128 v[17:20], v142 offset:32
	ds_read_b128 v[21:24], v143 offset:32
	;; [unrolled: 1-line block ×9, first 2 shown]
	s_waitcnt lgkmcnt(7)
	;;#ASMSTART
	v_dot2_f32_f16 v1, v17, v21, v1
	;;#ASMEND
	;;#ASMSTART
	v_dot2_f32_f16 v1, v18, v22, v1
	;;#ASMEND
	;;#ASMSTART
	v_dot2_f32_f16 v1, v19, v23, v1
	;;#ASMEND
	;;#ASMSTART
	v_dot2_f32_f16 v1, v20, v24, v1
	;;#ASMEND
	s_waitcnt lgkmcnt(6)
	;;#ASMSTART
	v_dot2_f32_f16 v2, v17, v25, v2
	;;#ASMEND
	;;#ASMSTART
	v_dot2_f32_f16 v2, v18, v26, v2
	;;#ASMEND
	;;#ASMSTART
	v_dot2_f32_f16 v2, v19, v27, v2
	;;#ASMEND
	;;#ASMSTART
	v_dot2_f32_f16 v2, v20, v28, v2
	;;#ASMEND
	;; [unrolled: 13-line block ×8, first 2 shown]
	ds_read_b128 v[17:20], v142 offset:48
	ds_read_b128 v[21:24], v143 offset:48
	;; [unrolled: 1-line block ×9, first 2 shown]
	s_waitcnt lgkmcnt(7)
	;;#ASMSTART
	v_dot2_f32_f16 v1, v17, v21, v1
	;;#ASMEND
	;;#ASMSTART
	v_dot2_f32_f16 v1, v18, v22, v1
	;;#ASMEND
	;;#ASMSTART
	v_dot2_f32_f16 v1, v19, v23, v1
	;;#ASMEND
	;;#ASMSTART
	v_dot2_f32_f16 v1, v20, v24, v1
	;;#ASMEND
	s_waitcnt lgkmcnt(6)
	;;#ASMSTART
	v_dot2_f32_f16 v2, v17, v25, v2
	;;#ASMEND
	;;#ASMSTART
	v_dot2_f32_f16 v2, v18, v26, v2
	;;#ASMEND
	;;#ASMSTART
	v_dot2_f32_f16 v2, v19, v27, v2
	;;#ASMEND
	;;#ASMSTART
	v_dot2_f32_f16 v2, v20, v28, v2
	;;#ASMEND
	;; [unrolled: 13-line block ×8, first 2 shown]
	ds_read_b128 v[17:20], v142 offset:64
	ds_read_b128 v[21:24], v143 offset:64
	;; [unrolled: 1-line block ×9, first 2 shown]
	s_waitcnt lgkmcnt(7)
	;;#ASMSTART
	v_dot2_f32_f16 v1, v17, v21, v1
	;;#ASMEND
	;;#ASMSTART
	v_dot2_f32_f16 v1, v18, v22, v1
	;;#ASMEND
	;;#ASMSTART
	v_dot2_f32_f16 v1, v19, v23, v1
	;;#ASMEND
	;;#ASMSTART
	v_dot2_f32_f16 v1, v20, v24, v1
	;;#ASMEND
	s_waitcnt lgkmcnt(6)
	;;#ASMSTART
	v_dot2_f32_f16 v2, v17, v25, v2
	;;#ASMEND
	;;#ASMSTART
	v_dot2_f32_f16 v2, v18, v26, v2
	;;#ASMEND
	;;#ASMSTART
	v_dot2_f32_f16 v2, v19, v27, v2
	;;#ASMEND
	;;#ASMSTART
	v_dot2_f32_f16 v2, v20, v28, v2
	;;#ASMEND
	;; [unrolled: 13-line block ×8, first 2 shown]
	ds_read_b128 v[17:20], v142 offset:80
	ds_read_b128 v[21:24], v143 offset:80
	;; [unrolled: 1-line block ×9, first 2 shown]
	s_waitcnt lgkmcnt(7)
	;;#ASMSTART
	v_dot2_f32_f16 v1, v17, v21, v1
	;;#ASMEND
	;;#ASMSTART
	v_dot2_f32_f16 v1, v18, v22, v1
	;;#ASMEND
	;;#ASMSTART
	v_dot2_f32_f16 v1, v19, v23, v1
	;;#ASMEND
	;;#ASMSTART
	v_dot2_f32_f16 v1, v20, v24, v1
	;;#ASMEND
	s_waitcnt lgkmcnt(6)
	;;#ASMSTART
	v_dot2_f32_f16 v2, v17, v25, v2
	;;#ASMEND
	;;#ASMSTART
	v_dot2_f32_f16 v2, v18, v26, v2
	;;#ASMEND
	;;#ASMSTART
	v_dot2_f32_f16 v2, v19, v27, v2
	;;#ASMEND
	;;#ASMSTART
	v_dot2_f32_f16 v2, v20, v28, v2
	;;#ASMEND
	;; [unrolled: 13-line block ×8, first 2 shown]
	ds_read_b128 v[17:20], v142 offset:96
	ds_read_b128 v[21:24], v143 offset:96
	;; [unrolled: 1-line block ×9, first 2 shown]
	s_waitcnt lgkmcnt(7)
	;;#ASMSTART
	v_dot2_f32_f16 v1, v17, v21, v1
	;;#ASMEND
	;;#ASMSTART
	v_dot2_f32_f16 v1, v18, v22, v1
	;;#ASMEND
	;;#ASMSTART
	v_dot2_f32_f16 v1, v19, v23, v1
	;;#ASMEND
	;;#ASMSTART
	v_dot2_f32_f16 v1, v20, v24, v1
	;;#ASMEND
	s_waitcnt lgkmcnt(6)
	;;#ASMSTART
	v_dot2_f32_f16 v2, v17, v25, v2
	;;#ASMEND
	;;#ASMSTART
	v_dot2_f32_f16 v2, v18, v26, v2
	;;#ASMEND
	;;#ASMSTART
	v_dot2_f32_f16 v2, v19, v27, v2
	;;#ASMEND
	;;#ASMSTART
	v_dot2_f32_f16 v2, v20, v28, v2
	;;#ASMEND
	;; [unrolled: 13-line block ×8, first 2 shown]
	s_barrier
	buffer_gl0_inv
	s_and_saveexec_b32 s11, vcc_lo
	s_cbranch_execnz .LBB33_43
; %bb.28:                               ;   in Loop: Header=BB33_23 Depth=1
	s_or_b32 exec_lo, exec_lo, s11
	s_and_saveexec_b32 s11, s1
	s_cbranch_execnz .LBB33_44
.LBB33_29:                              ;   in Loop: Header=BB33_23 Depth=1
	s_or_b32 exec_lo, exec_lo, s11
	s_and_saveexec_b32 s11, s2
	s_cbranch_execz .LBB33_31
.LBB33_30:                              ;   in Loop: Header=BB33_23 Depth=1
	v_add_co_u32 v17, s8, s9, v110
	v_add_co_ci_u32_e64 v18, null, s10, v111, s8
	v_add_co_u32 v17, s8, v17, v160
	v_add_co_ci_u32_e64 v18, null, 0, v18, s8
	global_load_dwordx4 v[17:20], v[17:18], off offset:112
	s_waitcnt vmcnt(0)
	ds_write_b128 v147, v[17:20]
.LBB33_31:                              ;   in Loop: Header=BB33_23 Depth=1
	s_or_b32 exec_lo, exec_lo, s11
	s_waitcnt lgkmcnt(0)
	s_barrier
	buffer_gl0_inv
	ds_read_b128 v[17:20], v142
	ds_read_b128 v[21:24], v143 offset:112
	ds_read_b128 v[25:28], v143 offset:336
	;; [unrolled: 1-line block ×8, first 2 shown]
	v_add_nc_u32_e32 v54, s31, v0
	v_xor_b32_e32 v172, 16, v135
	v_xor_b32_e32 v170, 8, v135
	v_xor_b32_e32 v171, 4, v135
	v_xor_b32_e32 v173, 2, v135
	v_add_nc_u32_e32 v53, v54, v148
	v_add_nc_u32_e32 v55, v54, v149
	;; [unrolled: 1-line block ×4, first 2 shown]
	s_waitcnt lgkmcnt(7)
	;;#ASMSTART
	v_dot2_f32_f16 v1, v17, v21, v1
	;;#ASMEND
	;;#ASMSTART
	v_dot2_f32_f16 v1, v18, v22, v1
	;;#ASMEND
	;;#ASMSTART
	v_dot2_f32_f16 v1, v19, v23, v1
	;;#ASMEND
	;;#ASMSTART
	v_dot2_f32_f16 v1, v20, v24, v1
	;;#ASMEND
	s_waitcnt lgkmcnt(6)
	;;#ASMSTART
	v_dot2_f32_f16 v2, v17, v25, v2
	;;#ASMEND
	;;#ASMSTART
	v_dot2_f32_f16 v2, v18, v26, v2
	;;#ASMEND
	;;#ASMSTART
	v_dot2_f32_f16 v2, v19, v27, v2
	;;#ASMEND
	;;#ASMSTART
	v_dot2_f32_f16 v2, v20, v28, v2
	;;#ASMEND
	;; [unrolled: 13-line block ×8, first 2 shown]
	ds_read_b128 v[17:20], v142 offset:16
	ds_read_b128 v[21:24], v143 offset:128
	;; [unrolled: 1-line block ×9, first 2 shown]
	v_ashrrev_i32_e32 v54, 31, v53
	s_waitcnt lgkmcnt(7)
	;;#ASMSTART
	v_dot2_f32_f16 v1, v17, v21, v1
	;;#ASMEND
	;;#ASMSTART
	v_dot2_f32_f16 v1, v18, v22, v1
	;;#ASMEND
	;;#ASMSTART
	v_dot2_f32_f16 v1, v19, v23, v1
	;;#ASMEND
	;;#ASMSTART
	v_dot2_f32_f16 v1, v20, v24, v1
	;;#ASMEND
	s_waitcnt lgkmcnt(6)
	;;#ASMSTART
	v_dot2_f32_f16 v2, v17, v25, v2
	;;#ASMEND
	;;#ASMSTART
	v_dot2_f32_f16 v2, v18, v26, v2
	;;#ASMEND
	;;#ASMSTART
	v_dot2_f32_f16 v2, v19, v27, v2
	;;#ASMEND
	;;#ASMSTART
	v_dot2_f32_f16 v2, v20, v28, v2
	;;#ASMEND
	s_waitcnt lgkmcnt(5)
	;;#ASMSTART
	v_dot2_f32_f16 v3, v17, v29, v3
	;;#ASMEND
	;;#ASMSTART
	v_dot2_f32_f16 v3, v18, v30, v3
	;;#ASMEND
	;;#ASMSTART
	v_dot2_f32_f16 v3, v19, v31, v3
	;;#ASMEND
	;;#ASMSTART
	v_dot2_f32_f16 v3, v20, v32, v3
	;;#ASMEND
	s_waitcnt lgkmcnt(4)
	;;#ASMSTART
	v_dot2_f32_f16 v4, v17, v33, v4
	;;#ASMEND
	;;#ASMSTART
	v_dot2_f32_f16 v4, v18, v34, v4
	;;#ASMEND
	;;#ASMSTART
	v_dot2_f32_f16 v4, v19, v35, v4
	;;#ASMEND
	;;#ASMSTART
	v_dot2_f32_f16 v4, v20, v36, v4
	;;#ASMEND
	s_waitcnt lgkmcnt(3)
	;;#ASMSTART
	v_dot2_f32_f16 v5, v17, v37, v5
	;;#ASMEND
	;;#ASMSTART
	v_dot2_f32_f16 v5, v18, v38, v5
	;;#ASMEND
	;;#ASMSTART
	v_dot2_f32_f16 v5, v19, v39, v5
	;;#ASMEND
	;;#ASMSTART
	v_dot2_f32_f16 v5, v20, v40, v5
	;;#ASMEND
	s_waitcnt lgkmcnt(2)
	;;#ASMSTART
	v_dot2_f32_f16 v6, v17, v41, v6
	;;#ASMEND
	;;#ASMSTART
	v_dot2_f32_f16 v6, v18, v42, v6
	;;#ASMEND
	;;#ASMSTART
	v_dot2_f32_f16 v6, v19, v43, v6
	;;#ASMEND
	;;#ASMSTART
	v_dot2_f32_f16 v6, v20, v44, v6
	;;#ASMEND
	s_waitcnt lgkmcnt(1)
	;;#ASMSTART
	v_dot2_f32_f16 v7, v17, v45, v7
	;;#ASMEND
	;;#ASMSTART
	v_dot2_f32_f16 v7, v18, v46, v7
	;;#ASMEND
	;;#ASMSTART
	v_dot2_f32_f16 v7, v19, v47, v7
	;;#ASMEND
	;;#ASMSTART
	v_dot2_f32_f16 v7, v20, v48, v7
	;;#ASMEND
	s_waitcnt lgkmcnt(0)
	;;#ASMSTART
	v_dot2_f32_f16 v8, v17, v49, v8
	;;#ASMEND
	;;#ASMSTART
	v_dot2_f32_f16 v8, v18, v50, v8
	;;#ASMEND
	;;#ASMSTART
	v_dot2_f32_f16 v8, v19, v51, v8
	;;#ASMEND
	;;#ASMSTART
	v_dot2_f32_f16 v8, v20, v52, v8
	;;#ASMEND
	ds_read_b128 v[17:20], v142 offset:32
	ds_read_b128 v[21:24], v143 offset:144
	;; [unrolled: 1-line block ×9, first 2 shown]
	s_waitcnt lgkmcnt(7)
	;;#ASMSTART
	v_dot2_f32_f16 v1, v17, v21, v1
	;;#ASMEND
	;;#ASMSTART
	v_dot2_f32_f16 v1, v18, v22, v1
	;;#ASMEND
	;;#ASMSTART
	v_dot2_f32_f16 v1, v19, v23, v1
	;;#ASMEND
	;;#ASMSTART
	v_dot2_f32_f16 v1, v20, v24, v1
	;;#ASMEND
	s_waitcnt lgkmcnt(6)
	;;#ASMSTART
	v_dot2_f32_f16 v2, v17, v25, v2
	;;#ASMEND
	;;#ASMSTART
	v_dot2_f32_f16 v2, v18, v26, v2
	;;#ASMEND
	;;#ASMSTART
	v_dot2_f32_f16 v2, v19, v27, v2
	;;#ASMEND
	;;#ASMSTART
	v_dot2_f32_f16 v2, v20, v28, v2
	;;#ASMEND
	;; [unrolled: 13-line block ×8, first 2 shown]
	ds_read_b128 v[17:20], v142 offset:48
	ds_read_b128 v[21:24], v143 offset:160
	;; [unrolled: 1-line block ×9, first 2 shown]
	s_waitcnt lgkmcnt(7)
	;;#ASMSTART
	v_dot2_f32_f16 v1, v17, v21, v1
	;;#ASMEND
	;;#ASMSTART
	v_dot2_f32_f16 v1, v18, v22, v1
	;;#ASMEND
	;;#ASMSTART
	v_dot2_f32_f16 v1, v19, v23, v1
	;;#ASMEND
	;;#ASMSTART
	v_dot2_f32_f16 v1, v20, v24, v1
	;;#ASMEND
	s_waitcnt lgkmcnt(6)
	;;#ASMSTART
	v_dot2_f32_f16 v2, v17, v25, v2
	;;#ASMEND
	;;#ASMSTART
	v_dot2_f32_f16 v2, v18, v26, v2
	;;#ASMEND
	;;#ASMSTART
	v_dot2_f32_f16 v2, v19, v27, v2
	;;#ASMEND
	;;#ASMSTART
	v_dot2_f32_f16 v2, v20, v28, v2
	;;#ASMEND
	;; [unrolled: 13-line block ×8, first 2 shown]
	ds_read_b128 v[17:20], v142 offset:64
	ds_read_b128 v[21:24], v143 offset:176
	ds_read_b128 v[25:28], v143 offset:400
	ds_read_b128 v[29:32], v143 offset:624
	ds_read_b128 v[33:36], v143 offset:848
	ds_read_b128 v[37:40], v143 offset:1072
	ds_read_b128 v[41:44], v143 offset:1296
	ds_read_b128 v[45:48], v143 offset:1520
	ds_read_b128 v[49:52], v143 offset:1744
	s_waitcnt lgkmcnt(7)
	;;#ASMSTART
	v_dot2_f32_f16 v1, v17, v21, v1
	;;#ASMEND
	;;#ASMSTART
	v_dot2_f32_f16 v1, v18, v22, v1
	;;#ASMEND
	;;#ASMSTART
	v_dot2_f32_f16 v1, v19, v23, v1
	;;#ASMEND
	;;#ASMSTART
	v_dot2_f32_f16 v1, v20, v24, v1
	;;#ASMEND
	s_waitcnt lgkmcnt(6)
	;;#ASMSTART
	v_dot2_f32_f16 v2, v17, v25, v2
	;;#ASMEND
	;;#ASMSTART
	v_dot2_f32_f16 v2, v18, v26, v2
	;;#ASMEND
	;;#ASMSTART
	v_dot2_f32_f16 v2, v19, v27, v2
	;;#ASMEND
	;;#ASMSTART
	v_dot2_f32_f16 v2, v20, v28, v2
	;;#ASMEND
	s_waitcnt lgkmcnt(5)
	;;#ASMSTART
	v_dot2_f32_f16 v3, v17, v29, v3
	;;#ASMEND
	;;#ASMSTART
	v_dot2_f32_f16 v3, v18, v30, v3
	;;#ASMEND
	;;#ASMSTART
	v_dot2_f32_f16 v3, v19, v31, v3
	;;#ASMEND
	;;#ASMSTART
	v_dot2_f32_f16 v3, v20, v32, v3
	;;#ASMEND
	s_waitcnt lgkmcnt(4)
	;;#ASMSTART
	v_dot2_f32_f16 v4, v17, v33, v4
	;;#ASMEND
	;;#ASMSTART
	v_dot2_f32_f16 v4, v18, v34, v4
	;;#ASMEND
	;;#ASMSTART
	v_dot2_f32_f16 v4, v19, v35, v4
	;;#ASMEND
	;;#ASMSTART
	v_dot2_f32_f16 v4, v20, v36, v4
	;;#ASMEND
	s_waitcnt lgkmcnt(3)
	;;#ASMSTART
	v_dot2_f32_f16 v5, v17, v37, v5
	;;#ASMEND
	;;#ASMSTART
	v_dot2_f32_f16 v5, v18, v38, v5
	;;#ASMEND
	;;#ASMSTART
	v_dot2_f32_f16 v5, v19, v39, v5
	;;#ASMEND
	;;#ASMSTART
	v_dot2_f32_f16 v5, v20, v40, v5
	;;#ASMEND
	s_waitcnt lgkmcnt(2)
	;;#ASMSTART
	v_dot2_f32_f16 v6, v17, v41, v6
	;;#ASMEND
	;;#ASMSTART
	v_dot2_f32_f16 v6, v18, v42, v6
	;;#ASMEND
	;;#ASMSTART
	v_dot2_f32_f16 v6, v19, v43, v6
	;;#ASMEND
	;;#ASMSTART
	v_dot2_f32_f16 v6, v20, v44, v6
	;;#ASMEND
	s_waitcnt lgkmcnt(1)
	;;#ASMSTART
	v_dot2_f32_f16 v7, v17, v45, v7
	;;#ASMEND
	;;#ASMSTART
	v_dot2_f32_f16 v7, v18, v46, v7
	;;#ASMEND
	;;#ASMSTART
	v_dot2_f32_f16 v7, v19, v47, v7
	;;#ASMEND
	;;#ASMSTART
	v_dot2_f32_f16 v7, v20, v48, v7
	;;#ASMEND
	s_waitcnt lgkmcnt(0)
	;;#ASMSTART
	v_dot2_f32_f16 v8, v17, v49, v8
	;;#ASMEND
	;;#ASMSTART
	v_dot2_f32_f16 v8, v18, v50, v8
	;;#ASMEND
	;;#ASMSTART
	v_dot2_f32_f16 v8, v19, v51, v8
	;;#ASMEND
	;;#ASMSTART
	v_dot2_f32_f16 v8, v20, v52, v8
	;;#ASMEND
	ds_read_b128 v[17:20], v142 offset:80
	ds_read_b128 v[21:24], v143 offset:192
	;; [unrolled: 1-line block ×9, first 2 shown]
	s_waitcnt lgkmcnt(7)
	;;#ASMSTART
	v_dot2_f32_f16 v1, v17, v21, v1
	;;#ASMEND
	;;#ASMSTART
	v_dot2_f32_f16 v1, v18, v22, v1
	;;#ASMEND
	;;#ASMSTART
	v_dot2_f32_f16 v1, v19, v23, v1
	;;#ASMEND
	;;#ASMSTART
	v_dot2_f32_f16 v1, v20, v24, v1
	;;#ASMEND
	s_waitcnt lgkmcnt(6)
	;;#ASMSTART
	v_dot2_f32_f16 v2, v17, v25, v2
	;;#ASMEND
	;;#ASMSTART
	v_dot2_f32_f16 v2, v18, v26, v2
	;;#ASMEND
	;;#ASMSTART
	v_dot2_f32_f16 v2, v19, v27, v2
	;;#ASMEND
	;;#ASMSTART
	v_dot2_f32_f16 v2, v20, v28, v2
	;;#ASMEND
	s_waitcnt lgkmcnt(5)
	;;#ASMSTART
	v_dot2_f32_f16 v3, v17, v29, v3
	;;#ASMEND
	;;#ASMSTART
	v_dot2_f32_f16 v3, v18, v30, v3
	;;#ASMEND
	;;#ASMSTART
	v_dot2_f32_f16 v3, v19, v31, v3
	;;#ASMEND
	;;#ASMSTART
	v_dot2_f32_f16 v3, v20, v32, v3
	;;#ASMEND
	s_waitcnt lgkmcnt(4)
	;;#ASMSTART
	v_dot2_f32_f16 v4, v17, v33, v4
	;;#ASMEND
	;;#ASMSTART
	v_dot2_f32_f16 v4, v18, v34, v4
	;;#ASMEND
	;;#ASMSTART
	v_dot2_f32_f16 v4, v19, v35, v4
	;;#ASMEND
	;;#ASMSTART
	v_dot2_f32_f16 v4, v20, v36, v4
	;;#ASMEND
	s_waitcnt lgkmcnt(3)
	;;#ASMSTART
	v_dot2_f32_f16 v5, v17, v37, v5
	;;#ASMEND
	;;#ASMSTART
	v_dot2_f32_f16 v5, v18, v38, v5
	;;#ASMEND
	;;#ASMSTART
	v_dot2_f32_f16 v5, v19, v39, v5
	;;#ASMEND
	;;#ASMSTART
	v_dot2_f32_f16 v5, v20, v40, v5
	;;#ASMEND
	s_waitcnt lgkmcnt(2)
	;;#ASMSTART
	v_dot2_f32_f16 v6, v17, v41, v6
	;;#ASMEND
	;;#ASMSTART
	v_dot2_f32_f16 v6, v18, v42, v6
	;;#ASMEND
	;;#ASMSTART
	v_dot2_f32_f16 v6, v19, v43, v6
	;;#ASMEND
	;;#ASMSTART
	v_dot2_f32_f16 v6, v20, v44, v6
	;;#ASMEND
	s_waitcnt lgkmcnt(1)
	;;#ASMSTART
	v_dot2_f32_f16 v7, v17, v45, v7
	;;#ASMEND
	;;#ASMSTART
	v_dot2_f32_f16 v7, v18, v46, v7
	;;#ASMEND
	;;#ASMSTART
	v_dot2_f32_f16 v7, v19, v47, v7
	;;#ASMEND
	;;#ASMSTART
	v_dot2_f32_f16 v7, v20, v48, v7
	;;#ASMEND
	s_waitcnt lgkmcnt(0)
	;;#ASMSTART
	v_dot2_f32_f16 v8, v17, v49, v8
	;;#ASMEND
	;;#ASMSTART
	v_dot2_f32_f16 v8, v18, v50, v8
	;;#ASMEND
	;;#ASMSTART
	v_dot2_f32_f16 v8, v19, v51, v8
	;;#ASMEND
	;;#ASMSTART
	v_dot2_f32_f16 v8, v20, v52, v8
	;;#ASMEND
	ds_read_b128 v[17:20], v142 offset:96
	ds_read_b128 v[21:24], v143 offset:208
	v_lshlrev_b64 v[37:38], 1, v[53:54]
	v_ashrrev_i32_e32 v56, 31, v55
	v_ashrrev_i32_e32 v58, 31, v57
	ds_read_b128 v[25:28], v143 offset:432
	ds_read_b128 v[29:32], v143 offset:656
	;; [unrolled: 1-line block ×3, first 2 shown]
	v_lshlrev_b64 v[53:54], 1, v[55:56]
	v_lshlrev_b64 v[55:56], 1, v[57:58]
	v_add_co_u32 v57, s8, s52, v37
	v_add_co_ci_u32_e64 v58, null, s53, v38, s8
	ds_read_b128 v[37:40], v143 offset:1104
	ds_read_b128 v[41:44], v143 offset:1328
	;; [unrolled: 1-line block ×4, first 2 shown]
	s_waitcnt lgkmcnt(7)
	;;#ASMSTART
	v_dot2_f32_f16 v1, v17, v21, v1
	;;#ASMEND
	;;#ASMSTART
	v_dot2_f32_f16 v1, v18, v22, v1
	;;#ASMEND
	;;#ASMSTART
	v_dot2_f32_f16 v1, v19, v23, v1
	;;#ASMEND
	;;#ASMSTART
	v_dot2_f32_f16 v1, v20, v24, v1
	;;#ASMEND
	s_waitcnt lgkmcnt(6)
	;;#ASMSTART
	v_dot2_f32_f16 v2, v17, v25, v2
	;;#ASMEND
	;;#ASMSTART
	v_dot2_f32_f16 v2, v18, v26, v2
	;;#ASMEND
	;;#ASMSTART
	v_dot2_f32_f16 v2, v19, v27, v2
	;;#ASMEND
	;;#ASMSTART
	v_dot2_f32_f16 v2, v20, v28, v2
	;;#ASMEND
	;; [unrolled: 13-line block ×6, first 2 shown]
	s_waitcnt lgkmcnt(1)
	;;#ASMSTART
	v_dot2_f32_f16 v7, v17, v45, v7
	;;#ASMEND
	v_ashrrev_i32_e32 v60, 31, v59
	;;#ASMSTART
	v_dot2_f32_f16 v7, v18, v46, v7
	;;#ASMEND
	;;#ASMSTART
	v_dot2_f32_f16 v7, v19, v47, v7
	;;#ASMEND
	;; [unrolled: 3-line block ×3, first 2 shown]
	s_waitcnt lgkmcnt(0)
	;;#ASMSTART
	v_dot2_f32_f16 v8, v17, v49, v8
	;;#ASMEND
	;;#ASMSTART
	v_dot2_f32_f16 v8, v18, v50, v8
	;;#ASMEND
	;; [unrolled: 3-line block ×4, first 2 shown]
	v_lshlrev_b64 v[19:20], 1, v[59:60]
	v_add_co_u32 v17, s8, s52, v53
	v_add_co_ci_u32_e64 v18, null, s53, v54, s8
	v_add_co_u32 v21, s8, s52, v55
	v_add_co_ci_u32_e64 v22, null, s53, v56, s8
	;; [unrolled: 2-line block ×3, first 2 shown]
	s_clause 0x3
	global_load_ushort v23, v[57:58], off
	global_load_ushort v17, v[17:18], off
	;; [unrolled: 1-line block ×4, first 2 shown]
	v_cmp_gt_i32_e64 s8, 32, v172
	v_max_f32_e32 v20, v9, v9
	v_max_f32_e32 v21, v10, v10
	v_max_f32_e32 v24, v12, v12
	v_max_f32_e32 v22, v11, v11
	v_cndmask_b32_e64 v26, v135, v172, s8
	v_max_f32_e32 v27, v14, v14
	v_max_f32_e32 v25, v13, v13
	;; [unrolled: 1-line block ×4, first 2 shown]
	v_lshlrev_b32_e32 v26, 2, v26
	v_cmp_gt_i32_e64 s8, 32, v170
	v_xor_b32_e32 v174, 1, v135
	s_mul_hi_i32 s25, s31, s35
	s_mul_i32 s24, s31, s35
	s_waitcnt vmcnt(0)
	s_lshl_b64 s[46:47], s[24:25], 2
	s_barrier
	s_add_u32 s25, s40, s46
	s_addc_u32 s43, s41, s47
	buffer_gl0_inv
	v_cvt_f32_f16_e32 v23, v23
	v_cvt_f32_f16_e32 v17, v17
	;; [unrolled: 1-line block ×4, first 2 shown]
	v_add_f32_e32 v30, v1, v23
	v_add_f32_e32 v23, v2, v23
	;; [unrolled: 1-line block ×10, first 2 shown]
	v_max_f32_e32 v1, v20, v1
	v_add_f32_e32 v19, v8, v19
	v_add_f32_e32 v3, 0x40051340, v31
	;; [unrolled: 1-line block ×3, first 2 shown]
	v_max_f32_e32 v2, v21, v2
	v_max_f32_e32 v4, v24, v4
	ds_bpermute_b32 v20, v26, v1
	v_add_f32_e32 v5, 0x40051340, v32
	v_add_f32_e32 v7, 0x40051340, v33
	;; [unrolled: 1-line block ×3, first 2 shown]
	v_max_f32_e32 v3, v22, v3
	v_max_f32_e32 v6, v27, v6
	ds_bpermute_b32 v21, v26, v2
	ds_bpermute_b32 v24, v26, v4
	v_max_f32_e32 v5, v25, v5
	v_max_f32_e32 v7, v28, v7
	;; [unrolled: 1-line block ×3, first 2 shown]
	ds_bpermute_b32 v22, v26, v3
	ds_bpermute_b32 v27, v26, v6
	;; [unrolled: 1-line block ×5, first 2 shown]
	v_cndmask_b32_e64 v29, v135, v170, s8
	v_cmp_gt_i32_e64 s8, 32, v171
	s_waitcnt lgkmcnt(7)
	v_max_f32_e32 v20, v20, v20
	v_lshlrev_b32_e32 v29, 2, v29
	v_max_f32_e32 v1, v1, v20
	s_waitcnt lgkmcnt(6)
	v_max_f32_e32 v21, v21, v21
	s_waitcnt lgkmcnt(5)
	v_max_f32_e32 v24, v24, v24
	ds_bpermute_b32 v20, v29, v1
	s_waitcnt lgkmcnt(5)
	v_max_f32_e32 v22, v22, v22
	s_waitcnt lgkmcnt(4)
	v_max_f32_e32 v27, v27, v27
	v_max_f32_e32 v2, v2, v21
	v_max_f32_e32 v4, v4, v24
	s_waitcnt lgkmcnt(3)
	v_max_f32_e32 v25, v25, v25
	s_waitcnt lgkmcnt(1)
	v_max_f32_e32 v26, v26, v26
	v_max_f32_e32 v3, v3, v22
	;; [unrolled: 1-line block ×3, first 2 shown]
	ds_bpermute_b32 v21, v29, v2
	ds_bpermute_b32 v24, v29, v4
	v_max_f32_e32 v28, v28, v28
	v_max_f32_e32 v5, v5, v25
	;; [unrolled: 1-line block ×3, first 2 shown]
	ds_bpermute_b32 v22, v29, v3
	ds_bpermute_b32 v26, v29, v6
	v_max_f32_e32 v7, v7, v28
	ds_bpermute_b32 v25, v29, v5
	ds_bpermute_b32 v28, v29, v8
	s_waitcnt lgkmcnt(6)
	v_max_f32_e32 v20, v20, v20
	ds_bpermute_b32 v27, v29, v7
	v_cndmask_b32_e64 v29, v135, v171, s8
	v_cmp_gt_i32_e64 s8, 32, v173
	v_max_f32_e32 v1, v1, v20
	v_lshlrev_b32_e32 v29, 2, v29
	s_waitcnt lgkmcnt(6)
	v_max_f32_e32 v21, v21, v21
	s_waitcnt lgkmcnt(5)
	v_max_f32_e32 v24, v24, v24
	ds_bpermute_b32 v20, v29, v1
	s_waitcnt lgkmcnt(5)
	v_max_f32_e32 v22, v22, v22
	s_waitcnt lgkmcnt(4)
	v_max_f32_e32 v26, v26, v26
	v_max_f32_e32 v2, v2, v21
	;; [unrolled: 1-line block ×3, first 2 shown]
	s_waitcnt lgkmcnt(3)
	v_max_f32_e32 v25, v25, v25
	s_waitcnt lgkmcnt(2)
	v_max_f32_e32 v28, v28, v28
	v_max_f32_e32 v3, v3, v22
	;; [unrolled: 1-line block ×3, first 2 shown]
	ds_bpermute_b32 v21, v29, v2
	ds_bpermute_b32 v24, v29, v4
	s_waitcnt lgkmcnt(3)
	v_max_f32_e32 v27, v27, v27
	v_max_f32_e32 v5, v5, v25
	;; [unrolled: 1-line block ×3, first 2 shown]
	ds_bpermute_b32 v22, v29, v3
	ds_bpermute_b32 v26, v29, v6
	v_max_f32_e32 v7, v7, v27
	ds_bpermute_b32 v25, v29, v5
	ds_bpermute_b32 v28, v29, v8
	s_waitcnt lgkmcnt(6)
	v_max_f32_e32 v20, v20, v20
	ds_bpermute_b32 v27, v29, v7
	v_cndmask_b32_e64 v29, v135, v173, s8
	v_cmp_gt_i32_e64 s8, 32, v174
	v_max_f32_e32 v1, v1, v20
	v_lshlrev_b32_e32 v29, 2, v29
	s_waitcnt lgkmcnt(6)
	v_max_f32_e32 v21, v21, v21
	s_waitcnt lgkmcnt(5)
	v_max_f32_e32 v24, v24, v24
	ds_bpermute_b32 v20, v29, v1
	s_waitcnt lgkmcnt(5)
	v_max_f32_e32 v22, v22, v22
	s_waitcnt lgkmcnt(4)
	v_max_f32_e32 v26, v26, v26
	v_max_f32_e32 v2, v2, v21
	;; [unrolled: 1-line block ×3, first 2 shown]
	s_waitcnt lgkmcnt(3)
	v_max_f32_e32 v25, v25, v25
	s_waitcnt lgkmcnt(2)
	v_max_f32_e32 v28, v28, v28
	v_max_f32_e32 v3, v3, v22
	;; [unrolled: 1-line block ×3, first 2 shown]
	ds_bpermute_b32 v21, v29, v2
	ds_bpermute_b32 v24, v29, v4
	s_waitcnt lgkmcnt(3)
	v_max_f32_e32 v27, v27, v27
	v_max_f32_e32 v5, v5, v25
	;; [unrolled: 1-line block ×3, first 2 shown]
	ds_bpermute_b32 v22, v29, v3
	ds_bpermute_b32 v26, v29, v6
	v_max_f32_e32 v7, v7, v27
	ds_bpermute_b32 v25, v29, v5
	ds_bpermute_b32 v28, v29, v8
	s_waitcnt lgkmcnt(6)
	v_max_f32_e32 v20, v20, v20
	ds_bpermute_b32 v27, v29, v7
	v_cndmask_b32_e64 v29, v135, v174, s8
	v_max_f32_e32 v1, v1, v20
	v_lshlrev_b32_e32 v29, 2, v29
	s_waitcnt lgkmcnt(6)
	v_max_f32_e32 v21, v21, v21
	s_waitcnt lgkmcnt(5)
	v_max_f32_e32 v24, v24, v24
	ds_bpermute_b32 v20, v29, v1
	s_waitcnt lgkmcnt(5)
	v_max_f32_e32 v22, v22, v22
	s_waitcnt lgkmcnt(4)
	v_max_f32_e32 v26, v26, v26
	v_max_f32_e32 v2, v2, v21
	;; [unrolled: 1-line block ×3, first 2 shown]
	s_waitcnt lgkmcnt(3)
	v_max_f32_e32 v25, v25, v25
	s_waitcnt lgkmcnt(2)
	v_max_f32_e32 v28, v28, v28
	v_max_f32_e32 v3, v3, v22
	;; [unrolled: 1-line block ×3, first 2 shown]
	ds_bpermute_b32 v21, v29, v2
	ds_bpermute_b32 v24, v29, v4
	s_waitcnt lgkmcnt(3)
	v_max_f32_e32 v27, v27, v27
	v_max_f32_e32 v5, v5, v25
	;; [unrolled: 1-line block ×3, first 2 shown]
	ds_bpermute_b32 v22, v29, v3
	ds_bpermute_b32 v26, v29, v6
	v_max_f32_e32 v7, v7, v27
	ds_bpermute_b32 v25, v29, v5
	ds_bpermute_b32 v28, v29, v8
	s_waitcnt lgkmcnt(6)
	v_max_f32_e32 v20, v20, v20
	ds_bpermute_b32 v27, v29, v7
	v_max_f32_e32 v1, v1, v20
	s_waitcnt lgkmcnt(6)
	v_max_f32_e32 v21, v21, v21
	s_waitcnt lgkmcnt(5)
	v_max_f32_e32 v24, v24, v24
	v_sub_f32_e32 v190, v9, v1
	v_sub_f32_e32 v9, v30, v1
	s_waitcnt lgkmcnt(4)
	v_max_f32_e32 v22, v22, v22
	s_waitcnt lgkmcnt(3)
	v_max_f32_e32 v26, v26, v26
	v_max_f32_e32 v2, v2, v21
	;; [unrolled: 1-line block ×3, first 2 shown]
	s_waitcnt lgkmcnt(2)
	v_max_f32_e32 v25, v25, v25
	s_waitcnt lgkmcnt(1)
	v_max_f32_e32 v28, v28, v28
	v_max_f32_e32 v3, v3, v22
	;; [unrolled: 1-line block ×3, first 2 shown]
	v_sub_f32_e32 v191, v10, v2
	v_sub_f32_e32 v10, v23, v2
	;; [unrolled: 1-line block ×4, first 2 shown]
	v_mul_f32_e32 v17, 0x3fb8aa3b, v9
	s_waitcnt lgkmcnt(0)
	v_max_f32_e32 v27, v27, v27
	v_max_f32_e32 v5, v5, v25
	;; [unrolled: 1-line block ×3, first 2 shown]
	v_sub_f32_e32 v192, v11, v3
	v_sub_f32_e32 v11, v31, v3
	;; [unrolled: 1-line block ×4, first 2 shown]
	v_mul_f32_e32 v18, 0x3fb8aa3b, v10
	v_fma_f32 v25, 0x3fb8aa3b, v9, -v17
	v_rndne_f32_e32 v26, v17
	v_max_f32_e32 v7, v7, v27
	v_sub_f32_e32 v186, v16, v8
	v_sub_f32_e32 v16, v19, v8
	v_mul_f32_e32 v19, 0x3fb8aa3b, v11
	v_fma_f32 v27, 0x3fb8aa3b, v10, -v18
	v_rndne_f32_e32 v28, v18
	v_fmac_f32_e32 v25, 0x32a5705f, v9
	v_sub_f32_e32 v17, v17, v26
	v_sub_f32_e32 v188, v13, v5
	;; [unrolled: 1-line block ×3, first 2 shown]
	v_mul_f32_e32 v20, 0x3fb8aa3b, v12
	v_fma_f32 v29, 0x3fb8aa3b, v11, -v19
	v_rndne_f32_e32 v30, v19
	v_fmac_f32_e32 v27, 0x32a5705f, v10
	v_sub_f32_e32 v18, v18, v28
	v_add_f32_e32 v17, v17, v25
	v_mul_f32_e32 v21, 0x3fb8aa3b, v13
	v_fma_f32 v31, 0x3fb8aa3b, v12, -v20
	v_rndne_f32_e32 v32, v20
	v_fmac_f32_e32 v29, 0x32a5705f, v11
	v_sub_f32_e32 v19, v19, v30
	v_add_f32_e32 v18, v18, v27
	v_exp_f32_e32 v17, v17
	v_sub_f32_e32 v185, v15, v7
	v_sub_f32_e32 v15, v33, v7
	v_mul_f32_e32 v22, 0x3fb8aa3b, v14
	v_fma_f32 v33, 0x3fb8aa3b, v13, -v21
	v_rndne_f32_e32 v34, v21
	v_cvt_i32_f32_e32 v26, v26
	v_fmac_f32_e32 v31, 0x32a5705f, v12
	v_sub_f32_e32 v20, v20, v32
	v_add_f32_e32 v19, v19, v29
	v_exp_f32_e32 v18, v18
	v_mul_f32_e32 v23, 0x3fb8aa3b, v15
	v_fma_f32 v35, 0x3fb8aa3b, v14, -v22
	v_rndne_f32_e32 v36, v22
	v_cvt_i32_f32_e32 v28, v28
	v_fmac_f32_e32 v33, 0x32a5705f, v13
	v_sub_f32_e32 v21, v21, v34
	v_add_f32_e32 v20, v20, v31
	v_exp_f32_e32 v19, v19
	v_ldexp_f32 v17, v17, v26
	v_cmp_ngt_f32_e64 s23, 0xc2ce8ed0, v9
	v_mul_f32_e32 v24, 0x3fb8aa3b, v16
	v_fma_f32 v37, 0x3fb8aa3b, v15, -v23
	v_rndne_f32_e32 v38, v23
	v_cvt_i32_f32_e32 v30, v30
	v_fmac_f32_e32 v35, 0x32a5705f, v14
	v_sub_f32_e32 v22, v22, v36
	v_add_f32_e32 v21, v21, v33
	v_exp_f32_e32 v20, v20
	v_ldexp_f32 v18, v18, v28
	v_cndmask_b32_e64 v17, 0, v17, s23
	v_cmp_ngt_f32_e64 s23, 0xc2ce8ed0, v10
	v_fma_f32 v39, 0x3fb8aa3b, v16, -v24
	v_rndne_f32_e32 v40, v24
	v_cvt_i32_f32_e32 v32, v32
	v_fmac_f32_e32 v37, 0x32a5705f, v15
	v_sub_f32_e32 v23, v23, v38
	v_add_f32_e32 v22, v22, v35
	v_exp_f32_e32 v21, v21
	v_ldexp_f32 v19, v19, v30
	v_cndmask_b32_e64 v18, 0, v18, s23
	v_cmp_ngt_f32_e64 s23, 0xc2ce8ed0, v11
	v_cvt_i32_f32_e32 v34, v34
	v_fmac_f32_e32 v39, 0x32a5705f, v16
	v_sub_f32_e32 v24, v24, v40
	v_add_f32_e32 v23, v23, v37
	v_exp_f32_e32 v22, v22
	v_ldexp_f32 v20, v20, v32
	v_cndmask_b32_e64 v19, 0, v19, s23
	v_cmp_ngt_f32_e64 s23, 0xc2ce8ed0, v12
	v_cvt_i32_f32_e32 v36, v36
	v_add_f32_e32 v24, v24, v39
	v_exp_f32_e32 v23, v23
	v_ldexp_f32 v21, v21, v34
	v_cndmask_b32_e64 v20, 0, v20, s23
	v_cmp_ngt_f32_e64 s23, 0xc2ce8ed0, v13
	v_exp_f32_e32 v24, v24
	v_cvt_i32_f32_e32 v25, v38
	v_ldexp_f32 v22, v22, v36
	v_cvt_i32_f32_e32 v27, v40
	v_cndmask_b32_e64 v21, 0, v21, s23
	v_cmp_ngt_f32_e64 s23, 0xc2ce8ed0, v14
	v_ldexp_f32 v23, v23, v25
	v_cmp_ngt_f32_e64 s19, 0xc2ce8ed0, v190
	v_cmp_nlt_f32_e64 s17, 0x42b17218, v190
	v_cmp_ngt_f32_e64 s21, 0xc2ce8ed0, v191
	v_cndmask_b32_e64 v22, 0, v22, s23
	v_cmp_ngt_f32_e64 s23, 0xc2ce8ed0, v15
	v_ldexp_f32 v24, v24, v27
	v_cmp_nlt_f32_e64 s18, 0x42b17218, v191
	v_cmp_ngt_f32_e64 s22, 0xc2ce8ed0, v192
	v_cmp_nlt_f32_e64 s20, 0x42b17218, v192
	v_cndmask_b32_e64 v23, 0, v23, s23
	v_cmp_ngt_f32_e64 s23, 0xc2ce8ed0, v16
	v_cmp_ngt_f32_e64 s11, 0xc2ce8ed0, v189
	v_cmp_nlt_f32_e64 s8, 0x42b17218, v189
	v_cmp_ngt_f32_e64 s14, 0xc2ce8ed0, v188
	v_cmp_nlt_f32_e64 s10, 0x42b17218, v188
	v_cndmask_b32_e64 v24, 0, v24, s23
	v_cmp_nlt_f32_e64 s23, 0x42b17218, v9
	v_cmp_ngt_f32_e64 s16, 0xc2ce8ed0, v187
	v_cmp_nlt_f32_e64 s12, 0x42b17218, v187
	v_cmp_ngt_f32_e64 s13, 0xc2ce8ed0, v185
	v_cmp_nlt_f32_e64 s9, 0x42b17218, v185
	v_cndmask_b32_e64 v182, 0x7f800000, v17, s23
	v_cmp_nlt_f32_e64 s23, 0x42b17218, v10
	v_cmp_ngt_f32_e64 s15, 0xc2ce8ed0, v186
	v_cvt_f16_f32_e32 v9, v182
	v_cndmask_b32_e64 v181, 0x7f800000, v18, s23
	v_cmp_nlt_f32_e64 s23, 0x42b17218, v11
	v_cndmask_b32_e64 v180, 0x7f800000, v19, s23
	v_cmp_nlt_f32_e64 s23, 0x42b17218, v12
	v_cvt_f16_f32_e32 v10, v180
	v_cndmask_b32_e64 v179, 0x7f800000, v20, s23
	v_cmp_nlt_f32_e64 s23, 0x42b17218, v13
	v_cndmask_b32_e64 v178, 0x7f800000, v21, s23
	v_cmp_nlt_f32_e64 s23, 0x42b17218, v14
	v_cvt_f16_f32_e32 v11, v178
	v_cndmask_b32_e64 v177, 0x7f800000, v22, s23
	v_cmp_nlt_f32_e64 s23, 0x42b17218, v15
	v_cvt_f16_f32_e32 v15, v179
	v_cvt_f16_f32_e32 v14, v177
	v_cndmask_b32_e64 v176, 0x7f800000, v23, s23
	v_cmp_nlt_f32_e64 s23, 0x42b17218, v16
	v_cvt_f16_f32_e32 v16, v181
	v_pack_b32_f16 v10, v10, v15
	v_pack_b32_f16 v11, v11, v14
	v_cvt_f16_f32_e32 v12, v176
	v_cndmask_b32_e64 v175, 0x7f800000, v24, s23
	v_cmp_nlt_f32_e64 s23, 0x42b17218, v186
	v_pack_b32_f16 v9, v9, v16
	v_cvt_f16_f32_e32 v13, v175
	v_pack_b32_f16 v12, v12, v13
	ds_write_b128 v158, v[9:12]
	s_and_saveexec_b32 s46, s3
	s_cbranch_execnz .LBB33_45
; %bb.32:                               ;   in Loop: Header=BB33_23 Depth=1
	s_or_b32 exec_lo, exec_lo, s46
	s_and_saveexec_b32 s46, s6
	s_cbranch_execnz .LBB33_46
.LBB33_33:                              ;   in Loop: Header=BB33_23 Depth=1
	s_or_b32 exec_lo, exec_lo, s46
	v_lshlrev_b32_e32 v193, 2, v154
	s_and_saveexec_b32 s46, s7
	s_cbranch_execz .LBB33_35
.LBB33_34:                              ;   in Loop: Header=BB33_23 Depth=1
	v_add_co_u32 v9, s24, s25, v116
	v_add_co_ci_u32_e64 v10, null, s43, v117, s24
	v_add_co_u32 v9, s24, v9, v193
	v_add_co_ci_u32_e64 v10, null, 0, v10, s24
	global_load_dwordx4 v[9:12], v[9:10], off
	s_waitcnt vmcnt(0)
	ds_write_b128 v157, v[9:12]
.LBB33_35:                              ;   in Loop: Header=BB33_23 Depth=1
	s_or_b32 exec_lo, exec_lo, s46
	v_add_nc_u32_e32 v184, 0x3800, v126
	s_waitcnt lgkmcnt(0)
	s_barrier
	buffer_gl0_inv
	v_add_nc_u32_e32 v183, 0x4000, v126
	ds_read2_b64 v[37:40], v184 offset1:28
	ds_read_b128 v[101:104], v152
	ds_read_b128 v[97:100], v152 offset:16
	ds_read_b128 v[93:96], v152 offset:32
	;; [unrolled: 1-line block ×3, first 2 shown]
	ds_read2_b64 v[33:36], v184 offset0:56 offset1:84
	ds_read2_b64 v[29:32], v184 offset0:112 offset1:140
	ds_read_b128 v[85:88], v152 offset:64
	ds_read_b128 v[77:80], v152 offset:80
	ds_read2_b64 v[25:28], v184 offset0:168 offset1:196
	ds_read_b128 v[81:84], v152 offset:96
	ds_read_b128 v[73:76], v152 offset:112
	;; [unrolled: 3-line block ×6, first 2 shown]
	s_or_b32 s24, s31, 16
	s_waitcnt lgkmcnt(0)
	s_mul_hi_i32 s25, s24, s35
	s_mul_i32 s24, s24, s35
	s_barrier
	s_lshl_b64 s[46:47], s[24:25], 2
	buffer_gl0_inv
	s_add_u32 s25, s40, s46
	s_addc_u32 s43, s41, s47
	s_and_saveexec_b32 s46, s3
	s_cbranch_execnz .LBB33_47
; %bb.36:                               ;   in Loop: Header=BB33_23 Depth=1
	s_or_b32 exec_lo, exec_lo, s46
	s_and_saveexec_b32 s46, s6
	s_cbranch_execnz .LBB33_48
.LBB33_37:                              ;   in Loop: Header=BB33_23 Depth=1
	s_or_b32 exec_lo, exec_lo, s46
	s_and_saveexec_b32 s46, s7
	s_cbranch_execz .LBB33_39
.LBB33_38:                              ;   in Loop: Header=BB33_23 Depth=1
	v_add_co_u32 v194, s24, s25, v116
	v_add_co_ci_u32_e64 v195, null, s43, v117, s24
	v_add_co_u32 v193, s24, v194, v193
	v_add_co_ci_u32_e64 v194, null, 0, v195, s24
	global_load_dwordx4 v[193:196], v[193:194], off
	s_waitcnt vmcnt(0)
	ds_write_b128 v157, v[193:196]
.LBB33_39:                              ;   in Loop: Header=BB33_23 Depth=1
	s_or_b32 exec_lo, exec_lo, s46
	v_mul_f32_e32 v193, 0x3fb8aa3b, v190
	v_mul_f32_e32 v194, 0x3fb8aa3b, v191
	;; [unrolled: 1-line block ×3, first 2 shown]
	v_mul_u32_u24_sdwa v202, v86, v161 dst_sel:DWORD dst_unused:UNUSED_PAD src0_sel:WORD_0 src1_sel:DWORD
	v_mul_u32_u24_sdwa v86, v86, v161 dst_sel:DWORD dst_unused:UNUSED_PAD src0_sel:WORD_1 src1_sel:DWORD
	v_fma_f32 v196, 0x3fb8aa3b, v190, -v193
	v_rndne_f32_e32 v197, v193
	v_fma_f32 v198, 0x3fb8aa3b, v191, -v194
	v_rndne_f32_e32 v199, v194
	;; [unrolled: 2-line block ×3, first 2 shown]
	v_fmac_f32_e32 v196, 0x32a5705f, v190
	v_sub_f32_e32 v190, v193, v197
	v_fmac_f32_e32 v198, 0x32a5705f, v191
	v_sub_f32_e32 v191, v194, v199
	;; [unrolled: 2-line block ×3, first 2 shown]
	v_add_f32_e32 v190, v190, v196
	v_cvt_i32_f32_e32 v195, v197
	v_add_f32_e32 v191, v191, v198
	v_cvt_i32_f32_e32 v196, v199
	v_add_f32_e32 v192, v192, v200
	v_exp_f32_e32 v190, v190
	v_cvt_i32_f32_e32 v197, v201
	v_exp_f32_e32 v191, v191
	v_mul_f32_e32 v193, 0x3fb8aa3b, v189
	v_exp_f32_e32 v192, v192
	v_mul_f32_e32 v194, 0x3fb8aa3b, v188
	v_mul_f32_e32 v198, 0x3fb8aa3b, v187
	v_mul_u32_u24_sdwa v200, v92, v161 dst_sel:DWORD dst_unused:UNUSED_PAD src0_sel:WORD_0 src1_sel:DWORD
	v_fma_f32 v199, 0x3fb8aa3b, v189, -v193
	v_mul_u32_u24_sdwa v92, v92, v161 dst_sel:DWORD dst_unused:UNUSED_PAD src0_sel:WORD_1 src1_sel:DWORD
	v_ldexp_f32 v190, v190, v195
	v_rndne_f32_e32 v195, v193
	v_ldexp_f32 v191, v191, v196
	v_fma_f32 v196, 0x3fb8aa3b, v188, -v194
	v_ldexp_f32 v192, v192, v197
	v_cndmask_b32_e64 v190, 0, v190, s19
	v_rndne_f32_e32 v197, v194
	v_cndmask_b32_e64 v191, 0, v191, s21
	v_fmac_f32_e32 v199, 0x32a5705f, v189
	v_cndmask_b32_e64 v192, 0, v192, s22
	v_cndmask_b32_e64 v189, 0x7f800000, v190, s17
	v_fmac_f32_e32 v196, 0x32a5705f, v188
	v_cndmask_b32_e64 v190, 0x7f800000, v191, s18
	v_rndne_f32_e32 v188, v198
	v_cndmask_b32_e64 v191, 0x7f800000, v192, s20
	v_sub_f32_e32 v192, v193, v195
	v_fmac_f32_e32 v182, v167, v189
	v_fmac_f32_e32 v181, v168, v190
	v_sub_f32_e32 v167, v194, v197
	v_fmac_f32_e32 v180, v169, v191
	v_add_f32_e32 v168, v192, v199
	v_fma_f32 v169, 0x3fb8aa3b, v187, -v198
	v_mul_f32_e32 v192, 0x3fb8aa3b, v185
	v_mul_f32_e32 v193, 0x3fb8aa3b, v186
	v_add_f32_e32 v167, v167, v196
	v_exp_f32_e32 v168, v168
	v_fmac_f32_e32 v169, 0x32a5705f, v187
	v_sub_f32_e32 v187, v198, v188
	v_fma_f32 v194, 0x3fb8aa3b, v185, -v192
	v_rndne_f32_e32 v196, v192
	v_fma_f32 v198, 0x3fb8aa3b, v186, -v193
	v_rndne_f32_e32 v199, v193
	v_add_f32_e32 v169, v187, v169
	v_fmac_f32_e32 v194, 0x32a5705f, v185
	v_sub_f32_e32 v185, v192, v196
	v_fmac_f32_e32 v198, 0x32a5705f, v186
	v_sub_f32_e32 v186, v193, v199
	v_exp_f32_e32 v167, v167
	v_exp_f32_e32 v169, v169
	v_add_f32_e32 v185, v185, v194
	v_cvt_i32_f32_e32 v187, v195
	v_add_f32_e32 v186, v186, v198
	v_cvt_i32_f32_e32 v192, v197
	v_cvt_i32_f32_e32 v188, v188
	v_exp_f32_e32 v185, v185
	v_ldexp_f32 v168, v168, v187
	v_exp_f32_e32 v186, v186
	v_ldexp_f32 v167, v167, v192
	v_ldexp_f32 v169, v169, v188
	v_cvt_i32_f32_e32 v187, v196
	v_cvt_i32_f32_e32 v188, v199
	v_cndmask_b32_e64 v168, 0, v168, s11
	v_cndmask_b32_e64 v167, 0, v167, s14
	v_cndmask_b32_e64 v169, 0, v169, s16
	v_ldexp_f32 v185, v185, v187
	v_mul_u32_u24_sdwa v187, v103, v161 dst_sel:DWORD dst_unused:UNUSED_PAD src0_sel:WORD_0 src1_sel:DWORD
	v_ldexp_f32 v186, v186, v188
	v_cndmask_b32_e64 v168, 0x7f800000, v168, s8
	v_cndmask_b32_e64 v167, 0x7f800000, v167, s10
	;; [unrolled: 1-line block ×5, first 2 shown]
	v_fmac_f32_e32 v179, v164, v168
	v_fmac_f32_e32 v178, v165, v167
	;; [unrolled: 1-line block ×3, first 2 shown]
	v_cndmask_b32_e64 v164, 0x7f800000, v185, s9
	v_cndmask_b32_e64 v165, 0x7f800000, v186, s23
	v_cvt_f16_f32_e32 v166, v189
	v_cvt_f16_f32_e32 v185, v190
	;; [unrolled: 1-line block ×3, first 2 shown]
	v_fmac_f32_e32 v176, v162, v164
	v_fmac_f32_e32 v175, v163, v165
	v_mul_u32_u24_sdwa v162, v166, v161 dst_sel:DWORD dst_unused:UNUSED_PAD src0_sel:WORD_0 src1_sel:DWORD
	v_cvt_f16_f32_e32 v168, v168
	v_cvt_f16_f32_e32 v167, v167
	v_cvt_f16_f32_e32 v169, v169
	v_cvt_f16_f32_e32 v164, v164
	v_cvt_f16_f32_e32 v165, v165
	v_mul_u32_u24_sdwa v163, v185, v161 dst_sel:DWORD dst_unused:UNUSED_PAD src0_sel:WORD_0 src1_sel:DWORD
	v_mul_u32_u24_sdwa v166, v186, v161 dst_sel:DWORD dst_unused:UNUSED_PAD src0_sel:WORD_0 src1_sel:DWORD
	;; [unrolled: 1-line block ×8, first 2 shown]
	v_pk_mul_f16 v146, v146, v162
	v_mul_u32_u24_sdwa v101, v101, v161 dst_sel:DWORD dst_unused:UNUSED_PAD src0_sel:WORD_1 src1_sel:DWORD
	v_mul_u32_u24_sdwa v186, v102, v161 dst_sel:DWORD dst_unused:UNUSED_PAD src0_sel:WORD_0 src1_sel:DWORD
	v_mul_u32_u24_sdwa v102, v102, v161 dst_sel:DWORD dst_unused:UNUSED_PAD src0_sel:WORD_1 src1_sel:DWORD
	v_mul_u32_u24_sdwa v103, v103, v161 dst_sel:DWORD dst_unused:UNUSED_PAD src0_sel:WORD_1 src1_sel:DWORD
	v_mul_u32_u24_sdwa v188, v104, v161 dst_sel:DWORD dst_unused:UNUSED_PAD src0_sel:WORD_0 src1_sel:DWORD
	v_mul_u32_u24_sdwa v104, v104, v161 dst_sel:DWORD dst_unused:UNUSED_PAD src0_sel:WORD_1 src1_sel:DWORD
	v_mul_u32_u24_sdwa v189, v97, v161 dst_sel:DWORD dst_unused:UNUSED_PAD src0_sel:WORD_0 src1_sel:DWORD
	v_pk_mul_f16 v153, v153, v162
	v_pk_mul_f16 v140, v140, v163
	;; [unrolled: 1-line block ×15, first 2 shown]
	v_pk_fma_f16 v146, v37, v185, v146
	v_mul_u32_u24_sdwa v97, v97, v161 dst_sel:DWORD dst_unused:UNUSED_PAD src0_sel:WORD_1 src1_sel:DWORD
	v_mul_u32_u24_sdwa v190, v98, v161 dst_sel:DWORD dst_unused:UNUSED_PAD src0_sel:WORD_0 src1_sel:DWORD
	v_mul_u32_u24_sdwa v98, v98, v161 dst_sel:DWORD dst_unused:UNUSED_PAD src0_sel:WORD_1 src1_sel:DWORD
	v_mul_u32_u24_sdwa v191, v99, v161 dst_sel:DWORD dst_unused:UNUSED_PAD src0_sel:WORD_0 src1_sel:DWORD
	;; [unrolled: 2-line block ×4, first 2 shown]
	v_pk_fma_f16 v140, v37, v101, v140
	v_pk_fma_f16 v138, v37, v186, v138
	;; [unrolled: 1-line block ×16, first 2 shown]
	v_mul_u32_u24_sdwa v93, v93, v161 dst_sel:DWORD dst_unused:UNUSED_PAD src0_sel:WORD_1 src1_sel:DWORD
	v_mul_u32_u24_sdwa v194, v94, v161 dst_sel:DWORD dst_unused:UNUSED_PAD src0_sel:WORD_0 src1_sel:DWORD
	v_mul_u32_u24_sdwa v94, v94, v161 dst_sel:DWORD dst_unused:UNUSED_PAD src0_sel:WORD_1 src1_sel:DWORD
	v_mul_u32_u24_sdwa v195, v95, v161 dst_sel:DWORD dst_unused:UNUSED_PAD src0_sel:WORD_0 src1_sel:DWORD
	;; [unrolled: 2-line block ×4, first 2 shown]
	v_pk_fma_f16 v125, v39, v97, v140
	v_pk_fma_f16 v131, v39, v190, v138
	v_pk_fma_f16 v134, v39, v98, v134
	v_pk_fma_f16 v132, v39, v191, v132
	v_pk_fma_f16 v130, v39, v99, v130
	v_pk_fma_f16 v128, v39, v192, v128
	v_pk_fma_f16 v37, v39, v100, v37
	v_pk_fma_f16 v39, v40, v189, v127
	v_pk_fma_f16 v97, v40, v97, v101
	v_pk_fma_f16 v101, v40, v190, v139
	v_pk_fma_f16 v98, v40, v98, v102
	v_pk_fma_f16 v102, v40, v191, v133
	v_pk_fma_f16 v99, v40, v99, v103
	v_pk_fma_f16 v103, v40, v192, v129
	v_pk_fma_f16 v38, v40, v100, v38
	v_pk_fma_f16 v40, v33, v193, v104
	v_mul_u32_u24_sdwa v89, v89, v161 dst_sel:DWORD dst_unused:UNUSED_PAD src0_sel:WORD_1 src1_sel:DWORD
	v_mul_u32_u24_sdwa v198, v90, v161 dst_sel:DWORD dst_unused:UNUSED_PAD src0_sel:WORD_0 src1_sel:DWORD
	v_mul_u32_u24_sdwa v90, v90, v161 dst_sel:DWORD dst_unused:UNUSED_PAD src0_sel:WORD_1 src1_sel:DWORD
	v_mul_u32_u24_sdwa v199, v91, v161 dst_sel:DWORD dst_unused:UNUSED_PAD src0_sel:WORD_0 src1_sel:DWORD
	v_mul_u32_u24_sdwa v91, v91, v161 dst_sel:DWORD dst_unused:UNUSED_PAD src0_sel:WORD_1 src1_sel:DWORD
	v_mul_u32_u24_sdwa v201, v85, v161 dst_sel:DWORD dst_unused:UNUSED_PAD src0_sel:WORD_0 src1_sel:DWORD
	v_pk_fma_f16 v100, v33, v93, v125
	v_pk_fma_f16 v104, v33, v194, v131
	v_pk_fma_f16 v125, v33, v94, v134
	v_pk_fma_f16 v127, v33, v195, v132
	v_pk_fma_f16 v129, v33, v95, v130
	v_pk_fma_f16 v128, v33, v196, v128
	v_pk_fma_f16 v33, v33, v96, v37
	v_pk_fma_f16 v37, v34, v193, v39
	v_pk_fma_f16 v39, v34, v93, v97
	v_pk_fma_f16 v93, v34, v194, v101
	v_pk_fma_f16 v94, v34, v94, v98
	v_pk_fma_f16 v97, v34, v195, v102
	v_pk_fma_f16 v95, v34, v95, v99
	v_pk_fma_f16 v98, v34, v196, v103
	v_pk_fma_f16 v34, v34, v96, v38
	v_pk_fma_f16 v38, v35, v197, v40
	v_mul_u32_u24_sdwa v85, v85, v161 dst_sel:DWORD dst_unused:UNUSED_PAD src0_sel:WORD_1 src1_sel:DWORD
	v_mul_u32_u24_sdwa v203, v87, v161 dst_sel:DWORD dst_unused:UNUSED_PAD src0_sel:WORD_0 src1_sel:DWORD
	v_mul_u32_u24_sdwa v87, v87, v161 dst_sel:DWORD dst_unused:UNUSED_PAD src0_sel:WORD_1 src1_sel:DWORD
	v_mul_u32_u24_sdwa v204, v88, v161 dst_sel:DWORD dst_unused:UNUSED_PAD src0_sel:WORD_0 src1_sel:DWORD
	v_mul_u32_u24_sdwa v88, v88, v161 dst_sel:DWORD dst_unused:UNUSED_PAD src0_sel:WORD_1 src1_sel:DWORD
	v_mul_u32_u24_sdwa v205, v77, v161 dst_sel:DWORD dst_unused:UNUSED_PAD src0_sel:WORD_0 src1_sel:DWORD
	;; [unrolled: 22-line block ×3, first 2 shown]
	v_mul_u32_u24_sdwa v80, v80, v161 dst_sel:DWORD dst_unused:UNUSED_PAD src0_sel:WORD_1 src1_sel:DWORD
	v_mul_u32_u24_sdwa v209, v81, v161 dst_sel:DWORD dst_unused:UNUSED_PAD src0_sel:WORD_0 src1_sel:DWORD
	v_pk_fma_f16 v38, v29, v85, v40
	v_pk_fma_f16 v40, v29, v202, v96
	v_pk_fma_f16 v92, v29, v86, v99
	v_pk_fma_f16 v94, v29, v203, v100
	v_pk_fma_f16 v95, v29, v87, v101
	v_pk_fma_f16 v96, v29, v204, v102
	v_pk_fma_f16 v29, v29, v88, v33
	v_pk_fma_f16 v33, v30, v201, v35
	v_pk_fma_f16 v35, v30, v85, v37
	v_pk_fma_f16 v37, v30, v202, v39
	v_pk_fma_f16 v39, v30, v86, v89
	v_pk_fma_f16 v85, v30, v203, v90
	v_pk_fma_f16 v86, v30, v87, v91
	v_pk_fma_f16 v87, v30, v204, v93
	v_pk_fma_f16 v30, v30, v88, v34
	v_pk_fma_f16 v34, v31, v205, v36
	v_mul_u32_u24_sdwa v81, v81, v161 dst_sel:DWORD dst_unused:UNUSED_PAD src0_sel:WORD_1 src1_sel:DWORD
	v_mul_u32_u24_sdwa v210, v82, v161 dst_sel:DWORD dst_unused:UNUSED_PAD src0_sel:WORD_0 src1_sel:DWORD
	v_mul_u32_u24_sdwa v82, v82, v161 dst_sel:DWORD dst_unused:UNUSED_PAD src0_sel:WORD_1 src1_sel:DWORD
	v_mul_u32_u24_sdwa v211, v83, v161 dst_sel:DWORD dst_unused:UNUSED_PAD src0_sel:WORD_0 src1_sel:DWORD
	v_mul_u32_u24_sdwa v83, v83, v161 dst_sel:DWORD dst_unused:UNUSED_PAD src0_sel:WORD_1 src1_sel:DWORD
	v_mul_u32_u24_sdwa v212, v84, v161 dst_sel:DWORD dst_unused:UNUSED_PAD src0_sel:WORD_0 src1_sel:DWORD
	v_mul_u32_u24_sdwa v84, v84, v161 dst_sel:DWORD dst_unused:UNUSED_PAD src0_sel:WORD_1 src1_sel:DWORD
	v_mul_u32_u24_sdwa v213, v73, v161 dst_sel:DWORD dst_unused:UNUSED_PAD src0_sel:WORD_0 src1_sel:DWORD
	v_pk_fma_f16 v36, v31, v77, v38
	v_pk_fma_f16 v38, v31, v206, v40
	v_pk_fma_f16 v40, v31, v78, v92
	v_pk_fma_f16 v88, v31, v207, v94
	v_pk_fma_f16 v89, v31, v79, v95
	v_pk_fma_f16 v90, v31, v208, v96
	v_pk_fma_f16 v29, v31, v80, v29
	v_pk_fma_f16 v31, v32, v205, v33
	v_pk_fma_f16 v33, v32, v77, v35
	v_pk_fma_f16 v35, v32, v206, v37
	v_pk_fma_f16 v37, v32, v78, v39
	v_pk_fma_f16 v39, v32, v207, v85
	v_pk_fma_f16 v77, v32, v79, v86
	v_pk_fma_f16 v78, v32, v208, v87
	v_pk_fma_f16 v30, v32, v80, v30
	v_pk_fma_f16 v32, v25, v209, v34
	v_mul_u32_u24_sdwa v73, v73, v161 dst_sel:DWORD dst_unused:UNUSED_PAD src0_sel:WORD_1 src1_sel:DWORD
	v_mul_u32_u24_sdwa v214, v74, v161 dst_sel:DWORD dst_unused:UNUSED_PAD src0_sel:WORD_0 src1_sel:DWORD
	v_mul_u32_u24_sdwa v74, v74, v161 dst_sel:DWORD dst_unused:UNUSED_PAD src0_sel:WORD_1 src1_sel:DWORD
	v_mul_u32_u24_sdwa v215, v75, v161 dst_sel:DWORD dst_unused:UNUSED_PAD src0_sel:WORD_0 src1_sel:DWORD
	v_mul_u32_u24_sdwa v75, v75, v161 dst_sel:DWORD dst_unused:UNUSED_PAD src0_sel:WORD_1 src1_sel:DWORD
	v_mul_u32_u24_sdwa v216, v76, v161 dst_sel:DWORD dst_unused:UNUSED_PAD src0_sel:WORD_0 src1_sel:DWORD
	;; [unrolled: 24-line block ×9, first 2 shown]
	v_mul_u32_u24_sdwa v48, v48, v161 dst_sel:DWORD dst_unused:UNUSED_PAD src0_sel:WORD_1 src1_sel:DWORD
	v_mul_u32_u24_sdwa v245, v41, v161 dst_sel:DWORD dst_unused:UNUSED_PAD src0_sel:WORD_0 src1_sel:DWORD
	v_pk_fma_f16 v20, v15, v49, v22
	v_pk_fma_f16 v22, v15, v238, v24
	;; [unrolled: 1-line block ×16, first 2 shown]
	v_mul_u32_u24_sdwa v41, v41, v161 dst_sel:DWORD dst_unused:UNUSED_PAD src0_sel:WORD_1 src1_sel:DWORD
	v_mul_u32_u24_sdwa v246, v42, v161 dst_sel:DWORD dst_unused:UNUSED_PAD src0_sel:WORD_0 src1_sel:DWORD
	v_pk_fma_f16 v18, v9, v45, v20
	v_pk_fma_f16 v20, v9, v242, v22
	;; [unrolled: 1-line block ×16, first 2 shown]
	s_waitcnt lgkmcnt(0)
	s_barrier
	buffer_gl0_inv
	ds_read_b128 v[13:16], v152 offset:256
	v_mul_u32_u24_sdwa v42, v42, v161 dst_sel:DWORD dst_unused:UNUSED_PAD src0_sel:WORD_1 src1_sel:DWORD
	v_mul_u32_u24_sdwa v247, v43, v161 dst_sel:DWORD dst_unused:UNUSED_PAD src0_sel:WORD_0 src1_sel:DWORD
	v_mul_u32_u24_sdwa v43, v43, v161 dst_sel:DWORD dst_unused:UNUSED_PAD src0_sel:WORD_1 src1_sel:DWORD
	v_mul_u32_u24_sdwa v248, v44, v161 dst_sel:DWORD dst_unused:UNUSED_PAD src0_sel:WORD_0 src1_sel:DWORD
	v_mul_u32_u24_sdwa v44, v44, v161 dst_sel:DWORD dst_unused:UNUSED_PAD src0_sel:WORD_1 src1_sel:DWORD
	v_pk_fma_f16 v33, v11, v41, v18
	v_pk_fma_f16 v34, v11, v246, v20
	ds_read2_b64 v[17:20], v184 offset1:28
	v_pk_fma_f16 v35, v11, v42, v22
	v_pk_fma_f16 v36, v11, v247, v24
	;; [unrolled: 1-line block ×13, first 2 shown]
	ds_read_b128 v[9:12], v152 offset:272
	ds_read_b128 v[21:24], v152 offset:288
	;; [unrolled: 1-line block ×3, first 2 shown]
	s_waitcnt lgkmcnt(4)
	v_mul_u32_u24_sdwa v45, v13, v161 dst_sel:DWORD dst_unused:UNUSED_PAD src0_sel:WORD_0 src1_sel:DWORD
	v_mul_u32_u24_sdwa v13, v13, v161 dst_sel:DWORD dst_unused:UNUSED_PAD src0_sel:WORD_1 src1_sel:DWORD
	v_mul_u32_u24_sdwa v46, v14, v161 dst_sel:DWORD dst_unused:UNUSED_PAD src0_sel:WORD_0 src1_sel:DWORD
	v_mul_u32_u24_sdwa v14, v14, v161 dst_sel:DWORD dst_unused:UNUSED_PAD src0_sel:WORD_1 src1_sel:DWORD
	;; [unrolled: 2-line block ×4, first 2 shown]
	s_waitcnt lgkmcnt(3)
	v_pk_fma_f16 v32, v17, v45, v32
	v_pk_fma_f16 v33, v17, v13, v33
	;; [unrolled: 1-line block ×16, first 2 shown]
	s_waitcnt lgkmcnt(2)
	v_mul_u32_u24_sdwa v18, v9, v161 dst_sel:DWORD dst_unused:UNUSED_PAD src0_sel:WORD_0 src1_sel:DWORD
	v_mul_u32_u24_sdwa v40, v9, v161 dst_sel:DWORD dst_unused:UNUSED_PAD src0_sel:WORD_1 src1_sel:DWORD
	v_mul_u32_u24_sdwa v41, v10, v161 dst_sel:DWORD dst_unused:UNUSED_PAD src0_sel:WORD_0 src1_sel:DWORD
	v_mul_u32_u24_sdwa v42, v10, v161 dst_sel:DWORD dst_unused:UNUSED_PAD src0_sel:WORD_1 src1_sel:DWORD
	;; [unrolled: 2-line block ×4, first 2 shown]
	ds_read2_b64 v[9:12], v184 offset0:56 offset1:84
	v_pk_fma_f16 v32, v19, v18, v32
	v_pk_fma_f16 v33, v19, v40, v33
	;; [unrolled: 1-line block ×16, first 2 shown]
	s_waitcnt lgkmcnt(2)
	v_mul_u32_u24_sdwa v20, v21, v161 dst_sel:DWORD dst_unused:UNUSED_PAD src0_sel:WORD_0 src1_sel:DWORD
	v_mul_u32_u24_sdwa v21, v21, v161 dst_sel:DWORD dst_unused:UNUSED_PAD src0_sel:WORD_1 src1_sel:DWORD
	v_mul_u32_u24_sdwa v31, v22, v161 dst_sel:DWORD dst_unused:UNUSED_PAD src0_sel:WORD_0 src1_sel:DWORD
	v_mul_u32_u24_sdwa v22, v22, v161 dst_sel:DWORD dst_unused:UNUSED_PAD src0_sel:WORD_1 src1_sel:DWORD
	;; [unrolled: 2-line block ×4, first 2 shown]
	s_waitcnt lgkmcnt(0)
	v_pk_fma_f16 v32, v9, v20, v32
	v_pk_fma_f16 v33, v9, v21, v33
	;; [unrolled: 1-line block ×16, first 2 shown]
	v_mul_u32_u24_sdwa v24, v25, v161 dst_sel:DWORD dst_unused:UNUSED_PAD src0_sel:WORD_0 src1_sel:DWORD
	v_mul_u32_u24_sdwa v25, v25, v161 dst_sel:DWORD dst_unused:UNUSED_PAD src0_sel:WORD_1 src1_sel:DWORD
	v_mul_u32_u24_sdwa v39, v26, v161 dst_sel:DWORD dst_unused:UNUSED_PAD src0_sel:WORD_0 src1_sel:DWORD
	v_mul_u32_u24_sdwa v26, v26, v161 dst_sel:DWORD dst_unused:UNUSED_PAD src0_sel:WORD_1 src1_sel:DWORD
	v_mul_u32_u24_sdwa v40, v27, v161 dst_sel:DWORD dst_unused:UNUSED_PAD src0_sel:WORD_0 src1_sel:DWORD
	v_mul_u32_u24_sdwa v27, v27, v161 dst_sel:DWORD dst_unused:UNUSED_PAD src0_sel:WORD_1 src1_sel:DWORD
	v_mul_u32_u24_sdwa v42, v28, v161 dst_sel:DWORD dst_unused:UNUSED_PAD src0_sel:WORD_0 src1_sel:DWORD
	ds_read_b128 v[13:16], v152 offset:320
	v_mul_u32_u24_sdwa v28, v28, v161 dst_sel:DWORD dst_unused:UNUSED_PAD src0_sel:WORD_1 src1_sel:DWORD
	v_pk_fma_f16 v32, v11, v24, v32
	v_pk_fma_f16 v33, v11, v25, v33
	v_pk_fma_f16 v34, v11, v39, v34
	v_pk_fma_f16 v35, v11, v26, v35
	v_pk_fma_f16 v36, v11, v40, v36
	v_pk_fma_f16 v37, v11, v27, v37
	ds_read2_b64 v[17:20], v184 offset0:112 offset1:140
	v_pk_fma_f16 v38, v11, v42, v38
	v_pk_fma_f16 v43, v11, v28, v9
	v_pk_fma_f16 v24, v12, v24, v41
	v_pk_fma_f16 v21, v12, v25, v21
	v_pk_fma_f16 v25, v12, v39, v31
	v_pk_fma_f16 v22, v12, v26, v22
	v_pk_fma_f16 v26, v12, v40, v29
	v_pk_fma_f16 v23, v12, v27, v23
	v_pk_fma_f16 v27, v12, v42, v30
	v_pk_fma_f16 v28, v12, v28, v10
	ds_read_b128 v[9:12], v152 offset:336
	s_waitcnt lgkmcnt(2)
	v_mul_u32_u24_sdwa v29, v13, v161 dst_sel:DWORD dst_unused:UNUSED_PAD src0_sel:WORD_0 src1_sel:DWORD
	v_mul_u32_u24_sdwa v13, v13, v161 dst_sel:DWORD dst_unused:UNUSED_PAD src0_sel:WORD_1 src1_sel:DWORD
	v_mul_u32_u24_sdwa v30, v14, v161 dst_sel:DWORD dst_unused:UNUSED_PAD src0_sel:WORD_0 src1_sel:DWORD
	v_mul_u32_u24_sdwa v14, v14, v161 dst_sel:DWORD dst_unused:UNUSED_PAD src0_sel:WORD_1 src1_sel:DWORD
	v_mul_u32_u24_sdwa v31, v15, v161 dst_sel:DWORD dst_unused:UNUSED_PAD src0_sel:WORD_0 src1_sel:DWORD
	v_mul_u32_u24_sdwa v15, v15, v161 dst_sel:DWORD dst_unused:UNUSED_PAD src0_sel:WORD_1 src1_sel:DWORD
	v_mul_u32_u24_sdwa v39, v16, v161 dst_sel:DWORD dst_unused:UNUSED_PAD src0_sel:WORD_0 src1_sel:DWORD
	v_mul_u32_u24_sdwa v16, v16, v161 dst_sel:DWORD dst_unused:UNUSED_PAD src0_sel:WORD_1 src1_sel:DWORD
	s_waitcnt lgkmcnt(1)
	v_pk_fma_f16 v32, v17, v29, v32
	v_pk_fma_f16 v33, v17, v13, v33
	v_pk_fma_f16 v34, v17, v30, v34
	v_pk_fma_f16 v35, v17, v14, v35
	v_pk_fma_f16 v36, v17, v31, v36
	v_pk_fma_f16 v37, v17, v15, v37
	v_pk_fma_f16 v38, v17, v39, v38
	v_pk_fma_f16 v17, v17, v16, v43
	v_pk_fma_f16 v24, v18, v29, v24
	v_pk_fma_f16 v21, v18, v13, v21
	v_pk_fma_f16 v25, v18, v30, v25
	v_pk_fma_f16 v22, v18, v14, v22
	v_pk_fma_f16 v26, v18, v31, v26
	v_pk_fma_f16 v23, v18, v15, v23
	v_pk_fma_f16 v27, v18, v39, v27
	v_pk_fma_f16 v18, v18, v16, v28
	s_waitcnt lgkmcnt(0)
	v_mul_u32_u24_sdwa v28, v9, v161 dst_sel:DWORD dst_unused:UNUSED_PAD src0_sel:WORD_0 src1_sel:DWORD
	v_mul_u32_u24_sdwa v29, v9, v161 dst_sel:DWORD dst_unused:UNUSED_PAD src0_sel:WORD_1 src1_sel:DWORD
	v_mul_u32_u24_sdwa v30, v10, v161 dst_sel:DWORD dst_unused:UNUSED_PAD src0_sel:WORD_0 src1_sel:DWORD
	v_mul_u32_u24_sdwa v31, v10, v161 dst_sel:DWORD dst_unused:UNUSED_PAD src0_sel:WORD_1 src1_sel:DWORD
	v_mul_u32_u24_sdwa v39, v11, v161 dst_sel:DWORD dst_unused:UNUSED_PAD src0_sel:WORD_0 src1_sel:DWORD
	v_mul_u32_u24_sdwa v40, v11, v161 dst_sel:DWORD dst_unused:UNUSED_PAD src0_sel:WORD_1 src1_sel:DWORD
	v_mul_u32_u24_sdwa v41, v12, v161 dst_sel:DWORD dst_unused:UNUSED_PAD src0_sel:WORD_0 src1_sel:DWORD
	ds_read_b128 v[13:16], v152 offset:352
	v_mul_u32_u24_sdwa v42, v12, v161 dst_sel:DWORD dst_unused:UNUSED_PAD src0_sel:WORD_1 src1_sel:DWORD
	v_pk_fma_f16 v32, v19, v28, v32
	v_pk_fma_f16 v33, v19, v29, v33
	v_pk_fma_f16 v34, v19, v30, v34
	v_pk_fma_f16 v35, v19, v31, v35
	v_pk_fma_f16 v36, v19, v39, v36
	v_pk_fma_f16 v37, v19, v40, v37
	ds_read2_b64 v[9:12], v184 offset0:168 offset1:196
	v_pk_fma_f16 v38, v19, v41, v38
	v_pk_fma_f16 v43, v19, v42, v17
	v_pk_fma_f16 v24, v20, v28, v24
	v_pk_fma_f16 v21, v20, v29, v21
	v_pk_fma_f16 v25, v20, v30, v25
	v_pk_fma_f16 v22, v20, v31, v22
	v_pk_fma_f16 v26, v20, v39, v26
	v_pk_fma_f16 v23, v20, v40, v23
	v_pk_fma_f16 v27, v20, v41, v27
	v_pk_fma_f16 v28, v20, v42, v18
	ds_read_b128 v[17:20], v152 offset:368
	s_waitcnt lgkmcnt(2)
	v_mul_u32_u24_sdwa v29, v13, v161 dst_sel:DWORD dst_unused:UNUSED_PAD src0_sel:WORD_0 src1_sel:DWORD
	v_mul_u32_u24_sdwa v13, v13, v161 dst_sel:DWORD dst_unused:UNUSED_PAD src0_sel:WORD_1 src1_sel:DWORD
	v_mul_u32_u24_sdwa v30, v14, v161 dst_sel:DWORD dst_unused:UNUSED_PAD src0_sel:WORD_0 src1_sel:DWORD
	v_mul_u32_u24_sdwa v14, v14, v161 dst_sel:DWORD dst_unused:UNUSED_PAD src0_sel:WORD_1 src1_sel:DWORD
	v_mul_u32_u24_sdwa v31, v15, v161 dst_sel:DWORD dst_unused:UNUSED_PAD src0_sel:WORD_0 src1_sel:DWORD
	v_mul_u32_u24_sdwa v15, v15, v161 dst_sel:DWORD dst_unused:UNUSED_PAD src0_sel:WORD_1 src1_sel:DWORD
	v_mul_u32_u24_sdwa v39, v16, v161 dst_sel:DWORD dst_unused:UNUSED_PAD src0_sel:WORD_0 src1_sel:DWORD
	v_mul_u32_u24_sdwa v16, v16, v161 dst_sel:DWORD dst_unused:UNUSED_PAD src0_sel:WORD_1 src1_sel:DWORD
	s_waitcnt lgkmcnt(1)
	v_pk_fma_f16 v32, v9, v29, v32
	v_pk_fma_f16 v33, v9, v13, v33
	v_pk_fma_f16 v34, v9, v30, v34
	v_pk_fma_f16 v35, v9, v14, v35
	v_pk_fma_f16 v36, v9, v31, v36
	v_pk_fma_f16 v37, v9, v15, v37
	v_pk_fma_f16 v38, v9, v39, v38
	v_pk_fma_f16 v9, v9, v16, v43
	v_pk_fma_f16 v24, v10, v29, v24
	v_pk_fma_f16 v21, v10, v13, v21
	v_pk_fma_f16 v25, v10, v30, v25
	v_pk_fma_f16 v22, v10, v14, v22
	v_pk_fma_f16 v26, v10, v31, v26
	v_pk_fma_f16 v23, v10, v15, v23
	v_pk_fma_f16 v27, v10, v39, v27
	v_pk_fma_f16 v10, v10, v16, v28
	s_waitcnt lgkmcnt(0)
	;; [unrolled: 54-line block ×5, first 2 shown]
	v_mul_u32_u24_sdwa v28, v9, v161 dst_sel:DWORD dst_unused:UNUSED_PAD src0_sel:WORD_0 src1_sel:DWORD
	v_mul_u32_u24_sdwa v29, v9, v161 dst_sel:DWORD dst_unused:UNUSED_PAD src0_sel:WORD_1 src1_sel:DWORD
	v_mul_u32_u24_sdwa v30, v10, v161 dst_sel:DWORD dst_unused:UNUSED_PAD src0_sel:WORD_0 src1_sel:DWORD
	v_mul_u32_u24_sdwa v31, v10, v161 dst_sel:DWORD dst_unused:UNUSED_PAD src0_sel:WORD_1 src1_sel:DWORD
	;; [unrolled: 2-line block ×3, first 2 shown]
	v_mul_u32_u24_sdwa v41, v12, v161 dst_sel:DWORD dst_unused:UNUSED_PAD src0_sel:WORD_0 src1_sel:DWORD
	ds_read_b128 v[13:16], v152 offset:480
	v_mul_u32_u24_sdwa v42, v12, v161 dst_sel:DWORD dst_unused:UNUSED_PAD src0_sel:WORD_1 src1_sel:DWORD
	v_pk_fma_f16 v32, v19, v28, v32
	v_pk_fma_f16 v33, v19, v29, v33
	;; [unrolled: 1-line block ×6, first 2 shown]
	ds_read2_b64 v[9:12], v183 offset0:136 offset1:164
	v_pk_fma_f16 v38, v19, v41, v38
	v_pk_fma_f16 v43, v19, v42, v17
	v_pk_fma_f16 v24, v20, v28, v24
	v_pk_fma_f16 v21, v20, v29, v21
	v_pk_fma_f16 v25, v20, v30, v25
	v_pk_fma_f16 v22, v20, v31, v22
	v_pk_fma_f16 v26, v20, v39, v26
	v_pk_fma_f16 v23, v20, v40, v23
	v_pk_fma_f16 v27, v20, v41, v27
	v_pk_fma_f16 v28, v20, v42, v18
	ds_read_b128 v[17:20], v152 offset:496
	s_waitcnt lgkmcnt(0)
	s_barrier
	buffer_gl0_inv
	s_load_dword s8, s[36:37], 0x4
	v_mul_u32_u24_sdwa v29, v13, v161 dst_sel:DWORD dst_unused:UNUSED_PAD src0_sel:WORD_0 src1_sel:DWORD
	v_mul_u32_u24_sdwa v13, v13, v161 dst_sel:DWORD dst_unused:UNUSED_PAD src0_sel:WORD_1 src1_sel:DWORD
	v_mul_u32_u24_sdwa v30, v14, v161 dst_sel:DWORD dst_unused:UNUSED_PAD src0_sel:WORD_0 src1_sel:DWORD
	v_mul_u32_u24_sdwa v14, v14, v161 dst_sel:DWORD dst_unused:UNUSED_PAD src0_sel:WORD_1 src1_sel:DWORD
	;; [unrolled: 2-line block ×4, first 2 shown]
	v_pk_fma_f16 v32, v9, v29, v32
	v_pk_fma_f16 v33, v9, v13, v33
	;; [unrolled: 1-line block ×16, first 2 shown]
	v_mul_u32_u24_sdwa v16, v17, v161 dst_sel:DWORD dst_unused:UNUSED_PAD src0_sel:WORD_0 src1_sel:DWORD
	v_mul_u32_u24_sdwa v17, v17, v161 dst_sel:DWORD dst_unused:UNUSED_PAD src0_sel:WORD_1 src1_sel:DWORD
	v_mul_u32_u24_sdwa v25, v18, v161 dst_sel:DWORD dst_unused:UNUSED_PAD src0_sel:WORD_0 src1_sel:DWORD
	v_mul_u32_u24_sdwa v18, v18, v161 dst_sel:DWORD dst_unused:UNUSED_PAD src0_sel:WORD_1 src1_sel:DWORD
	;; [unrolled: 2-line block ×4, first 2 shown]
	s_waitcnt lgkmcnt(0)
	s_lshl_b32 s8, s8, 5
	v_pk_fma_f16 v146, v11, v16, v32
	v_pk_fma_f16 v140, v11, v17, v33
	;; [unrolled: 1-line block ×16, first 2 shown]
	s_add_i32 s31, s8, s31
	s_cmp_ge_i32 s31, s34
	s_cbranch_scc1 .LBB33_49
; %bb.40:                               ;   in Loop: Header=BB33_23 Depth=1
	v_mov_b32_e32 v9, v1
	v_mov_b32_e32 v10, v2
	;; [unrolled: 1-line block ×16, first 2 shown]
	s_branch .LBB33_23
.LBB33_41:                              ;   in Loop: Header=BB33_23 Depth=1
	v_add_co_u32 v1, s8, s9, v106
	v_add_co_ci_u32_e64 v2, null, s10, v107, s8
	global_load_dwordx4 v[1:4], v[1:2], off offset:96
	s_waitcnt vmcnt(0)
	ds_write_b128 v144, v[1:4]
	s_or_b32 exec_lo, exec_lo, s11
	s_and_saveexec_b32 s11, s1
	s_cbranch_execz .LBB33_25
.LBB33_42:                              ;   in Loop: Header=BB33_23 Depth=1
	v_add_co_u32 v1, s8, s9, v108
	v_add_co_ci_u32_e64 v2, null, s10, v109, s8
	v_add_co_u32 v1, s8, v1, v159
	v_add_co_ci_u32_e64 v2, null, 0, v2, s8
	global_load_dwordx4 v[1:4], v[1:2], off offset:64
	s_waitcnt vmcnt(0)
	ds_write_b128 v145, v[1:4]
	s_or_b32 exec_lo, exec_lo, s11
	s_and_saveexec_b32 s11, s2
	s_cbranch_execnz .LBB33_26
	s_branch .LBB33_27
.LBB33_43:                              ;   in Loop: Header=BB33_23 Depth=1
	v_add_co_u32 v17, s8, s9, v106
	v_add_co_ci_u32_e64 v18, null, s10, v107, s8
	global_load_dwordx4 v[17:20], v[17:18], off offset:208
	s_waitcnt vmcnt(0)
	ds_write_b128 v144, v[17:20]
	s_or_b32 exec_lo, exec_lo, s11
	s_and_saveexec_b32 s11, s1
	s_cbranch_execz .LBB33_29
.LBB33_44:                              ;   in Loop: Header=BB33_23 Depth=1
	v_add_co_u32 v17, s8, s9, v108
	v_add_co_ci_u32_e64 v18, null, s10, v109, s8
	v_add_co_u32 v17, s8, v17, v159
	v_add_co_ci_u32_e64 v18, null, 0, v18, s8
	global_load_dwordx4 v[17:20], v[17:18], off offset:176
	s_waitcnt vmcnt(0)
	ds_write_b128 v145, v[17:20]
	s_or_b32 exec_lo, exec_lo, s11
	s_and_saveexec_b32 s11, s2
	s_cbranch_execnz .LBB33_30
	s_branch .LBB33_31
.LBB33_45:                              ;   in Loop: Header=BB33_23 Depth=1
	v_add_co_u32 v9, s24, s25, v112
	v_add_co_ci_u32_e64 v10, null, s43, v113, s24
	v_add_co_u32 v9, s24, v9, v159
	v_add_co_ci_u32_e64 v10, null, 0, v10, s24
	global_load_dwordx4 v[9:12], v[9:10], off offset:192
	s_waitcnt vmcnt(0)
	ds_write_b128 v155, v[9:12]
	s_or_b32 exec_lo, exec_lo, s46
	s_and_saveexec_b32 s46, s6
	s_cbranch_execz .LBB33_33
.LBB33_46:                              ;   in Loop: Header=BB33_23 Depth=1
	v_add_co_u32 v9, s24, s25, v114
	v_add_co_ci_u32_e64 v10, null, s43, v115, s24
	v_add_co_u32 v9, s24, v9, v160
	v_add_co_ci_u32_e64 v10, null, 0, v10, s24
	global_load_dwordx4 v[9:12], v[9:10], off offset:128
	s_waitcnt vmcnt(0)
	ds_write_b128 v156, v[9:12]
	s_or_b32 exec_lo, exec_lo, s46
	v_lshlrev_b32_e32 v193, 2, v154
	s_and_saveexec_b32 s46, s7
	s_cbranch_execnz .LBB33_34
	s_branch .LBB33_35
.LBB33_47:                              ;   in Loop: Header=BB33_23 Depth=1
	v_add_co_u32 v194, s24, s25, v112
	v_add_co_ci_u32_e64 v195, null, s43, v113, s24
	v_add_co_u32 v194, s24, v194, v159
	v_add_co_ci_u32_e64 v195, null, 0, v195, s24
	global_load_dwordx4 v[194:197], v[194:195], off offset:192
	s_waitcnt vmcnt(0)
	ds_write_b128 v155, v[194:197]
	s_or_b32 exec_lo, exec_lo, s46
	s_and_saveexec_b32 s46, s6
	s_cbranch_execz .LBB33_37
.LBB33_48:                              ;   in Loop: Header=BB33_23 Depth=1
	v_add_co_u32 v194, s24, s25, v114
	v_add_co_ci_u32_e64 v195, null, s43, v115, s24
	v_add_co_u32 v194, s24, v194, v160
	v_add_co_ci_u32_e64 v195, null, 0, v195, s24
	global_load_dwordx4 v[194:197], v[194:195], off offset:128
	s_waitcnt vmcnt(0)
	ds_write_b128 v156, v[194:197]
	s_or_b32 exec_lo, exec_lo, s46
	s_and_saveexec_b32 s46, s7
	s_cbranch_execnz .LBB33_38
	s_branch .LBB33_39
.LBB33_49:
	v_mov_b32_e32 v9, v135
.LBB33_50:
	v_cmp_lt_i32_e32 vcc_lo, v172, v137
	s_cmp_lg_u64 s[44:45], 0
	s_cselect_b32 s1, -1, 0
	s_cmp_eq_u32 s28, 0
	v_cndmask_b32_e32 v10, v9, v172, vcc_lo
	v_cmp_lt_i32_e32 vcc_lo, v170, v137
	s_cselect_b32 s2, -1, 0
	s_and_b32 s1, s2, s1
	v_lshlrev_b32_e32 v10, 2, v10
	v_cndmask_b32_e32 v18, v9, v170, vcc_lo
	v_cmp_lt_i32_e32 vcc_lo, v171, v137
	ds_bpermute_b32 v11, v10, v182
	ds_bpermute_b32 v12, v10, v181
	;; [unrolled: 1-line block ×8, first 2 shown]
	v_lshlrev_b32_e32 v18, 2, v18
	v_cndmask_b32_e32 v26, v9, v171, vcc_lo
	v_cmp_lt_i32_e32 vcc_lo, v173, v137
	v_lshlrev_b32_e32 v26, 2, v26
	s_waitcnt lgkmcnt(7)
	v_add_f32_e32 v11, v182, v11
	s_waitcnt lgkmcnt(6)
	v_add_f32_e32 v12, v181, v12
	;; [unrolled: 2-line block ×8, first 2 shown]
	ds_bpermute_b32 v19, v18, v11
	ds_bpermute_b32 v20, v18, v12
	;; [unrolled: 1-line block ×8, first 2 shown]
	s_waitcnt lgkmcnt(7)
	v_add_f32_e32 v11, v11, v19
	s_waitcnt lgkmcnt(6)
	v_add_f32_e32 v12, v12, v20
	;; [unrolled: 2-line block ×8, first 2 shown]
	ds_bpermute_b32 v18, v26, v11
	ds_bpermute_b32 v19, v26, v12
	;; [unrolled: 1-line block ×8, first 2 shown]
	v_cndmask_b32_e32 v26, v9, v173, vcc_lo
	v_cmp_lt_i32_e32 vcc_lo, v174, v137
	v_lshlrev_b32_e32 v26, 2, v26
	v_cndmask_b32_e32 v9, v9, v174, vcc_lo
	s_and_b32 vcc_lo, exec_lo, s1
	v_lshlrev_b32_e32 v9, 2, v9
	s_waitcnt lgkmcnt(7)
	v_add_f32_e32 v11, v11, v18
	s_waitcnt lgkmcnt(6)
	v_add_f32_e32 v12, v12, v19
	;; [unrolled: 2-line block ×8, first 2 shown]
	ds_bpermute_b32 v18, v26, v11
	ds_bpermute_b32 v19, v26, v12
	;; [unrolled: 1-line block ×8, first 2 shown]
	s_waitcnt lgkmcnt(7)
	v_add_f32_e32 v11, v11, v18
	s_waitcnt lgkmcnt(6)
	v_add_f32_e32 v12, v12, v19
	;; [unrolled: 2-line block ×8, first 2 shown]
	ds_bpermute_b32 v10, v9, v11
	ds_bpermute_b32 v19, v9, v12
	;; [unrolled: 1-line block ×8, first 2 shown]
	s_waitcnt lgkmcnt(7)
	v_add_f32_e32 v9, v11, v10
	s_waitcnt lgkmcnt(6)
	v_add_f32_e32 v10, v12, v19
	;; [unrolled: 2-line block ×8, first 2 shown]
	s_cbranch_vccz .LBB33_53
; %bb.51:
	s_ashr_i32 s31, s30, 31
	v_mov_b32_e32 v17, 0
	s_lshl_b64 s[2:3], s[30:31], 2
	v_max_f32_e32 v18, v2, v2
	s_add_u32 s2, s44, s2
	s_addc_u32 s3, s45, s3
	v_max_f32_e32 v19, v3, v3
	global_load_dwordx2 v[26:27], v17, s[2:3]
	v_max_f32_e32 v17, v1, v1
	v_max_f32_e32 v20, v4, v4
	;; [unrolled: 1-line block ×6, first 2 shown]
	v_mov_b32_e32 v25, 0x10001
	s_waitcnt vmcnt(0)
	v_max_f32_e32 v23, v26, v26
	v_max_f32_e32 v24, v27, v27
	v_max_f32_e32 v17, v17, v23
	v_max_f32_e32 v18, v18, v24
	v_max_f32_e32 v19, v19, v23
	v_max_f32_e32 v20, v20, v24
	v_max_f32_e32 v21, v21, v23
	v_max_f32_e32 v22, v22, v24
	v_max_f32_e32 v23, v28, v23
	v_max_f32_e32 v24, v29, v24
	v_sub_f32_e32 v28, v1, v17
	v_sub_f32_e32 v30, v2, v18
	;; [unrolled: 1-line block ×8, first 2 shown]
	v_mov_b32_e32 v1, v17
	v_sub_f32_e32 v29, v26, v17
	v_mov_b32_e32 v2, v18
	v_mov_b32_e32 v3, v19
	v_mov_b32_e32 v4, v20
	v_mov_b32_e32 v5, v21
	v_mov_b32_e32 v6, v22
	v_mov_b32_e32 v7, v23
	v_mov_b32_e32 v8, v24
	v_mul_f32_e32 v17, 0x3fb8aa3b, v28
	v_sub_f32_e32 v31, v27, v18
	v_mul_f32_e32 v18, 0x3fb8aa3b, v29
	v_sub_f32_e32 v33, v26, v19
	v_mul_f32_e32 v19, 0x3fb8aa3b, v30
	v_fma_f32 v50, 0x3fb8aa3b, v28, -v17
	v_rndne_f32_e32 v51, v17
	v_fma_f32 v52, 0x3fb8aa3b, v29, -v18
	v_rndne_f32_e32 v53, v18
	v_sub_f32_e32 v35, v27, v20
	v_fmac_f32_e32 v50, 0x32a5705f, v28
	v_sub_f32_e32 v17, v17, v51
	v_mul_f32_e32 v20, 0x3fb8aa3b, v31
	v_fma_f32 v54, 0x3fb8aa3b, v30, -v19
	v_rndne_f32_e32 v55, v19
	v_fmac_f32_e32 v52, 0x32a5705f, v29
	v_sub_f32_e32 v18, v18, v53
	v_add_f32_e32 v17, v17, v50
	v_sub_f32_e32 v37, v26, v21
	v_mul_f32_e32 v21, 0x3fb8aa3b, v32
	v_fma_f32 v56, 0x3fb8aa3b, v31, -v20
	v_rndne_f32_e32 v57, v20
	v_fmac_f32_e32 v54, 0x32a5705f, v30
	v_sub_f32_e32 v19, v19, v55
	v_add_f32_e32 v18, v18, v52
	v_exp_f32_e32 v17, v17
	v_sub_f32_e32 v39, v27, v22
	v_mul_f32_e32 v22, 0x3fb8aa3b, v33
	v_fma_f32 v58, 0x3fb8aa3b, v32, -v21
	v_rndne_f32_e32 v59, v21
	v_cvt_i32_f32_e32 v51, v51
	v_fmac_f32_e32 v56, 0x32a5705f, v31
	v_sub_f32_e32 v20, v20, v57
	v_add_f32_e32 v19, v19, v54
	v_exp_f32_e32 v18, v18
	v_sub_f32_e32 v26, v26, v23
	v_mul_f32_e32 v23, 0x3fb8aa3b, v34
	v_fma_f32 v60, 0x3fb8aa3b, v33, -v22
	v_rndne_f32_e32 v61, v22
	v_cvt_i32_f32_e32 v53, v53
	v_fmac_f32_e32 v58, 0x32a5705f, v32
	v_sub_f32_e32 v21, v21, v59
	v_add_f32_e32 v20, v20, v56
	v_exp_f32_e32 v19, v19
	v_ldexp_f32 v17, v17, v51
	v_cmp_ngt_f32_e32 vcc_lo, 0xc2ce8ed0, v28
	v_sub_f32_e32 v27, v27, v24
	v_mul_f32_e32 v24, 0x3fb8aa3b, v35
	v_fma_f32 v62, 0x3fb8aa3b, v34, -v23
	v_rndne_f32_e32 v63, v23
	v_cvt_i32_f32_e32 v55, v55
	v_fmac_f32_e32 v60, 0x32a5705f, v33
	v_sub_f32_e32 v22, v22, v61
	v_add_f32_e32 v21, v21, v58
	v_exp_f32_e32 v20, v20
	v_ldexp_f32 v18, v18, v53
	v_cndmask_b32_e32 v17, 0, v17, vcc_lo
	v_cmp_ngt_f32_e32 vcc_lo, 0xc2ce8ed0, v29
	v_mul_f32_e32 v42, 0x3fb8aa3b, v36
	v_fma_f32 v64, 0x3fb8aa3b, v35, -v24
	v_rndne_f32_e32 v65, v24
	v_cvt_i32_f32_e32 v57, v57
	v_fmac_f32_e32 v62, 0x32a5705f, v34
	v_sub_f32_e32 v23, v23, v63
	v_add_f32_e32 v22, v22, v60
	v_exp_f32_e32 v21, v21
	v_ldexp_f32 v19, v19, v55
	v_cndmask_b32_e32 v18, 0, v18, vcc_lo
	v_cmp_ngt_f32_e32 vcc_lo, 0xc2ce8ed0, v30
	v_mul_f32_e32 v43, 0x3fb8aa3b, v37
	v_fma_f32 v66, 0x3fb8aa3b, v36, -v42
	v_rndne_f32_e32 v67, v42
	v_cvt_i32_f32_e32 v59, v59
	v_fmac_f32_e32 v64, 0x32a5705f, v35
	v_sub_f32_e32 v24, v24, v65
	v_add_f32_e32 v23, v23, v62
	v_exp_f32_e32 v22, v22
	v_ldexp_f32 v20, v20, v57
	v_cndmask_b32_e32 v19, 0, v19, vcc_lo
	v_cmp_ngt_f32_e32 vcc_lo, 0xc2ce8ed0, v31
	v_mul_f32_e32 v44, 0x3fb8aa3b, v38
	v_fma_f32 v68, 0x3fb8aa3b, v37, -v43
	v_rndne_f32_e32 v69, v43
	v_cvt_i32_f32_e32 v61, v61
	v_fmac_f32_e32 v66, 0x32a5705f, v36
	v_sub_f32_e32 v42, v42, v67
	v_add_f32_e32 v24, v24, v64
	v_exp_f32_e32 v23, v23
	v_ldexp_f32 v21, v21, v59
	v_cndmask_b32_e32 v20, 0, v20, vcc_lo
	v_cmp_ngt_f32_e32 vcc_lo, 0xc2ce8ed0, v32
	v_mul_f32_e32 v45, 0x3fb8aa3b, v39
	v_fma_f32 v70, 0x3fb8aa3b, v38, -v44
	v_rndne_f32_e32 v71, v44
	v_cvt_i32_f32_e32 v63, v63
	v_fmac_f32_e32 v68, 0x32a5705f, v37
	v_sub_f32_e32 v43, v43, v69
	v_add_f32_e32 v42, v42, v66
	v_exp_f32_e32 v24, v24
	v_ldexp_f32 v22, v22, v61
	v_cndmask_b32_e32 v21, 0, v21, vcc_lo
	v_cmp_ngt_f32_e32 vcc_lo, 0xc2ce8ed0, v33
	v_mul_f32_e32 v46, 0x3fb8aa3b, v40
	v_fma_f32 v72, 0x3fb8aa3b, v39, -v45
	v_rndne_f32_e32 v73, v45
	v_cvt_i32_f32_e32 v65, v65
	v_fmac_f32_e32 v70, 0x32a5705f, v38
	v_sub_f32_e32 v44, v44, v71
	v_add_f32_e32 v43, v43, v68
	v_exp_f32_e32 v42, v42
	v_ldexp_f32 v23, v23, v63
	v_cndmask_b32_e32 v22, 0, v22, vcc_lo
	v_cmp_ngt_f32_e32 vcc_lo, 0xc2ce8ed0, v34
	v_mul_f32_e32 v47, 0x3fb8aa3b, v26
	v_fma_f32 v74, 0x3fb8aa3b, v40, -v46
	v_rndne_f32_e32 v75, v46
	v_cvt_i32_f32_e32 v67, v67
	v_fmac_f32_e32 v72, 0x32a5705f, v39
	v_sub_f32_e32 v45, v45, v73
	v_add_f32_e32 v44, v44, v70
	v_exp_f32_e32 v43, v43
	v_ldexp_f32 v24, v24, v65
	v_cndmask_b32_e32 v23, 0, v23, vcc_lo
	v_cmp_ngt_f32_e32 vcc_lo, 0xc2ce8ed0, v35
	v_mul_f32_e32 v48, 0x3fb8aa3b, v41
	v_fma_f32 v76, 0x3fb8aa3b, v26, -v47
	v_rndne_f32_e32 v77, v47
	v_cvt_i32_f32_e32 v69, v69
	v_fmac_f32_e32 v74, 0x32a5705f, v40
	v_sub_f32_e32 v46, v46, v75
	v_add_f32_e32 v45, v45, v72
	v_exp_f32_e32 v44, v44
	v_ldexp_f32 v42, v42, v67
	v_cndmask_b32_e32 v24, 0, v24, vcc_lo
	v_cmp_ngt_f32_e32 vcc_lo, 0xc2ce8ed0, v36
	v_mul_f32_e32 v49, 0x3fb8aa3b, v27
	v_fma_f32 v78, 0x3fb8aa3b, v41, -v48
	v_rndne_f32_e32 v79, v48
	v_cvt_i32_f32_e32 v71, v71
	v_fmac_f32_e32 v76, 0x32a5705f, v26
	v_sub_f32_e32 v47, v47, v77
	v_add_f32_e32 v46, v46, v74
	v_exp_f32_e32 v45, v45
	v_ldexp_f32 v43, v43, v69
	v_cndmask_b32_e32 v42, 0, v42, vcc_lo
	v_cmp_ngt_f32_e32 vcc_lo, 0xc2ce8ed0, v37
	v_fma_f32 v80, 0x3fb8aa3b, v27, -v49
	v_rndne_f32_e32 v81, v49
	v_cvt_i32_f32_e32 v73, v73
	v_fmac_f32_e32 v78, 0x32a5705f, v41
	v_sub_f32_e32 v48, v48, v79
	v_add_f32_e32 v47, v47, v76
	v_exp_f32_e32 v46, v46
	v_ldexp_f32 v44, v44, v71
	v_cndmask_b32_e32 v43, 0, v43, vcc_lo
	v_cmp_ngt_f32_e32 vcc_lo, 0xc2ce8ed0, v38
	v_cvt_i32_f32_e32 v75, v75
	v_fmac_f32_e32 v80, 0x32a5705f, v27
	v_sub_f32_e32 v49, v49, v81
	v_add_f32_e32 v48, v48, v78
	v_exp_f32_e32 v47, v47
	v_ldexp_f32 v45, v45, v73
	v_cndmask_b32_e32 v44, 0, v44, vcc_lo
	v_cmp_ngt_f32_e32 vcc_lo, 0xc2ce8ed0, v39
	v_cvt_i32_f32_e32 v77, v77
	v_add_f32_e32 v49, v49, v80
	v_exp_f32_e32 v48, v48
	v_ldexp_f32 v46, v46, v75
	v_cndmask_b32_e32 v45, 0, v45, vcc_lo
	v_cmp_ngt_f32_e32 vcc_lo, 0xc2ce8ed0, v40
	v_cvt_i32_f32_e32 v79, v79
	v_exp_f32_e32 v49, v49
	v_ldexp_f32 v47, v47, v77
	v_cvt_i32_f32_e32 v81, v81
	v_cndmask_b32_e32 v46, 0, v46, vcc_lo
	v_cmp_ngt_f32_e32 vcc_lo, 0xc2ce8ed0, v26
	v_ldexp_f32 v48, v48, v79
	v_cndmask_b32_e32 v47, 0, v47, vcc_lo
	v_cmp_ngt_f32_e32 vcc_lo, 0xc2ce8ed0, v41
	v_ldexp_f32 v49, v49, v81
	v_cndmask_b32_e32 v48, 0, v48, vcc_lo
	v_cmp_ngt_f32_e32 vcc_lo, 0xc2ce8ed0, v27
	v_cndmask_b32_e32 v49, 0, v49, vcc_lo
	v_cmp_nlt_f32_e32 vcc_lo, 0x42b17218, v28
	v_cndmask_b32_e32 v28, 0x7f800000, v17, vcc_lo
	v_cmp_nlt_f32_e32 vcc_lo, 0x42b17218, v29
	;; [unrolled: 2-line block ×3, first 2 shown]
	v_fmac_f32_e32 v17, v9, v28
	v_cndmask_b32_e32 v29, 0x7f800000, v19, vcc_lo
	v_cmp_nlt_f32_e32 vcc_lo, 0x42b17218, v31
	v_cvt_f16_f32_e32 v9, v28
	v_cndmask_b32_e32 v18, 0x7f800000, v20, vcc_lo
	v_cmp_nlt_f32_e32 vcc_lo, 0x42b17218, v32
	v_fmac_f32_e32 v18, v10, v29
	v_cndmask_b32_e32 v30, 0x7f800000, v21, vcc_lo
	v_cmp_nlt_f32_e32 vcc_lo, 0x42b17218, v33
	v_cvt_f16_f32_e32 v10, v29
	v_cndmask_b32_e32 v19, 0x7f800000, v22, vcc_lo
	v_cmp_nlt_f32_e32 vcc_lo, 0x42b17218, v34
	;; [unrolled: 6-line block ×3, first 2 shown]
	v_mul_u32_u24_sdwa v28, v11, v25 dst_sel:DWORD dst_unused:UNUSED_PAD src0_sel:WORD_0 src1_sel:DWORD
	v_mov_b32_e32 v11, v19
	v_fmac_f32_e32 v20, v12, v31
	v_cndmask_b32_e32 v32, 0x7f800000, v42, vcc_lo
	v_cmp_nlt_f32_e32 vcc_lo, 0x42b17218, v37
	v_cvt_f16_f32_e32 v12, v31
	v_pk_mul_f16 v138, v138, v28
	v_pk_mul_f16 v139, v139, v28
	v_cndmask_b32_e32 v21, 0x7f800000, v43, vcc_lo
	v_cmp_nlt_f32_e32 vcc_lo, 0x42b17218, v38
	v_mul_u32_u24_sdwa v29, v12, v25 dst_sel:DWORD dst_unused:UNUSED_PAD src0_sel:WORD_0 src1_sel:DWORD
	v_mov_b32_e32 v12, v20
	v_fmac_f32_e32 v21, v13, v32
	v_cndmask_b32_e32 v33, 0x7f800000, v44, vcc_lo
	v_cmp_nlt_f32_e32 vcc_lo, 0x42b17218, v39
	v_cvt_f16_f32_e32 v13, v32
	v_pk_mul_f16 v134, v134, v29
	v_pk_mul_f16 v136, v136, v29
	v_cndmask_b32_e32 v22, 0x7f800000, v45, vcc_lo
	v_cmp_nlt_f32_e32 vcc_lo, 0x42b17218, v40
	;; [unrolled: 10-line block ×3, first 2 shown]
	v_mul_u32_u24_sdwa v31, v14, v25 dst_sel:DWORD dst_unused:UNUSED_PAD src0_sel:WORD_0 src1_sel:DWORD
	v_mov_b32_e32 v14, v22
	v_fmac_f32_e32 v23, v15, v34
	v_cndmask_b32_e32 v26, 0x7f800000, v48, vcc_lo
	v_cmp_nlt_f32_e32 vcc_lo, 0x42b17218, v27
	v_cvt_f16_f32_e32 v15, v34
	v_mul_u32_u24_sdwa v27, v10, v25 dst_sel:DWORD dst_unused:UNUSED_PAD src0_sel:WORD_0 src1_sel:DWORD
	v_mov_b32_e32 v10, v18
	v_pk_mul_f16 v130, v130, v31
	v_cndmask_b32_e32 v24, 0x7f800000, v49, vcc_lo
	v_mul_u32_u24_sdwa v32, v15, v25 dst_sel:DWORD dst_unused:UNUSED_PAD src0_sel:WORD_0 src1_sel:DWORD
	v_mov_b32_e32 v15, v23
	v_pk_mul_f16 v140, v140, v27
	v_pk_mul_f16 v141, v141, v27
	v_fmac_f32_e32 v24, v16, v26
	v_cvt_f16_f32_e32 v16, v26
	v_mul_u32_u24_sdwa v26, v9, v25 dst_sel:DWORD dst_unused:UNUSED_PAD src0_sel:WORD_0 src1_sel:DWORD
	v_mov_b32_e32 v9, v17
	v_pk_mul_f16 v131, v131, v31
	v_pk_mul_f16 v128, v128, v32
	v_mul_u32_u24_sdwa v16, v16, v25 dst_sel:DWORD dst_unused:UNUSED_PAD src0_sel:WORD_0 src1_sel:DWORD
	v_pk_mul_f16 v146, v146, v26
	v_pk_mul_f16 v153, v153, v26
	;; [unrolled: 1-line block ×5, first 2 shown]
	v_mov_b32_e32 v16, v24
	v_add_nc_u32_e32 v25, s29, v124
	s_mov_b32 s1, exec_lo
	v_cmpx_gt_i32_e64 s26, v25
	s_cbranch_execnz .LBB33_54
.LBB33_52:
	s_endpgm
.LBB33_53:
	v_mov_b32_e32 v24, v16
	v_mov_b32_e32 v23, v15
	;; [unrolled: 1-line block ×8, first 2 shown]
	v_add_nc_u32_e32 v25, s29, v124
	s_mov_b32 s1, exec_lo
	v_cmpx_gt_i32_e64 s26, v25
	s_cbranch_execz .LBB33_52
.LBB33_54:
	s_load_dword s1, s[4:5], 0xd4
	v_mov_b32_e32 v28, 1.0
	s_waitcnt lgkmcnt(0)
	s_cmp_lg_u32 s1, 1
	s_cselect_b32 s4, -1, 0
	s_cmp_eq_u32 s1, 1
	s_cselect_b32 s2, -1, 0
	s_and_b32 vcc_lo, exec_lo, s4
	s_cbranch_vccnz .LBB33_56
; %bb.55:
	v_div_scale_f32 v25, null, v9, v9, 1.0
	v_rcp_f32_e32 v26, v25
	v_fma_f32 v27, -v25, v26, 1.0
	v_fmac_f32_e32 v26, v27, v26
	v_div_scale_f32 v27, vcc_lo, 1.0, v9, 1.0
	v_mul_f32_e32 v28, v27, v26
	v_fma_f32 v29, -v25, v28, v27
	v_fmac_f32_e32 v28, v29, v26
	v_fma_f32 v25, -v25, v28, v27
	v_div_fmas_f32 v25, v25, v26, v28
	v_div_fixup_f32 v28, v25, v9, 1.0
.LBB33_56:
	s_mul_i32 s3, s33, s26
	s_add_i32 s3, s3, s29
	v_add_nc_u32_e32 v9, s3, v124
	v_mul_lo_u32 v27, v9, s27
	v_add_nc_u32_e32 v9, s30, v27
	v_mad_u64_u32 v[25:26], null, s1, v9, s[28:29]
	s_and_saveexec_b32 s5, s0
	s_cbranch_execz .LBB33_58
; %bb.57:
	v_mad_u64_u32 v[29:30], null, 0x70, v25, v[105:106]
	v_mov_b32_e32 v30, 0
	v_cvt_f32_f16_sdwa v9, v153 dst_sel:DWORD dst_unused:UNUSED_PAD src0_sel:WORD_1
	v_cvt_f32_f16_e32 v26, v153
	v_cvt_f32_f16_sdwa v34, v146 dst_sel:DWORD dst_unused:UNUSED_PAD src0_sel:WORD_1
	v_cvt_f32_f16_e32 v35, v146
	v_mul_f32_e32 v31, v28, v9
	v_lshlrev_b64 v[32:33], 2, v[29:30]
	v_mul_f32_e32 v30, v28, v26
	v_mul_f32_e32 v29, v28, v34
	;; [unrolled: 1-line block ×3, first 2 shown]
	v_add_co_u32 v32, vcc_lo, s48, v32
	v_add_co_ci_u32_e64 v33, null, s49, v33, vcc_lo
	global_store_dwordx4 v[32:33], v[28:31], off
.LBB33_58:
	s_or_b32 exec_lo, exec_lo, s5
	v_cmp_eq_u32_e32 vcc_lo, 0, v0
	s_and_b32 s4, vcc_lo, s4
	s_and_saveexec_b32 s5, s4
	s_cbranch_execz .LBB33_60
; %bb.59:
	v_ashrrev_i32_e32 v26, 31, v25
	v_mov_b32_e32 v0, v1
	v_mov_b32_e32 v1, v17
	v_lshlrev_b64 v[25:26], 3, v[25:26]
	v_add_co_u32 v25, vcc_lo, s50, v25
	v_add_co_ci_u32_e64 v26, null, s51, v26, vcc_lo
	global_store_dwordx2 v[25:26], v[0:1], off
.LBB33_60:
	s_or_b32 exec_lo, exec_lo, s5
	v_cndmask_b32_e64 v9, 0, 1, s2
	v_mov_b32_e32 v17, 1.0
	s_andn2_b32 vcc_lo, exec_lo, s2
	s_cbranch_vccnz .LBB33_62
; %bb.61:
	v_div_scale_f32 v0, null, v10, v10, 1.0
	v_rcp_f32_e32 v1, v0
	v_fma_f32 v17, -v0, v1, 1.0
	v_fmac_f32_e32 v1, v17, v1
	v_div_scale_f32 v17, vcc_lo, 1.0, v10, 1.0
	v_mul_f32_e32 v25, v17, v1
	v_fma_f32 v26, -v0, v25, v17
	v_fmac_f32_e32 v25, v26, v1
	v_fma_f32 v0, -v0, v25, v17
	v_div_fmas_f32 v0, v0, v1, v25
	v_div_fixup_f32 v17, v0, v10, 1.0
.LBB33_62:
	s_add_i32 s2, s30, 1
	v_add_nc_u32_e32 v0, s2, v27
	v_mad_u64_u32 v[0:1], null, s1, v0, s[28:29]
	s_and_saveexec_b32 s5, s0
	s_cbranch_execz .LBB33_64
; %bb.63:
	v_mad_u64_u32 v[25:26], null, 0x70, v0, v[105:106]
	v_mov_b32_e32 v26, 0
	v_cvt_f32_f16_sdwa v1, v141 dst_sel:DWORD dst_unused:UNUSED_PAD src0_sel:WORD_1
	v_cvt_f32_f16_e32 v10, v141
	v_cvt_f32_f16_sdwa v31, v140 dst_sel:DWORD dst_unused:UNUSED_PAD src0_sel:WORD_1
	v_mul_f32_e32 v28, v17, v1
	v_lshlrev_b64 v[29:30], 2, v[25:26]
	v_cvt_f32_f16_e32 v25, v140
	v_mul_f32_e32 v27, v17, v10
	v_mul_f32_e32 v26, v17, v31
	;; [unrolled: 1-line block ×3, first 2 shown]
	v_add_co_u32 v29, vcc_lo, s48, v29
	v_add_co_ci_u32_e64 v30, null, s49, v30, vcc_lo
	global_store_dwordx4 v[29:30], v[25:28], off
.LBB33_64:
	s_or_b32 exec_lo, exec_lo, s5
	s_and_saveexec_b32 s5, s4
	s_cbranch_execz .LBB33_66
; %bb.65:
	v_ashrrev_i32_e32 v1, 31, v0
	v_mov_b32_e32 v17, v2
	v_lshlrev_b64 v[0:1], 3, v[0:1]
	v_add_co_u32 v0, vcc_lo, s50, v0
	v_add_co_ci_u32_e64 v1, null, s51, v1, vcc_lo
	global_store_dwordx2 v[0:1], v[17:18], off
.LBB33_66:
	s_or_b32 exec_lo, exec_lo, s5
	v_add_nc_u32_e32 v0, s29, v123
	v_cmp_gt_i32_e32 vcc_lo, s26, v0
	s_and_b32 exec_lo, exec_lo, vcc_lo
	s_cbranch_execz .LBB33_52
; %bb.67:
	v_cmp_ne_u32_e32 vcc_lo, 1, v9
	v_mov_b32_e32 v2, 1.0
	s_cbranch_vccnz .LBB33_69
; %bb.68:
	v_div_scale_f32 v0, null, v11, v11, 1.0
	v_rcp_f32_e32 v1, v0
	v_fma_f32 v2, -v0, v1, 1.0
	v_fmac_f32_e32 v1, v2, v1
	v_div_scale_f32 v2, vcc_lo, 1.0, v11, 1.0
	v_mul_f32_e32 v10, v2, v1
	v_fma_f32 v17, -v0, v10, v2
	v_fmac_f32_e32 v10, v17, v1
	v_fma_f32 v0, -v0, v10, v2
	v_div_fmas_f32 v0, v0, v1, v10
	v_div_fixup_f32 v2, v0, v11, 1.0
.LBB33_69:
	v_add_nc_u32_e32 v0, s3, v123
	v_mad_u64_u32 v[0:1], null, v0, s27, s[30:31]
	v_mad_u64_u32 v[0:1], null, s1, v0, s[28:29]
	s_and_saveexec_b32 s5, s0
	s_cbranch_execz .LBB33_71
; %bb.70:
	v_mad_u64_u32 v[10:11], null, 0x70, v0, v[105:106]
	v_mov_b32_e32 v11, 0
	v_cvt_f32_f16_sdwa v1, v139 dst_sel:DWORD dst_unused:UNUSED_PAD src0_sel:WORD_1
	v_cvt_f32_f16_e32 v17, v139
	v_cvt_f32_f16_sdwa v18, v138 dst_sel:DWORD dst_unused:UNUSED_PAD src0_sel:WORD_1
	v_cvt_f32_f16_e32 v25, v138
	v_mul_f32_e32 v28, v2, v1
	v_lshlrev_b64 v[10:11], 2, v[10:11]
	v_mul_f32_e32 v27, v2, v17
	v_mul_f32_e32 v26, v2, v18
	v_mul_f32_e32 v25, v2, v25
	v_add_co_u32 v10, vcc_lo, s48, v10
	v_add_co_ci_u32_e64 v11, null, s49, v11, vcc_lo
	global_store_dwordx4 v[10:11], v[25:28], off
.LBB33_71:
	s_or_b32 exec_lo, exec_lo, s5
	s_and_saveexec_b32 s5, s4
	s_cbranch_execz .LBB33_73
; %bb.72:
	v_ashrrev_i32_e32 v1, 31, v0
	v_mov_b32_e32 v18, v3
	v_lshlrev_b64 v[0:1], 3, v[0:1]
	v_add_co_u32 v0, vcc_lo, s50, v0
	v_add_co_ci_u32_e64 v1, null, s51, v1, vcc_lo
	global_store_dwordx2 v[0:1], v[18:19], off
.LBB33_73:
	s_or_b32 exec_lo, exec_lo, s5
	v_lshrrev_b32_e32 v0, 1, v122
	v_add_nc_u32_e32 v1, s29, v0
	v_cmp_gt_i32_e32 vcc_lo, s26, v1
	s_and_b32 exec_lo, exec_lo, vcc_lo
	s_cbranch_execz .LBB33_52
; %bb.74:
	v_cmp_ne_u32_e32 vcc_lo, 1, v9
	v_mov_b32_e32 v2, 1.0
	s_cbranch_vccnz .LBB33_76
; %bb.75:
	v_div_scale_f32 v1, null, v12, v12, 1.0
	v_rcp_f32_e32 v2, v1
	v_fma_f32 v3, -v1, v2, 1.0
	v_fmac_f32_e32 v2, v3, v2
	v_div_scale_f32 v3, vcc_lo, 1.0, v12, 1.0
	v_mul_f32_e32 v10, v3, v2
	v_fma_f32 v11, -v1, v10, v3
	v_fmac_f32_e32 v10, v11, v2
	v_fma_f32 v1, -v1, v10, v3
	v_div_fmas_f32 v1, v1, v2, v10
	v_div_fixup_f32 v2, v1, v12, 1.0
.LBB33_76:
	v_add_nc_u32_e32 v0, s3, v0
	v_mad_u64_u32 v[0:1], null, v0, s27, s[2:3]
	v_mad_u64_u32 v[0:1], null, s1, v0, s[28:29]
	s_and_saveexec_b32 s5, s0
	s_cbranch_execz .LBB33_78
; %bb.77:
	v_mad_u64_u32 v[10:11], null, 0x70, v0, v[105:106]
	v_mov_b32_e32 v11, 0
	v_cvt_f32_f16_sdwa v1, v136 dst_sel:DWORD dst_unused:UNUSED_PAD src0_sel:WORD_1
	v_cvt_f32_f16_e32 v3, v136
	v_cvt_f32_f16_sdwa v12, v134 dst_sel:DWORD dst_unused:UNUSED_PAD src0_sel:WORD_1
	v_cvt_f32_f16_e32 v17, v134
	v_mul_f32_e32 v28, v2, v1
	v_lshlrev_b64 v[10:11], 2, v[10:11]
	v_mul_f32_e32 v27, v2, v3
	v_mul_f32_e32 v26, v2, v12
	v_mul_f32_e32 v25, v2, v17
	v_add_co_u32 v10, vcc_lo, s48, v10
	v_add_co_ci_u32_e64 v11, null, s49, v11, vcc_lo
	global_store_dwordx4 v[10:11], v[25:28], off
.LBB33_78:
	s_or_b32 exec_lo, exec_lo, s5
	s_and_saveexec_b32 s5, s4
	s_cbranch_execz .LBB33_80
; %bb.79:
	v_ashrrev_i32_e32 v1, 31, v0
	v_mov_b32_e32 v19, v4
	v_lshlrev_b64 v[0:1], 3, v[0:1]
	v_add_co_u32 v0, vcc_lo, s50, v0
	v_add_co_ci_u32_e64 v1, null, s51, v1, vcc_lo
	global_store_dwordx2 v[0:1], v[19:20], off
.LBB33_80:
	s_or_b32 exec_lo, exec_lo, s5
	v_lshrrev_b32_e32 v0, 1, v121
	;; [unrolled: 55-line block ×5, first 2 shown]
	v_add_nc_u32_e32 v1, s29, v0
	v_cmp_gt_i32_e32 vcc_lo, s26, v1
	s_and_b32 exec_lo, exec_lo, vcc_lo
	s_cbranch_execz .LBB33_52
; %bb.102:
	v_cmp_ne_u32_e32 vcc_lo, 1, v9
	v_mov_b32_e32 v2, 1.0
	s_cbranch_vccnz .LBB33_104
; %bb.103:
	v_div_scale_f32 v1, null, v16, v16, 1.0
	v_rcp_f32_e32 v2, v1
	v_fma_f32 v3, -v1, v2, 1.0
	v_fmac_f32_e32 v2, v3, v2
	v_div_scale_f32 v3, vcc_lo, 1.0, v16, 1.0
	v_mul_f32_e32 v4, v3, v2
	v_fma_f32 v5, -v1, v4, v3
	v_fmac_f32_e32 v4, v5, v2
	v_fma_f32 v1, -v1, v4, v3
	v_div_fmas_f32 v1, v1, v2, v4
	v_div_fixup_f32 v2, v1, v16, 1.0
.LBB33_104:
	v_add_nc_u32_e32 v0, s3, v0
	v_mad_u64_u32 v[0:1], null, v0, s27, s[2:3]
	v_mad_u64_u32 v[0:1], null, s1, v0, s[28:29]
	s_and_saveexec_b32 s1, s0
	s_cbranch_execz .LBB33_106
; %bb.105:
	v_mad_u64_u32 v[3:4], null, 0x70, v0, v[105:106]
	v_mov_b32_e32 v4, 0
	v_cvt_f32_f16_sdwa v1, v125 dst_sel:DWORD dst_unused:UNUSED_PAD src0_sel:WORD_1
	v_cvt_f32_f16_e32 v9, v125
	v_cvt_f32_f16_sdwa v10, v127 dst_sel:DWORD dst_unused:UNUSED_PAD src0_sel:WORD_1
	v_cvt_f32_f16_e32 v11, v127
	v_mul_f32_e32 v5, v2, v1
	v_lshlrev_b64 v[6:7], 2, v[3:4]
	v_mul_f32_e32 v4, v2, v9
	v_mul_f32_e32 v3, v2, v10
	v_mul_f32_e32 v2, v2, v11
	v_add_co_u32 v6, vcc_lo, s48, v6
	v_add_co_ci_u32_e64 v7, null, s49, v7, vcc_lo
	global_store_dwordx4 v[6:7], v[2:5], off
.LBB33_106:
	s_or_b32 exec_lo, exec_lo, s1
	s_and_b32 exec_lo, exec_lo, s4
	s_cbranch_execz .LBB33_52
; %bb.107:
	v_ashrrev_i32_e32 v1, 31, v0
	v_mov_b32_e32 v23, v8
	v_lshlrev_b64 v[0:1], 3, v[0:1]
	v_add_co_u32 v0, vcc_lo, s50, v0
	v_add_co_ci_u32_e64 v1, null, s51, v1, vcc_lo
	global_store_dwordx2 v[0:1], v[23:24], off
	s_endpgm
	.section	.rodata,"a",@progbits
	.p2align	6, 0x0
	.amdhsa_kernel _ZL15flash_attn_tileILi112ELi112ELi32ELi2ELb0EEvPKcS1_S1_S1_S1_PKiPfP15HIP_vector_typeIfLj2EEffffjfiS5_IjLj3EEiiiiiiiiiiiliiliiiiil
		.amdhsa_group_segment_fixed_size 22592
		.amdhsa_private_segment_fixed_size 0
		.amdhsa_kernarg_size 464
		.amdhsa_user_sgpr_count 6
		.amdhsa_user_sgpr_private_segment_buffer 1
		.amdhsa_user_sgpr_dispatch_ptr 0
		.amdhsa_user_sgpr_queue_ptr 0
		.amdhsa_user_sgpr_kernarg_segment_ptr 1
		.amdhsa_user_sgpr_dispatch_id 0
		.amdhsa_user_sgpr_flat_scratch_init 0
		.amdhsa_user_sgpr_private_segment_size 0
		.amdhsa_wavefront_size32 1
		.amdhsa_uses_dynamic_stack 0
		.amdhsa_system_sgpr_private_segment_wavefront_offset 0
		.amdhsa_system_sgpr_workgroup_id_x 1
		.amdhsa_system_sgpr_workgroup_id_y 1
		.amdhsa_system_sgpr_workgroup_id_z 1
		.amdhsa_system_sgpr_workgroup_info 0
		.amdhsa_system_vgpr_workitem_id 1
		.amdhsa_next_free_vgpr 249
		.amdhsa_next_free_sgpr 54
		.amdhsa_reserve_vcc 1
		.amdhsa_reserve_flat_scratch 0
		.amdhsa_float_round_mode_32 0
		.amdhsa_float_round_mode_16_64 0
		.amdhsa_float_denorm_mode_32 3
		.amdhsa_float_denorm_mode_16_64 3
		.amdhsa_dx10_clamp 1
		.amdhsa_ieee_mode 1
		.amdhsa_fp16_overflow 0
		.amdhsa_workgroup_processor_mode 1
		.amdhsa_memory_ordered 1
		.amdhsa_forward_progress 1
		.amdhsa_shared_vgpr_count 0
		.amdhsa_exception_fp_ieee_invalid_op 0
		.amdhsa_exception_fp_denorm_src 0
		.amdhsa_exception_fp_ieee_div_zero 0
		.amdhsa_exception_fp_ieee_overflow 0
		.amdhsa_exception_fp_ieee_underflow 0
		.amdhsa_exception_fp_ieee_inexact 0
		.amdhsa_exception_int_div_zero 0
	.end_amdhsa_kernel
	.section	.text._ZL15flash_attn_tileILi112ELi112ELi32ELi2ELb0EEvPKcS1_S1_S1_S1_PKiPfP15HIP_vector_typeIfLj2EEffffjfiS5_IjLj3EEiiiiiiiiiiiliiliiiiil,"axG",@progbits,_ZL15flash_attn_tileILi112ELi112ELi32ELi2ELb0EEvPKcS1_S1_S1_S1_PKiPfP15HIP_vector_typeIfLj2EEffffjfiS5_IjLj3EEiiiiiiiiiiiliiliiiiil,comdat
.Lfunc_end33:
	.size	_ZL15flash_attn_tileILi112ELi112ELi32ELi2ELb0EEvPKcS1_S1_S1_S1_PKiPfP15HIP_vector_typeIfLj2EEffffjfiS5_IjLj3EEiiiiiiiiiiiliiliiiiil, .Lfunc_end33-_ZL15flash_attn_tileILi112ELi112ELi32ELi2ELb0EEvPKcS1_S1_S1_S1_PKiPfP15HIP_vector_typeIfLj2EEffffjfiS5_IjLj3EEiiiiiiiiiiiliiliiiiil
                                        ; -- End function
	.set _ZL15flash_attn_tileILi112ELi112ELi32ELi2ELb0EEvPKcS1_S1_S1_S1_PKiPfP15HIP_vector_typeIfLj2EEffffjfiS5_IjLj3EEiiiiiiiiiiiliiliiiiil.num_vgpr, 249
	.set _ZL15flash_attn_tileILi112ELi112ELi32ELi2ELb0EEvPKcS1_S1_S1_S1_PKiPfP15HIP_vector_typeIfLj2EEffffjfiS5_IjLj3EEiiiiiiiiiiiliiliiiiil.num_agpr, 0
	.set _ZL15flash_attn_tileILi112ELi112ELi32ELi2ELb0EEvPKcS1_S1_S1_S1_PKiPfP15HIP_vector_typeIfLj2EEffffjfiS5_IjLj3EEiiiiiiiiiiiliiliiiiil.numbered_sgpr, 54
	.set _ZL15flash_attn_tileILi112ELi112ELi32ELi2ELb0EEvPKcS1_S1_S1_S1_PKiPfP15HIP_vector_typeIfLj2EEffffjfiS5_IjLj3EEiiiiiiiiiiiliiliiiiil.num_named_barrier, 0
	.set _ZL15flash_attn_tileILi112ELi112ELi32ELi2ELb0EEvPKcS1_S1_S1_S1_PKiPfP15HIP_vector_typeIfLj2EEffffjfiS5_IjLj3EEiiiiiiiiiiiliiliiiiil.private_seg_size, 0
	.set _ZL15flash_attn_tileILi112ELi112ELi32ELi2ELb0EEvPKcS1_S1_S1_S1_PKiPfP15HIP_vector_typeIfLj2EEffffjfiS5_IjLj3EEiiiiiiiiiiiliiliiiiil.uses_vcc, 1
	.set _ZL15flash_attn_tileILi112ELi112ELi32ELi2ELb0EEvPKcS1_S1_S1_S1_PKiPfP15HIP_vector_typeIfLj2EEffffjfiS5_IjLj3EEiiiiiiiiiiiliiliiiiil.uses_flat_scratch, 0
	.set _ZL15flash_attn_tileILi112ELi112ELi32ELi2ELb0EEvPKcS1_S1_S1_S1_PKiPfP15HIP_vector_typeIfLj2EEffffjfiS5_IjLj3EEiiiiiiiiiiiliiliiiiil.has_dyn_sized_stack, 0
	.set _ZL15flash_attn_tileILi112ELi112ELi32ELi2ELb0EEvPKcS1_S1_S1_S1_PKiPfP15HIP_vector_typeIfLj2EEffffjfiS5_IjLj3EEiiiiiiiiiiiliiliiiiil.has_recursion, 0
	.set _ZL15flash_attn_tileILi112ELi112ELi32ELi2ELb0EEvPKcS1_S1_S1_S1_PKiPfP15HIP_vector_typeIfLj2EEffffjfiS5_IjLj3EEiiiiiiiiiiiliiliiiiil.has_indirect_call, 0
	.section	.AMDGPU.csdata,"",@progbits
; Kernel info:
; codeLenInByte = 29904
; TotalNumSgprs: 56
; NumVgprs: 249
; ScratchSize: 0
; MemoryBound: 0
; FloatMode: 240
; IeeeMode: 1
; LDSByteSize: 22592 bytes/workgroup (compile time only)
; SGPRBlocks: 0
; VGPRBlocks: 31
; NumSGPRsForWavesPerEU: 56
; NumVGPRsForWavesPerEU: 249
; Occupancy: 4
; WaveLimiterHint : 1
; COMPUTE_PGM_RSRC2:SCRATCH_EN: 0
; COMPUTE_PGM_RSRC2:USER_SGPR: 6
; COMPUTE_PGM_RSRC2:TRAP_HANDLER: 0
; COMPUTE_PGM_RSRC2:TGID_X_EN: 1
; COMPUTE_PGM_RSRC2:TGID_Y_EN: 1
; COMPUTE_PGM_RSRC2:TGID_Z_EN: 1
; COMPUTE_PGM_RSRC2:TIDIG_COMP_CNT: 1
	.section	.text._ZL25flash_attn_mask_to_KV_maxILi32EEvPK7__half2Piiii,"axG",@progbits,_ZL25flash_attn_mask_to_KV_maxILi32EEvPK7__half2Piiii,comdat
	.globl	_ZL25flash_attn_mask_to_KV_maxILi32EEvPK7__half2Piiii ; -- Begin function _ZL25flash_attn_mask_to_KV_maxILi32EEvPK7__half2Piiii
	.p2align	8
	.type	_ZL25flash_attn_mask_to_KV_maxILi32EEvPK7__half2Piiii,@function
_ZL25flash_attn_mask_to_KV_maxILi32EEvPK7__half2Piiii: ; @_ZL25flash_attn_mask_to_KV_maxILi32EEvPK7__half2Piiii
; %bb.0:
	s_load_dwordx4 s[8:11], s[4:5], 0x0
	s_mov_b32 s0, exec_lo
	v_cmpx_gt_u32_e32 32, v0
; %bb.1:
	v_lshlrev_b32_e32 v1, 2, v0
	v_mov_b32_e32 v2, 1
	ds_write_b32 v1, v2
; %bb.2:
	s_or_b32 exec_lo, exec_lo, s0
	s_clause 0x1
	s_load_dwordx4 s[12:15], s[4:5], 0x10
	s_load_dword s1, s[4:5], 0x20
	v_and_b32_e32 v1, 31, v0
	v_lshrrev_b32_e32 v5, 3, v0
	v_mov_b32_e32 v2, 0
	v_mov_b32_e32 v6, 0x204
	s_waitcnt lgkmcnt(0)
	v_lshlrev_b32_e32 v7, 2, v1
	s_barrier
	buffer_gl0_inv
	s_mul_i32 s0, s6, s13
	s_mul_i32 s2, s14, s7
	s_lshl_b32 s0, s0, 5
	s_add_i32 s2, s2, s0
	v_cmp_eq_u32_e64 s0, 0, v1
	s_ashr_i32 s3, s2, 31
	s_lshl_b64 s[4:5], s[2:3], 2
	s_add_u32 s3, s8, s4
	s_addc_u32 s4, s9, s5
	s_lshl_b32 s5, s12, 8
	s_branch .LBB34_4
.LBB34_3:                               ;   in Loop: Header=BB34_4 Depth=1
	s_or_b32 exec_lo, exec_lo, s8
	s_waitcnt lgkmcnt(0)
	s_barrier
	buffer_gl0_inv
	ds_read_b32 v1, v7
	s_waitcnt lgkmcnt(0)
	s_barrier
	buffer_gl0_inv
	v_cmp_ne_u32_e32 vcc_lo, 0, v1
	s_cmp_lg_u32 vcc_lo, exec_lo
	s_cselect_b32 s8, -1, 0
	s_and_b32 vcc_lo, exec_lo, s8
	s_cbranch_vccnz .LBB34_132
.LBB34_4:                               ; =>This Inner Loop Header: Depth=1
	s_mov_b32 s2, s5
	s_addk_i32 s5, 0xff00
	s_cmp_lt_i32 s5, 0
	s_cbranch_scc1 .LBB34_131
; %bb.5:                                ;   in Loop: Header=BB34_4 Depth=1
	s_lshr_b32 s8, s5, 1
	v_add_nc_u32_e32 v1, s8, v0
	v_lshlrev_b64 v[3:4], 2, v[1:2]
	v_add_co_u32 v3, vcc_lo, s3, v3
	v_add_co_ci_u32_e64 v4, null, s4, v4, vcc_lo
	global_load_dword v3, v[3:4], off
	s_waitcnt vmcnt(0)
	v_cmp_class_f16_e64 s8, v3, 0x204
	v_cmp_class_f16_sdwa s9, v3, v6 src0_sel:WORD_1 src1_sel:DWORD
	s_and_b32 s12, s8, s9
	s_mov_b32 s9, 0
	s_and_saveexec_b32 s8, s12
	s_cbranch_execz .LBB34_129
; %bb.6:                                ;   in Loop: Header=BB34_4 Depth=1
	v_add_nc_u32_e32 v3, s13, v1
	s_mov_b32 s12, 0
	v_ashrrev_i32_e32 v4, 31, v3
	v_lshlrev_b64 v[8:9], 2, v[3:4]
	v_add_co_u32 v8, vcc_lo, s3, v8
	v_add_co_ci_u32_e64 v9, null, s4, v9, vcc_lo
	global_load_dword v1, v[8:9], off
	s_waitcnt vmcnt(0)
	v_cmp_class_f16_e64 s14, v1, 0x204
	s_and_saveexec_b32 s9, s14
	s_cbranch_execz .LBB34_128
; %bb.7:                                ;   in Loop: Header=BB34_4 Depth=1
	v_cmp_class_f16_sdwa s15, v1, v6 src0_sel:WORD_1 src1_sel:DWORD
	s_mov_b32 s14, 0
	s_and_saveexec_b32 s12, s15
	s_cbranch_execz .LBB34_127
; %bb.8:                                ;   in Loop: Header=BB34_4 Depth=1
	v_add_nc_u32_e32 v3, s13, v3
	s_mov_b32 s15, 0
	v_ashrrev_i32_e32 v4, 31, v3
	v_lshlrev_b64 v[8:9], 2, v[3:4]
	v_add_co_u32 v8, vcc_lo, s3, v8
	v_add_co_ci_u32_e64 v9, null, s4, v9, vcc_lo
	global_load_dword v1, v[8:9], off
	s_waitcnt vmcnt(0)
	v_cmp_class_f16_e64 s16, v1, 0x204
	s_and_saveexec_b32 s14, s16
	s_cbranch_execz .LBB34_126
; %bb.9:                                ;   in Loop: Header=BB34_4 Depth=1
	v_cmp_class_f16_sdwa s17, v1, v6 src0_sel:WORD_1 src1_sel:DWORD
	s_mov_b32 s16, 0
	s_and_saveexec_b32 s15, s17
	s_cbranch_execz .LBB34_125
; %bb.10:                               ;   in Loop: Header=BB34_4 Depth=1
	v_add_nc_u32_e32 v3, s13, v3
	s_mov_b32 s17, 0
	v_ashrrev_i32_e32 v4, 31, v3
	v_lshlrev_b64 v[8:9], 2, v[3:4]
	v_add_co_u32 v8, vcc_lo, s3, v8
	v_add_co_ci_u32_e64 v9, null, s4, v9, vcc_lo
	global_load_dword v1, v[8:9], off
	s_waitcnt vmcnt(0)
	v_cmp_class_f16_e64 s18, v1, 0x204
	s_and_saveexec_b32 s16, s18
	s_cbranch_execz .LBB34_124
; %bb.11:                               ;   in Loop: Header=BB34_4 Depth=1
	v_cmp_class_f16_sdwa s19, v1, v6 src0_sel:WORD_1 src1_sel:DWORD
	s_mov_b32 s18, 0
	s_and_saveexec_b32 s17, s19
	s_cbranch_execz .LBB34_123
; %bb.12:                               ;   in Loop: Header=BB34_4 Depth=1
	v_add_nc_u32_e32 v3, s13, v3
	s_mov_b32 s19, 0
	v_ashrrev_i32_e32 v4, 31, v3
	v_lshlrev_b64 v[8:9], 2, v[3:4]
	v_add_co_u32 v8, vcc_lo, s3, v8
	v_add_co_ci_u32_e64 v9, null, s4, v9, vcc_lo
	global_load_dword v1, v[8:9], off
	s_waitcnt vmcnt(0)
	v_cmp_class_f16_e64 s20, v1, 0x204
	s_and_saveexec_b32 s18, s20
	s_cbranch_execz .LBB34_122
; %bb.13:                               ;   in Loop: Header=BB34_4 Depth=1
	;; [unrolled: 17-line block ×28, first 2 shown]
	v_cmp_class_f16_sdwa s74, v1, v6 src0_sel:WORD_1 src1_sel:DWORD
	s_mov_b32 s73, 0
	s_and_saveexec_b32 s72, s74
	s_cbranch_execz .LBB34_69
; %bb.66:                               ;   in Loop: Header=BB34_4 Depth=1
	v_add_nc_u32_e32 v3, s13, v3
	v_ashrrev_i32_e32 v4, 31, v3
	v_lshlrev_b64 v[3:4], 2, v[3:4]
	v_add_co_u32 v3, vcc_lo, s3, v3
	v_add_co_ci_u32_e64 v4, null, s4, v4, vcc_lo
	global_load_dword v1, v[3:4], off
	s_waitcnt vmcnt(0)
	v_cmp_class_f16_e64 s75, v1, 0x204
	s_and_saveexec_b32 s74, s75
; %bb.67:                               ;   in Loop: Header=BB34_4 Depth=1
	v_cmp_class_f16_sdwa s73, v1, v6 src0_sel:WORD_1 src1_sel:DWORD
	s_and_b32 s73, s73, exec_lo
; %bb.68:                               ;   in Loop: Header=BB34_4 Depth=1
	s_or_b32 exec_lo, exec_lo, s74
	s_and_b32 s73, s73, exec_lo
.LBB34_69:                              ;   in Loop: Header=BB34_4 Depth=1
	s_or_b32 exec_lo, exec_lo, s72
	s_and_b32 s72, s73, exec_lo
.LBB34_70:                              ;   in Loop: Header=BB34_4 Depth=1
	s_or_b32 exec_lo, exec_lo, s71
	s_and_b32 s71, s72, exec_lo
.LBB34_71:                              ;   in Loop: Header=BB34_4 Depth=1
	s_or_b32 exec_lo, exec_lo, s70
	s_and_b32 s70, s71, exec_lo
.LBB34_72:                              ;   in Loop: Header=BB34_4 Depth=1
	s_or_b32 exec_lo, exec_lo, s69
	s_and_b32 s69, s70, exec_lo
.LBB34_73:                              ;   in Loop: Header=BB34_4 Depth=1
	s_or_b32 exec_lo, exec_lo, s68
	s_and_b32 s68, s69, exec_lo
.LBB34_74:                              ;   in Loop: Header=BB34_4 Depth=1
	s_or_b32 exec_lo, exec_lo, s67
	s_and_b32 s67, s68, exec_lo
.LBB34_75:                              ;   in Loop: Header=BB34_4 Depth=1
	s_or_b32 exec_lo, exec_lo, s66
	s_and_b32 s66, s67, exec_lo
.LBB34_76:                              ;   in Loop: Header=BB34_4 Depth=1
	s_or_b32 exec_lo, exec_lo, s65
	s_and_b32 s65, s66, exec_lo
.LBB34_77:                              ;   in Loop: Header=BB34_4 Depth=1
	s_or_b32 exec_lo, exec_lo, s64
	s_and_b32 s64, s65, exec_lo
.LBB34_78:                              ;   in Loop: Header=BB34_4 Depth=1
	s_or_b32 exec_lo, exec_lo, s63
	s_and_b32 s63, s64, exec_lo
.LBB34_79:                              ;   in Loop: Header=BB34_4 Depth=1
	s_or_b32 exec_lo, exec_lo, s62
	s_and_b32 s62, s63, exec_lo
.LBB34_80:                              ;   in Loop: Header=BB34_4 Depth=1
	s_or_b32 exec_lo, exec_lo, s61
	s_and_b32 s61, s62, exec_lo
.LBB34_81:                              ;   in Loop: Header=BB34_4 Depth=1
	s_or_b32 exec_lo, exec_lo, s60
	s_and_b32 s60, s61, exec_lo
.LBB34_82:                              ;   in Loop: Header=BB34_4 Depth=1
	s_or_b32 exec_lo, exec_lo, s59
	s_and_b32 s59, s60, exec_lo
.LBB34_83:                              ;   in Loop: Header=BB34_4 Depth=1
	s_or_b32 exec_lo, exec_lo, s58
	s_and_b32 s58, s59, exec_lo
.LBB34_84:                              ;   in Loop: Header=BB34_4 Depth=1
	s_or_b32 exec_lo, exec_lo, s57
	s_and_b32 s57, s58, exec_lo
.LBB34_85:                              ;   in Loop: Header=BB34_4 Depth=1
	s_or_b32 exec_lo, exec_lo, s56
	s_and_b32 s56, s57, exec_lo
.LBB34_86:                              ;   in Loop: Header=BB34_4 Depth=1
	s_or_b32 exec_lo, exec_lo, s55
	s_and_b32 s55, s56, exec_lo
.LBB34_87:                              ;   in Loop: Header=BB34_4 Depth=1
	s_or_b32 exec_lo, exec_lo, s54
	s_and_b32 s54, s55, exec_lo
.LBB34_88:                              ;   in Loop: Header=BB34_4 Depth=1
	s_or_b32 exec_lo, exec_lo, s53
	s_and_b32 s53, s54, exec_lo
.LBB34_89:                              ;   in Loop: Header=BB34_4 Depth=1
	s_or_b32 exec_lo, exec_lo, s52
	s_and_b32 s52, s53, exec_lo
.LBB34_90:                              ;   in Loop: Header=BB34_4 Depth=1
	s_or_b32 exec_lo, exec_lo, s51
	s_and_b32 s51, s52, exec_lo
.LBB34_91:                              ;   in Loop: Header=BB34_4 Depth=1
	s_or_b32 exec_lo, exec_lo, s50
	s_and_b32 s50, s51, exec_lo
.LBB34_92:                              ;   in Loop: Header=BB34_4 Depth=1
	s_or_b32 exec_lo, exec_lo, s49
	s_and_b32 s49, s50, exec_lo
.LBB34_93:                              ;   in Loop: Header=BB34_4 Depth=1
	s_or_b32 exec_lo, exec_lo, s48
	s_and_b32 s48, s49, exec_lo
.LBB34_94:                              ;   in Loop: Header=BB34_4 Depth=1
	s_or_b32 exec_lo, exec_lo, s47
	s_and_b32 s47, s48, exec_lo
.LBB34_95:                              ;   in Loop: Header=BB34_4 Depth=1
	s_or_b32 exec_lo, exec_lo, s46
	s_and_b32 s46, s47, exec_lo
.LBB34_96:                              ;   in Loop: Header=BB34_4 Depth=1
	s_or_b32 exec_lo, exec_lo, s45
	s_and_b32 s45, s46, exec_lo
.LBB34_97:                              ;   in Loop: Header=BB34_4 Depth=1
	s_or_b32 exec_lo, exec_lo, s44
	s_and_b32 s44, s45, exec_lo
.LBB34_98:                              ;   in Loop: Header=BB34_4 Depth=1
	s_or_b32 exec_lo, exec_lo, s43
	s_and_b32 s43, s44, exec_lo
.LBB34_99:                              ;   in Loop: Header=BB34_4 Depth=1
	s_or_b32 exec_lo, exec_lo, s42
	s_and_b32 s42, s43, exec_lo
.LBB34_100:                             ;   in Loop: Header=BB34_4 Depth=1
	s_or_b32 exec_lo, exec_lo, s41
	s_and_b32 s41, s42, exec_lo
.LBB34_101:                             ;   in Loop: Header=BB34_4 Depth=1
	s_or_b32 exec_lo, exec_lo, s40
	s_and_b32 s40, s41, exec_lo
.LBB34_102:                             ;   in Loop: Header=BB34_4 Depth=1
	s_or_b32 exec_lo, exec_lo, s39
	s_and_b32 s39, s40, exec_lo
.LBB34_103:                             ;   in Loop: Header=BB34_4 Depth=1
	s_or_b32 exec_lo, exec_lo, s38
	s_and_b32 s38, s39, exec_lo
.LBB34_104:                             ;   in Loop: Header=BB34_4 Depth=1
	s_or_b32 exec_lo, exec_lo, s37
	s_and_b32 s37, s38, exec_lo
.LBB34_105:                             ;   in Loop: Header=BB34_4 Depth=1
	s_or_b32 exec_lo, exec_lo, s36
	s_and_b32 s36, s37, exec_lo
.LBB34_106:                             ;   in Loop: Header=BB34_4 Depth=1
	s_or_b32 exec_lo, exec_lo, s35
	s_and_b32 s35, s36, exec_lo
.LBB34_107:                             ;   in Loop: Header=BB34_4 Depth=1
	s_or_b32 exec_lo, exec_lo, s34
	s_and_b32 s34, s35, exec_lo
.LBB34_108:                             ;   in Loop: Header=BB34_4 Depth=1
	s_or_b32 exec_lo, exec_lo, s33
	s_and_b32 s33, s34, exec_lo
.LBB34_109:                             ;   in Loop: Header=BB34_4 Depth=1
	s_or_b32 exec_lo, exec_lo, s31
	s_and_b32 s31, s33, exec_lo
.LBB34_110:                             ;   in Loop: Header=BB34_4 Depth=1
	s_or_b32 exec_lo, exec_lo, s30
	s_and_b32 s30, s31, exec_lo
.LBB34_111:                             ;   in Loop: Header=BB34_4 Depth=1
	s_or_b32 exec_lo, exec_lo, s29
	s_and_b32 s29, s30, exec_lo
.LBB34_112:                             ;   in Loop: Header=BB34_4 Depth=1
	s_or_b32 exec_lo, exec_lo, s28
	s_and_b32 s28, s29, exec_lo
.LBB34_113:                             ;   in Loop: Header=BB34_4 Depth=1
	s_or_b32 exec_lo, exec_lo, s27
	s_and_b32 s27, s28, exec_lo
.LBB34_114:                             ;   in Loop: Header=BB34_4 Depth=1
	s_or_b32 exec_lo, exec_lo, s26
	s_and_b32 s26, s27, exec_lo
.LBB34_115:                             ;   in Loop: Header=BB34_4 Depth=1
	s_or_b32 exec_lo, exec_lo, s25
	s_and_b32 s25, s26, exec_lo
.LBB34_116:                             ;   in Loop: Header=BB34_4 Depth=1
	s_or_b32 exec_lo, exec_lo, s24
	s_and_b32 s24, s25, exec_lo
.LBB34_117:                             ;   in Loop: Header=BB34_4 Depth=1
	s_or_b32 exec_lo, exec_lo, s23
	s_and_b32 s23, s24, exec_lo
.LBB34_118:                             ;   in Loop: Header=BB34_4 Depth=1
	s_or_b32 exec_lo, exec_lo, s22
	s_and_b32 s22, s23, exec_lo
.LBB34_119:                             ;   in Loop: Header=BB34_4 Depth=1
	s_or_b32 exec_lo, exec_lo, s21
	s_and_b32 s21, s22, exec_lo
.LBB34_120:                             ;   in Loop: Header=BB34_4 Depth=1
	s_or_b32 exec_lo, exec_lo, s20
	s_and_b32 s20, s21, exec_lo
.LBB34_121:                             ;   in Loop: Header=BB34_4 Depth=1
	s_or_b32 exec_lo, exec_lo, s19
	s_and_b32 s19, s20, exec_lo
.LBB34_122:                             ;   in Loop: Header=BB34_4 Depth=1
	s_or_b32 exec_lo, exec_lo, s18
	s_and_b32 s18, s19, exec_lo
.LBB34_123:                             ;   in Loop: Header=BB34_4 Depth=1
	s_or_b32 exec_lo, exec_lo, s17
	s_and_b32 s17, s18, exec_lo
.LBB34_124:                             ;   in Loop: Header=BB34_4 Depth=1
	s_or_b32 exec_lo, exec_lo, s16
	s_and_b32 s16, s17, exec_lo
.LBB34_125:                             ;   in Loop: Header=BB34_4 Depth=1
	s_or_b32 exec_lo, exec_lo, s15
	s_and_b32 s15, s16, exec_lo
.LBB34_126:                             ;   in Loop: Header=BB34_4 Depth=1
	s_or_b32 exec_lo, exec_lo, s14
	s_and_b32 s14, s15, exec_lo
.LBB34_127:                             ;   in Loop: Header=BB34_4 Depth=1
	s_or_b32 exec_lo, exec_lo, s12
	s_and_b32 s12, s14, exec_lo
.LBB34_128:                             ;   in Loop: Header=BB34_4 Depth=1
	s_or_b32 exec_lo, exec_lo, s9
	s_and_b32 s9, s12, exec_lo
.LBB34_129:                             ;   in Loop: Header=BB34_4 Depth=1
	s_or_b32 exec_lo, exec_lo, s8
	v_cndmask_b32_e64 v1, 0, 1, s9
	s_mov_b32 s12, exec_lo
	v_cmp_ne_u32_e32 vcc_lo, 0, v1
	s_and_saveexec_b32 s8, s0
	s_cbranch_execz .LBB34_3
; %bb.130:                              ;   in Loop: Header=BB34_4 Depth=1
	s_cmp_eq_u32 vcc_lo, s12
	s_cselect_b32 s9, -1, 0
	v_cndmask_b32_e64 v1, 0, 1, s9
	ds_write_b32 v5, v1
	s_branch .LBB34_3
.LBB34_131:                             ;   in Loop: Header=BB34_4 Depth=1
	s_cbranch_execz .LBB34_4
.LBB34_132:
	s_mov_b32 s0, exec_lo
	v_cmpx_eq_u32_e32 0, v0
	s_cbranch_execz .LBB34_134
; %bb.133:
	s_mul_i32 s0, s1, s7
	v_mov_b32_e32 v0, 0
	s_add_i32 s0, s0, s6
	v_mov_b32_e32 v1, s2
	s_ashr_i32 s1, s0, 31
	s_lshl_b64 s[0:1], s[0:1], 2
	s_add_u32 s0, s10, s0
	s_addc_u32 s1, s11, s1
	global_store_dword v0, v1, s[0:1]
.LBB34_134:
	s_endpgm
	.section	.rodata,"a",@progbits
	.p2align	6, 0x0
	.amdhsa_kernel _ZL25flash_attn_mask_to_KV_maxILi32EEvPK7__half2Piiii
		.amdhsa_group_segment_fixed_size 128
		.amdhsa_private_segment_fixed_size 0
		.amdhsa_kernarg_size 288
		.amdhsa_user_sgpr_count 6
		.amdhsa_user_sgpr_private_segment_buffer 1
		.amdhsa_user_sgpr_dispatch_ptr 0
		.amdhsa_user_sgpr_queue_ptr 0
		.amdhsa_user_sgpr_kernarg_segment_ptr 1
		.amdhsa_user_sgpr_dispatch_id 0
		.amdhsa_user_sgpr_flat_scratch_init 0
		.amdhsa_user_sgpr_private_segment_size 0
		.amdhsa_wavefront_size32 1
		.amdhsa_uses_dynamic_stack 0
		.amdhsa_system_sgpr_private_segment_wavefront_offset 0
		.amdhsa_system_sgpr_workgroup_id_x 1
		.amdhsa_system_sgpr_workgroup_id_y 1
		.amdhsa_system_sgpr_workgroup_id_z 0
		.amdhsa_system_sgpr_workgroup_info 0
		.amdhsa_system_vgpr_workitem_id 0
		.amdhsa_next_free_vgpr 10
		.amdhsa_next_free_sgpr 76
		.amdhsa_reserve_vcc 1
		.amdhsa_reserve_flat_scratch 0
		.amdhsa_float_round_mode_32 0
		.amdhsa_float_round_mode_16_64 0
		.amdhsa_float_denorm_mode_32 3
		.amdhsa_float_denorm_mode_16_64 3
		.amdhsa_dx10_clamp 1
		.amdhsa_ieee_mode 1
		.amdhsa_fp16_overflow 0
		.amdhsa_workgroup_processor_mode 1
		.amdhsa_memory_ordered 1
		.amdhsa_forward_progress 1
		.amdhsa_shared_vgpr_count 0
		.amdhsa_exception_fp_ieee_invalid_op 0
		.amdhsa_exception_fp_denorm_src 0
		.amdhsa_exception_fp_ieee_div_zero 0
		.amdhsa_exception_fp_ieee_overflow 0
		.amdhsa_exception_fp_ieee_underflow 0
		.amdhsa_exception_fp_ieee_inexact 0
		.amdhsa_exception_int_div_zero 0
	.end_amdhsa_kernel
	.section	.text._ZL25flash_attn_mask_to_KV_maxILi32EEvPK7__half2Piiii,"axG",@progbits,_ZL25flash_attn_mask_to_KV_maxILi32EEvPK7__half2Piiii,comdat
.Lfunc_end34:
	.size	_ZL25flash_attn_mask_to_KV_maxILi32EEvPK7__half2Piiii, .Lfunc_end34-_ZL25flash_attn_mask_to_KV_maxILi32EEvPK7__half2Piiii
                                        ; -- End function
	.set _ZL25flash_attn_mask_to_KV_maxILi32EEvPK7__half2Piiii.num_vgpr, 10
	.set _ZL25flash_attn_mask_to_KV_maxILi32EEvPK7__half2Piiii.num_agpr, 0
	.set _ZL25flash_attn_mask_to_KV_maxILi32EEvPK7__half2Piiii.numbered_sgpr, 76
	.set _ZL25flash_attn_mask_to_KV_maxILi32EEvPK7__half2Piiii.num_named_barrier, 0
	.set _ZL25flash_attn_mask_to_KV_maxILi32EEvPK7__half2Piiii.private_seg_size, 0
	.set _ZL25flash_attn_mask_to_KV_maxILi32EEvPK7__half2Piiii.uses_vcc, 1
	.set _ZL25flash_attn_mask_to_KV_maxILi32EEvPK7__half2Piiii.uses_flat_scratch, 0
	.set _ZL25flash_attn_mask_to_KV_maxILi32EEvPK7__half2Piiii.has_dyn_sized_stack, 0
	.set _ZL25flash_attn_mask_to_KV_maxILi32EEvPK7__half2Piiii.has_recursion, 0
	.set _ZL25flash_attn_mask_to_KV_maxILi32EEvPK7__half2Piiii.has_indirect_call, 0
	.section	.AMDGPU.csdata,"",@progbits
; Kernel info:
; codeLenInByte = 3620
; TotalNumSgprs: 78
; NumVgprs: 10
; ScratchSize: 0
; MemoryBound: 0
; FloatMode: 240
; IeeeMode: 1
; LDSByteSize: 128 bytes/workgroup (compile time only)
; SGPRBlocks: 0
; VGPRBlocks: 1
; NumSGPRsForWavesPerEU: 78
; NumVGPRsForWavesPerEU: 10
; Occupancy: 16
; WaveLimiterHint : 0
; COMPUTE_PGM_RSRC2:SCRATCH_EN: 0
; COMPUTE_PGM_RSRC2:USER_SGPR: 6
; COMPUTE_PGM_RSRC2:TRAP_HANDLER: 0
; COMPUTE_PGM_RSRC2:TGID_X_EN: 1
; COMPUTE_PGM_RSRC2:TGID_Y_EN: 1
; COMPUTE_PGM_RSRC2:TGID_Z_EN: 0
; COMPUTE_PGM_RSRC2:TIDIG_COMP_CNT: 0
	.section	.text._ZL33flash_attn_stream_k_fixup_uniformILi112ELi32ELi2EEvPfPK15HIP_vector_typeIfLj2EEiiiiiiS1_IjLj3EES5_S5_,"axG",@progbits,_ZL33flash_attn_stream_k_fixup_uniformILi112ELi32ELi2EEvPfPK15HIP_vector_typeIfLj2EEiiiiiiS1_IjLj3EES5_S5_,comdat
	.globl	_ZL33flash_attn_stream_k_fixup_uniformILi112ELi32ELi2EEvPfPK15HIP_vector_typeIfLj2EEiiiiiiS1_IjLj3EES5_S5_ ; -- Begin function _ZL33flash_attn_stream_k_fixup_uniformILi112ELi32ELi2EEvPfPK15HIP_vector_typeIfLj2EEiiiiiiS1_IjLj3EES5_S5_
	.p2align	8
	.type	_ZL33flash_attn_stream_k_fixup_uniformILi112ELi32ELi2EEvPfPK15HIP_vector_typeIfLj2EEiiiiiiS1_IjLj3EES5_S5_,@function
_ZL33flash_attn_stream_k_fixup_uniformILi112ELi32ELi2EEvPfPK15HIP_vector_typeIfLj2EEiiiiiiS1_IjLj3EES5_S5_: ; @_ZL33flash_attn_stream_k_fixup_uniformILi112ELi32ELi2EEvPfPK15HIP_vector_typeIfLj2EEiiiiiiS1_IjLj3EES5_S5_
; %bb.0:
	s_clause 0x2
	s_load_dwordx8 s[12:19], s[4:5], 0x1c
	s_load_dwordx4 s[20:23], s[4:5], 0x3c
	s_load_dwordx2 s[10:11], s[4:5], 0x10
	s_waitcnt lgkmcnt(0)
	s_mul_hi_u32 s0, s15, s6
	s_add_i32 s0, s6, s0
	s_lshr_b32 s0, s0, s16
	s_mul_i32 s1, s0, s17
	s_sub_i32 s1, s6, s1
	s_mul_hi_u32 s2, s1, s18
	s_add_i32 s2, s1, s2
	s_lshr_b32 s9, s2, s19
	s_mul_i32 s2, s9, s20
	s_sub_i32 s1, s1, s2
	s_mul_hi_u32 s2, s1, s21
	s_add_i32 s2, s1, s2
	s_lshr_b32 s2, s2, s22
	s_mul_i32 s3, s2, s23
	s_lshl_b32 s16, s2, 1
	s_sub_i32 s15, s1, s3
	s_lshl_b32 s1, s15, 5
	s_add_i32 s1, s1, s7
	s_cmp_lt_i32 s1, s10
	s_cselect_b32 s1, -1, 0
	s_add_i32 s16, s16, s8
	s_cmp_lt_i32 s16, s13
	s_cselect_b32 s2, -1, 0
	s_and_b32 s1, s1, s2
	s_andn2_b32 vcc_lo, exec_lo, s1
	s_cbranch_vccnz .LBB35_6
; %bb.1:
	s_mul_i32 s10, s0, s10
	s_load_dwordx4 s[0:3], s[4:5], 0x0
	s_add_i32 s4, s10, s7
	s_mul_i32 s9, s9, s13
	s_mul_i32 s4, s4, s11
	s_add_i32 s5, s16, s9
	s_mul_i32 s9, s11, s15
	s_add_i32 s4, s5, s4
	s_mulk_i32 s9, 0xe00
	s_mulk_i32 s4, 0x70
	s_lshl_b32 s10, s7, 1
	v_add3_u32 v1, s4, s9, v0
	s_mul_i32 s4, s14, s6
	s_add_i32 s11, s4, s14
	v_ashrrev_i32_e32 v2, 31, v1
	v_lshlrev_b64 v[1:2], 2, v[1:2]
	s_waitcnt lgkmcnt(0)
	v_add_co_u32 v1, vcc_lo, s0, v1
	v_add_co_ci_u32_e64 v2, null, s1, v2, vcc_lo
	s_add_i32 s0, s10, s8
	s_lshl_b32 s1, s11, 6
	global_load_dword v5, v[1:2], off
	s_add_i32 s0, s0, s1
	s_sub_i32 s0, s0, 64
	s_ashr_i32 s1, s0, 31
	s_lshl_b64 s[0:1], s[0:1], 3
	s_add_u32 s0, s2, s0
	s_addc_u32 s1, s3, s1
	s_add_i32 s5, s11, -2
	s_load_dword s13, s[0:1], 0x4
	s_cmp_lt_i32 s5, s4
	s_cbranch_scc1 .LBB35_4
; %bb.2:
	s_load_dword s15, s[0:1], 0x0
	s_lshl_b32 s16, s12, 8
	s_mulk_i32 s7, 0xe0
	s_ashr_i32 s17, s16, 31
	s_waitcnt lgkmcnt(0)
	v_mov_b32_e32 v6, s13
	s_lshl_b64 s[0:1], s[16:17], 2
	s_add_u32 s5, s2, s0
	s_addc_u32 s9, s3, s1
	s_add_i32 s6, s6, 1
	s_mul_i32 s0, s14, s6
	s_mul_i32 s6, s8, 0x70
	s_lshl_b32 s1, s0, 6
	s_mulk_i32 s0, 0x1c00
	s_add_i32 s6, s6, s7
	s_add_i32 s1, s8, s1
	s_lshl_b32 s7, s12, 6
	s_add_i32 s6, s6, s0
	s_add_i32 s0, s1, s7
	v_add3_u32 v3, s6, v0, 0xffffc800
	v_mov_b32_e32 v0, s15
	s_add_i32 s0, s0, s10
	s_add_i32 s6, s11, -1
	s_addk_i32 s0, 0xff80
.LBB35_3:                               ; =>This Inner Loop Header: Depth=1
	v_ashrrev_i32_e32 v4, 31, v3
	s_ashr_i32 s1, s0, 31
	s_lshl_b64 s[10:11], s[0:1], 3
	s_add_u32 s10, s2, s10
	v_lshlrev_b64 v[7:8], 2, v[3:4]
	s_addc_u32 s11, s3, s11
	v_add_nc_u32_e32 v3, 0xffffe400, v3
	s_add_i32 s6, s6, -1
	s_sub_i32 s0, s0, 64
	s_cmp_le_i32 s6, s4
	v_add_co_u32 v7, vcc_lo, s5, v7
	v_add_co_ci_u32_e64 v8, null, s9, v8, vcc_lo
	s_load_dwordx2 s[10:11], s[10:11], 0x0
	global_load_dword v4, v[7:8], off
	v_max_f32_e32 v7, v0, v0
	s_waitcnt lgkmcnt(0)
	v_max_f32_e64 v8, s10, s10
	v_max_f32_e32 v7, v7, v8
	v_sub_f32_e32 v8, s10, v7
	v_sub_f32_e32 v0, v0, v7
	v_mul_f32_e32 v9, 0x3fb8aa3b, v8
	v_mul_f32_e32 v12, 0x3fb8aa3b, v0
	v_cmp_ngt_f32_e32 vcc_lo, 0xc2ce8ed0, v8
	v_fma_f32 v10, 0x3fb8aa3b, v8, -v9
	v_rndne_f32_e32 v11, v9
	v_fma_f32 v13, 0x3fb8aa3b, v0, -v12
	v_rndne_f32_e32 v14, v12
	v_fmac_f32_e32 v10, 0x32a5705f, v8
	v_sub_f32_e32 v9, v9, v11
	v_fmac_f32_e32 v13, 0x32a5705f, v0
	v_cvt_i32_f32_e32 v11, v11
	v_add_f32_e32 v9, v9, v10
	v_sub_f32_e32 v10, v12, v14
	v_exp_f32_e32 v9, v9
	v_add_f32_e32 v10, v10, v13
	v_exp_f32_e32 v10, v10
	v_ldexp_f32 v9, v9, v11
	v_cvt_i32_f32_e32 v11, v14
	v_cndmask_b32_e32 v9, 0, v9, vcc_lo
	v_cmp_nlt_f32_e32 vcc_lo, 0x42b17218, v8
	v_ldexp_f32 v10, v10, v11
	v_mov_b32_e32 v11, v6
	v_cndmask_b32_e32 v9, 0x7f800000, v9, vcc_lo
	v_cmp_ngt_f32_e32 vcc_lo, 0xc2ce8ed0, v0
	v_cndmask_b32_e32 v10, 0, v10, vcc_lo
	v_cmp_le_f32_e32 vcc_lo, 0xc1a00000, v8
	v_cndmask_b32_e32 v8, 0, v9, vcc_lo
	v_cmp_nlt_f32_e32 vcc_lo, 0x42b17218, v0
	s_waitcnt vmcnt(1)
	v_mov_b32_e32 v9, v5
	v_cndmask_b32_e32 v5, 0x7f800000, v10, vcc_lo
	v_mul_f32_e32 v10, s11, v8
	v_cmp_le_f32_e32 vcc_lo, 0xc1a00000, v0
	v_mov_b32_e32 v0, v7
	v_mov_b32_e32 v6, v10
	v_cndmask_b32_e32 v12, 0, v5, vcc_lo
	v_fmac_f32_e32 v6, v11, v12
	s_waitcnt vmcnt(0)
	v_mul_f32_e32 v5, v4, v8
	v_fmac_f32_e32 v5, v9, v12
	s_cbranch_scc0 .LBB35_3
	s_branch .LBB35_5
.LBB35_4:
	s_waitcnt lgkmcnt(0)
	v_mov_b32_e32 v6, s13
.LBB35_5:
	s_waitcnt vmcnt(0)
	v_div_scale_f32 v0, null, v6, v6, v5
	v_rcp_f32_e32 v3, v0
	v_fma_f32 v4, -v0, v3, 1.0
	v_fmac_f32_e32 v3, v4, v3
	v_div_scale_f32 v4, vcc_lo, v5, v6, v5
	v_mul_f32_e32 v7, v4, v3
	v_fma_f32 v8, -v0, v7, v4
	v_fmac_f32_e32 v7, v8, v3
	v_fma_f32 v0, -v0, v7, v4
	v_div_fmas_f32 v0, v0, v3, v7
	v_div_fixup_f32 v0, v0, v6, v5
	global_store_dword v[1:2], v0, off
.LBB35_6:
	s_endpgm
	.section	.rodata,"a",@progbits
	.p2align	6, 0x0
	.amdhsa_kernel _ZL33flash_attn_stream_k_fixup_uniformILi112ELi32ELi2EEvPfPK15HIP_vector_typeIfLj2EEiiiiiiS1_IjLj3EES5_S5_
		.amdhsa_group_segment_fixed_size 0
		.amdhsa_private_segment_fixed_size 0
		.amdhsa_kernarg_size 76
		.amdhsa_user_sgpr_count 6
		.amdhsa_user_sgpr_private_segment_buffer 1
		.amdhsa_user_sgpr_dispatch_ptr 0
		.amdhsa_user_sgpr_queue_ptr 0
		.amdhsa_user_sgpr_kernarg_segment_ptr 1
		.amdhsa_user_sgpr_dispatch_id 0
		.amdhsa_user_sgpr_flat_scratch_init 0
		.amdhsa_user_sgpr_private_segment_size 0
		.amdhsa_wavefront_size32 1
		.amdhsa_uses_dynamic_stack 0
		.amdhsa_system_sgpr_private_segment_wavefront_offset 0
		.amdhsa_system_sgpr_workgroup_id_x 1
		.amdhsa_system_sgpr_workgroup_id_y 1
		.amdhsa_system_sgpr_workgroup_id_z 1
		.amdhsa_system_sgpr_workgroup_info 0
		.amdhsa_system_vgpr_workitem_id 0
		.amdhsa_next_free_vgpr 15
		.amdhsa_next_free_sgpr 24
		.amdhsa_reserve_vcc 1
		.amdhsa_reserve_flat_scratch 0
		.amdhsa_float_round_mode_32 0
		.amdhsa_float_round_mode_16_64 0
		.amdhsa_float_denorm_mode_32 3
		.amdhsa_float_denorm_mode_16_64 3
		.amdhsa_dx10_clamp 1
		.amdhsa_ieee_mode 1
		.amdhsa_fp16_overflow 0
		.amdhsa_workgroup_processor_mode 1
		.amdhsa_memory_ordered 1
		.amdhsa_forward_progress 1
		.amdhsa_shared_vgpr_count 0
		.amdhsa_exception_fp_ieee_invalid_op 0
		.amdhsa_exception_fp_denorm_src 0
		.amdhsa_exception_fp_ieee_div_zero 0
		.amdhsa_exception_fp_ieee_overflow 0
		.amdhsa_exception_fp_ieee_underflow 0
		.amdhsa_exception_fp_ieee_inexact 0
		.amdhsa_exception_int_div_zero 0
	.end_amdhsa_kernel
	.section	.text._ZL33flash_attn_stream_k_fixup_uniformILi112ELi32ELi2EEvPfPK15HIP_vector_typeIfLj2EEiiiiiiS1_IjLj3EES5_S5_,"axG",@progbits,_ZL33flash_attn_stream_k_fixup_uniformILi112ELi32ELi2EEvPfPK15HIP_vector_typeIfLj2EEiiiiiiS1_IjLj3EES5_S5_,comdat
.Lfunc_end35:
	.size	_ZL33flash_attn_stream_k_fixup_uniformILi112ELi32ELi2EEvPfPK15HIP_vector_typeIfLj2EEiiiiiiS1_IjLj3EES5_S5_, .Lfunc_end35-_ZL33flash_attn_stream_k_fixup_uniformILi112ELi32ELi2EEvPfPK15HIP_vector_typeIfLj2EEiiiiiiS1_IjLj3EES5_S5_
                                        ; -- End function
	.set _ZL33flash_attn_stream_k_fixup_uniformILi112ELi32ELi2EEvPfPK15HIP_vector_typeIfLj2EEiiiiiiS1_IjLj3EES5_S5_.num_vgpr, 15
	.set _ZL33flash_attn_stream_k_fixup_uniformILi112ELi32ELi2EEvPfPK15HIP_vector_typeIfLj2EEiiiiiiS1_IjLj3EES5_S5_.num_agpr, 0
	.set _ZL33flash_attn_stream_k_fixup_uniformILi112ELi32ELi2EEvPfPK15HIP_vector_typeIfLj2EEiiiiiiS1_IjLj3EES5_S5_.numbered_sgpr, 24
	.set _ZL33flash_attn_stream_k_fixup_uniformILi112ELi32ELi2EEvPfPK15HIP_vector_typeIfLj2EEiiiiiiS1_IjLj3EES5_S5_.num_named_barrier, 0
	.set _ZL33flash_attn_stream_k_fixup_uniformILi112ELi32ELi2EEvPfPK15HIP_vector_typeIfLj2EEiiiiiiS1_IjLj3EES5_S5_.private_seg_size, 0
	.set _ZL33flash_attn_stream_k_fixup_uniformILi112ELi32ELi2EEvPfPK15HIP_vector_typeIfLj2EEiiiiiiS1_IjLj3EES5_S5_.uses_vcc, 1
	.set _ZL33flash_attn_stream_k_fixup_uniformILi112ELi32ELi2EEvPfPK15HIP_vector_typeIfLj2EEiiiiiiS1_IjLj3EES5_S5_.uses_flat_scratch, 0
	.set _ZL33flash_attn_stream_k_fixup_uniformILi112ELi32ELi2EEvPfPK15HIP_vector_typeIfLj2EEiiiiiiS1_IjLj3EES5_S5_.has_dyn_sized_stack, 0
	.set _ZL33flash_attn_stream_k_fixup_uniformILi112ELi32ELi2EEvPfPK15HIP_vector_typeIfLj2EEiiiiiiS1_IjLj3EES5_S5_.has_recursion, 0
	.set _ZL33flash_attn_stream_k_fixup_uniformILi112ELi32ELi2EEvPfPK15HIP_vector_typeIfLj2EEiiiiiiS1_IjLj3EES5_S5_.has_indirect_call, 0
	.section	.AMDGPU.csdata,"",@progbits
; Kernel info:
; codeLenInByte = 848
; TotalNumSgprs: 26
; NumVgprs: 15
; ScratchSize: 0
; MemoryBound: 0
; FloatMode: 240
; IeeeMode: 1
; LDSByteSize: 0 bytes/workgroup (compile time only)
; SGPRBlocks: 0
; VGPRBlocks: 1
; NumSGPRsForWavesPerEU: 26
; NumVGPRsForWavesPerEU: 15
; Occupancy: 16
; WaveLimiterHint : 0
; COMPUTE_PGM_RSRC2:SCRATCH_EN: 0
; COMPUTE_PGM_RSRC2:USER_SGPR: 6
; COMPUTE_PGM_RSRC2:TRAP_HANDLER: 0
; COMPUTE_PGM_RSRC2:TGID_X_EN: 1
; COMPUTE_PGM_RSRC2:TGID_Y_EN: 1
; COMPUTE_PGM_RSRC2:TGID_Z_EN: 1
; COMPUTE_PGM_RSRC2:TIDIG_COMP_CNT: 0
	.section	.text._ZL33flash_attn_stream_k_fixup_generalILi112ELi32ELi2EEvPfPK15HIP_vector_typeIfLj2EEiiiiS1_IjLj3EES5_S5_S5_,"axG",@progbits,_ZL33flash_attn_stream_k_fixup_generalILi112ELi32ELi2EEvPfPK15HIP_vector_typeIfLj2EEiiiiS1_IjLj3EES5_S5_S5_,comdat
	.globl	_ZL33flash_attn_stream_k_fixup_generalILi112ELi32ELi2EEvPfPK15HIP_vector_typeIfLj2EEiiiiS1_IjLj3EES5_S5_S5_ ; -- Begin function _ZL33flash_attn_stream_k_fixup_generalILi112ELi32ELi2EEvPfPK15HIP_vector_typeIfLj2EEiiiiS1_IjLj3EES5_S5_S5_
	.p2align	8
	.type	_ZL33flash_attn_stream_k_fixup_generalILi112ELi32ELi2EEvPfPK15HIP_vector_typeIfLj2EEiiiiS1_IjLj3EES5_S5_S5_,@function
_ZL33flash_attn_stream_k_fixup_generalILi112ELi32ELi2EEvPfPK15HIP_vector_typeIfLj2EEiiiiS1_IjLj3EES5_S5_S5_: ; @_ZL33flash_attn_stream_k_fixup_generalILi112ELi32ELi2EEvPfPK15HIP_vector_typeIfLj2EEiiiiS1_IjLj3EES5_S5_S5_
; %bb.0:
	s_clause 0x1
	s_load_dwordx4 s[0:3], s[4:5], 0x10
	s_load_dword s9, s[4:5], 0x50
	s_mov_b32 s16, 0
	s_waitcnt lgkmcnt(0)
	s_mul_hi_i32 s17, s3, s6
	s_mul_i32 s18, s3, s6
	s_cmp_lg_u64 s[16:17], 0
	s_cbranch_scc0 .LBB36_21
; %bb.1:
	s_add_u32 s10, s9, 0
	s_addc_u32 s11, 0, 0
	s_xor_b64 s[10:11], s[10:11], 0
	v_cvt_f32_u32_e32 v1, s10
	v_cvt_f32_u32_e32 v2, s11
	s_sub_u32 s14, 0, s10
	s_subb_u32 s15, 0, s11
	v_fmamk_f32 v1, v2, 0x4f800000, v1
	v_rcp_f32_e32 v1, v1
	v_mul_f32_e32 v1, 0x5f7ffffc, v1
	v_mul_f32_e32 v2, 0x2f800000, v1
	v_trunc_f32_e32 v2, v2
	v_fmamk_f32 v1, v2, 0xcf800000, v1
	v_cvt_u32_f32_e32 v2, v2
	v_cvt_u32_f32_e32 v1, v1
	v_readfirstlane_b32 s12, v2
	v_readfirstlane_b32 s13, v1
	s_mul_i32 s19, s14, s12
	s_mul_hi_u32 s21, s14, s13
	s_mul_i32 s20, s15, s13
	s_add_i32 s19, s21, s19
	s_mul_i32 s22, s14, s13
	s_add_i32 s19, s19, s20
	s_mul_hi_u32 s21, s13, s22
	s_mul_i32 s24, s13, s19
	s_mul_hi_u32 s23, s12, s22
	s_mul_i32 s20, s12, s22
	s_mul_hi_u32 s22, s13, s19
	s_add_u32 s21, s21, s24
	s_addc_u32 s22, 0, s22
	s_mul_hi_u32 s25, s12, s19
	s_add_u32 s20, s21, s20
	s_mul_i32 s19, s12, s19
	s_addc_u32 s20, s22, s23
	s_addc_u32 s21, s25, 0
	s_add_u32 s19, s20, s19
	s_addc_u32 s20, 0, s21
	s_add_u32 s13, s13, s19
	s_cselect_b32 s19, -1, 0
	s_mul_hi_u32 s21, s14, s13
	s_cmp_lg_u32 s19, 0
	s_mul_i32 s19, s14, s13
	s_addc_u32 s12, s12, s20
	s_mul_i32 s15, s15, s13
	s_mul_i32 s14, s14, s12
	s_mul_hi_u32 s20, s13, s19
	s_add_i32 s14, s21, s14
	s_mul_hi_u32 s21, s12, s19
	s_add_i32 s14, s14, s15
	s_mul_i32 s15, s12, s19
	s_mul_i32 s23, s13, s14
	s_mul_hi_u32 s22, s13, s14
	s_add_u32 s20, s20, s23
	s_addc_u32 s22, 0, s22
	s_mul_hi_u32 s19, s12, s14
	s_add_u32 s15, s20, s15
	s_mul_i32 s14, s12, s14
	s_addc_u32 s15, s22, s21
	s_addc_u32 s19, s19, 0
	s_add_u32 s14, s15, s14
	s_addc_u32 s15, 0, s19
	s_add_u32 s19, s13, s14
	s_cselect_b32 s13, -1, 0
	s_cmp_lg_u32 s13, 0
	s_addc_u32 s20, s12, s15
	s_ashr_i32 s12, s17, 31
	s_add_u32 s14, s18, s12
	s_mov_b32 s13, s12
	s_addc_u32 s15, s17, s12
	s_xor_b64 s[14:15], s[14:15], s[12:13]
	s_mul_i32 s21, s14, s20
	s_mul_hi_u32 s22, s14, s19
	s_mul_hi_u32 s17, s14, s20
	;; [unrolled: 1-line block ×3, first 2 shown]
	s_mul_i32 s19, s15, s19
	s_add_u32 s21, s22, s21
	s_addc_u32 s17, 0, s17
	s_mul_hi_u32 s23, s15, s20
	s_add_u32 s19, s21, s19
	s_mul_i32 s20, s15, s20
	s_addc_u32 s17, s17, s24
	s_addc_u32 s19, s23, 0
	s_add_u32 s17, s17, s20
	s_addc_u32 s19, 0, s19
	s_mul_hi_u32 s20, s10, s17
	s_mul_i32 s21, s10, s19
	s_mul_i32 s22, s11, s17
	s_add_i32 s20, s20, s21
	s_mul_i32 s21, s10, s17
	s_add_i32 s20, s20, s22
	s_sub_i32 s22, s15, s20
	s_sub_u32 s14, s14, s21
	s_cselect_b32 s21, -1, 0
	s_cmp_lg_u32 s21, 0
	s_subb_u32 s22, s22, s11
	s_sub_u32 s23, s14, s10
	s_cselect_b32 s24, -1, 0
	s_cmp_lg_u32 s24, 0
	s_subb_u32 s22, s22, 0
	s_cmp_ge_u32 s22, s11
	s_cselect_b32 s24, -1, 0
	s_cmp_ge_u32 s23, s10
	s_cselect_b32 s23, -1, 0
	s_cmp_eq_u32 s22, s11
	s_cselect_b32 s22, s23, s24
	s_add_u32 s23, s17, 1
	s_addc_u32 s24, s19, 0
	s_add_u32 s25, s17, 2
	s_addc_u32 s26, s19, 0
	s_cmp_lg_u32 s22, 0
	s_cselect_b32 s22, s25, s23
	s_cselect_b32 s23, s26, s24
	s_cmp_lg_u32 s21, 0
	s_subb_u32 s15, s15, s20
	s_cmp_ge_u32 s15, s11
	s_cselect_b32 s20, -1, 0
	s_cmp_ge_u32 s14, s10
	s_cselect_b32 s10, -1, 0
	s_cmp_eq_u32 s15, s11
	s_cselect_b32 s10, s10, s20
	s_cmp_lg_u32 s10, 0
	s_cselect_b32 s11, s23, s19
	s_cselect_b32 s10, s22, s17
	s_xor_b64 s[12:13], s[12:13], 0
	s_xor_b64 s[10:11], s[10:11], s[12:13]
	s_sub_u32 s10, s10, s12
	s_load_dwordx4 s[12:15], s[4:5], 0x44
	s_andn2_b32 vcc_lo, exec_lo, s16
	s_cbranch_vccnz .LBB36_3
.LBB36_2:
	v_cvt_f32_u32_e32 v1, s9
	s_sub_i32 s11, 0, s9
	v_rcp_iflag_f32_e32 v1, v1
	v_mul_f32_e32 v1, 0x4f7ffffe, v1
	v_cvt_u32_f32_e32 v1, v1
	v_readfirstlane_b32 s10, v1
	s_mul_i32 s11, s11, s10
	s_mul_hi_u32 s11, s10, s11
	s_add_i32 s10, s10, s11
	s_mul_hi_u32 s10, s18, s10
	s_mul_i32 s11, s10, s9
	s_waitcnt lgkmcnt(0)
	s_add_i32 s15, s10, 1
	s_sub_i32 s11, s18, s11
	s_sub_i32 s16, s11, s9
	s_cmp_ge_u32 s11, s9
	s_cselect_b32 s10, s15, s10
	s_cselect_b32 s11, s16, s11
	s_add_i32 s15, s10, 1
	s_cmp_ge_u32 s11, s9
	s_cselect_b32 s10, s15, s10
.LBB36_3:
	s_add_i32 s11, s6, 1
	s_mov_b32 s16, 0
	s_mul_hi_i32 s17, s3, s11
	s_mul_i32 s11, s3, s11
	s_cmp_lg_u64 s[16:17], 0
	s_cbranch_scc0 .LBB36_22
; %bb.4:
	s_add_u32 s18, s9, 0
	s_addc_u32 s19, 0, 0
	s_xor_b64 s[18:19], s[18:19], 0
	v_cvt_f32_u32_e32 v1, s18
	v_cvt_f32_u32_e32 v2, s19
	s_sub_u32 s21, 0, s18
	s_subb_u32 s22, 0, s19
	v_fmamk_f32 v1, v2, 0x4f800000, v1
	v_rcp_f32_e32 v1, v1
	v_mul_f32_e32 v1, 0x5f7ffffc, v1
	v_mul_f32_e32 v2, 0x2f800000, v1
	v_trunc_f32_e32 v2, v2
	v_fmamk_f32 v1, v2, 0xcf800000, v1
	v_cvt_u32_f32_e32 v2, v2
	v_cvt_u32_f32_e32 v1, v1
	s_waitcnt lgkmcnt(0)
	v_readfirstlane_b32 s15, v2
	v_readfirstlane_b32 s20, v1
	s_mul_i32 s23, s21, s15
	s_mul_hi_u32 s25, s21, s20
	s_mul_i32 s24, s22, s20
	s_add_i32 s23, s25, s23
	s_mul_i32 s26, s21, s20
	s_add_i32 s23, s23, s24
	s_mul_hi_u32 s25, s20, s26
	s_mul_i32 s28, s20, s23
	s_mul_hi_u32 s27, s15, s26
	s_mul_i32 s24, s15, s26
	s_mul_hi_u32 s26, s20, s23
	s_add_u32 s25, s25, s28
	s_addc_u32 s26, 0, s26
	s_mul_hi_u32 s29, s15, s23
	s_add_u32 s24, s25, s24
	s_mul_i32 s23, s15, s23
	s_addc_u32 s24, s26, s27
	s_addc_u32 s25, s29, 0
	s_add_u32 s23, s24, s23
	s_addc_u32 s24, 0, s25
	s_add_u32 s20, s20, s23
	s_cselect_b32 s23, -1, 0
	s_mul_hi_u32 s25, s21, s20
	s_cmp_lg_u32 s23, 0
	s_mul_i32 s23, s21, s20
	s_addc_u32 s15, s15, s24
	s_mul_i32 s22, s22, s20
	s_mul_i32 s21, s21, s15
	s_mul_hi_u32 s24, s20, s23
	s_add_i32 s21, s25, s21
	s_mul_hi_u32 s25, s15, s23
	s_add_i32 s21, s21, s22
	s_mul_i32 s22, s15, s23
	s_mul_i32 s27, s20, s21
	s_mul_hi_u32 s26, s20, s21
	s_add_u32 s24, s24, s27
	s_addc_u32 s26, 0, s26
	s_mul_hi_u32 s23, s15, s21
	s_add_u32 s22, s24, s22
	s_mul_i32 s21, s15, s21
	s_addc_u32 s22, s26, s25
	s_addc_u32 s23, s23, 0
	s_add_u32 s21, s22, s21
	s_addc_u32 s22, 0, s23
	s_add_u32 s24, s20, s21
	s_cselect_b32 s20, -1, 0
	s_cmp_lg_u32 s20, 0
	s_addc_u32 s15, s15, s22
	s_ashr_i32 s20, s17, 31
	s_add_u32 s22, s11, s20
	s_mov_b32 s21, s20
	s_addc_u32 s23, s17, s20
	s_xor_b64 s[22:23], s[22:23], s[20:21]
	s_mul_i32 s25, s22, s15
	s_mul_hi_u32 s26, s22, s24
	s_mul_hi_u32 s17, s22, s15
	;; [unrolled: 1-line block ×3, first 2 shown]
	s_mul_i32 s24, s23, s24
	s_add_u32 s25, s26, s25
	s_addc_u32 s17, 0, s17
	s_mul_hi_u32 s27, s23, s15
	s_add_u32 s24, s25, s24
	s_mul_i32 s15, s23, s15
	s_addc_u32 s17, s17, s28
	s_addc_u32 s24, s27, 0
	s_add_u32 s15, s17, s15
	s_addc_u32 s17, 0, s24
	s_mul_hi_u32 s24, s18, s15
	s_mul_i32 s25, s18, s17
	s_mul_i32 s26, s19, s15
	s_add_i32 s24, s24, s25
	s_mul_i32 s25, s18, s15
	s_add_i32 s24, s24, s26
	s_sub_i32 s26, s23, s24
	s_sub_u32 s22, s22, s25
	s_cselect_b32 s25, -1, 0
	s_cmp_lg_u32 s25, 0
	s_subb_u32 s26, s26, s19
	s_sub_u32 s27, s22, s18
	s_cselect_b32 s28, -1, 0
	s_cmp_lg_u32 s28, 0
	s_subb_u32 s26, s26, 0
	s_cmp_ge_u32 s26, s19
	s_cselect_b32 s28, -1, 0
	s_cmp_ge_u32 s27, s18
	s_cselect_b32 s27, -1, 0
	s_cmp_eq_u32 s26, s19
	s_cselect_b32 s26, s27, s28
	s_add_u32 s27, s15, 1
	s_addc_u32 s28, s17, 0
	s_add_u32 s29, s15, 2
	s_addc_u32 s30, s17, 0
	s_cmp_lg_u32 s26, 0
	s_cselect_b32 s26, s29, s27
	s_cselect_b32 s27, s30, s28
	s_cmp_lg_u32 s25, 0
	s_subb_u32 s23, s23, s24
	s_cmp_ge_u32 s23, s19
	s_cselect_b32 s24, -1, 0
	s_cmp_ge_u32 s22, s18
	s_cselect_b32 s18, -1, 0
	s_cmp_eq_u32 s23, s19
	s_cselect_b32 s18, s18, s24
	s_cmp_lg_u32 s18, 0
	s_cselect_b32 s19, s27, s17
	s_cselect_b32 s18, s26, s15
	s_xor_b64 s[20:21], s[20:21], 0
	s_xor_b64 s[18:19], s[18:19], s[20:21]
	s_sub_u32 s18, s18, s20
	s_andn2_b32 vcc_lo, exec_lo, s16
	s_cbranch_vccnz .LBB36_6
.LBB36_5:
	v_cvt_f32_u32_e32 v1, s9
	s_sub_i32 s16, 0, s9
	v_rcp_iflag_f32_e32 v1, v1
	v_mul_f32_e32 v1, 0x4f7ffffe, v1
	v_cvt_u32_f32_e32 v1, v1
	s_waitcnt lgkmcnt(0)
	v_readfirstlane_b32 s15, v1
	s_mul_i32 s16, s16, s15
	s_mul_hi_u32 s16, s15, s16
	s_add_i32 s15, s15, s16
	s_mul_hi_u32 s15, s11, s15
	s_mul_i32 s16, s15, s9
	s_sub_i32 s11, s11, s16
	s_add_i32 s16, s15, 1
	s_sub_i32 s17, s11, s9
	s_cmp_ge_u32 s11, s9
	s_cselect_b32 s15, s16, s15
	s_cselect_b32 s11, s17, s11
	s_add_i32 s16, s15, 1
	s_cmp_ge_u32 s11, s9
	s_cselect_b32 s18, s16, s15
.LBB36_6:
	s_cmp_eq_u32 s10, s18
	s_waitcnt lgkmcnt(0)
	s_mul_hi_u32 s11, s10, s12
	s_cselect_b32 s15, -1, 0
	s_add_i32 s11, s11, s10
	s_lshr_b32 s11, s11, s13
	s_mul_i32 s16, s11, s14
	s_cmp_eq_u32 s16, s10
	s_mul_hi_u32 s16, s18, s12
	s_cselect_b32 s17, -1, 0
	s_add_i32 s16, s16, s18
	s_lshr_b32 s16, s16, s13
	s_cmp_eq_u32 s11, s16
	s_mul_i32 s16, s16, s14
	s_cselect_b32 s19, -1, 0
	s_cmp_lg_u32 s16, s18
	s_cselect_b32 s16, -1, 0
	s_or_b32 s15, s15, s17
	s_and_b32 s16, s19, s16
	s_or_b32 s15, s15, s16
	s_and_b32 vcc_lo, exec_lo, s15
	s_cbranch_vccnz .LBB36_24
; %bb.7:
	s_clause 0x1
	s_load_dwordx8 s[20:27], s[4:5], 0x20
	s_load_dword s16, s[4:5], 0x40
	s_waitcnt lgkmcnt(0)
	s_mul_hi_u32 s15, s10, s20
	s_add_i32 s15, s15, s10
	s_lshr_b32 s15, s15, s21
	s_mul_i32 s17, s15, s22
	s_sub_i32 s17, s10, s17
	s_mul_hi_u32 s18, s17, s23
	s_add_i32 s18, s17, s18
	s_lshr_b32 s21, s18, s24
	s_mul_i32 s18, s21, s25
	s_sub_i32 s17, s17, s18
	s_mul_hi_u32 s18, s17, s26
	s_add_i32 s18, s17, s18
	s_lshr_b32 s18, s18, s27
	s_mul_i32 s16, s18, s16
	s_lshl_b32 s22, s18, 1
	s_sub_i32 s16, s17, s16
	s_mul_hi_u32 s17, s16, s12
	s_add_i32 s16, s16, s17
	s_lshr_b32 s20, s16, s13
	s_lshl_b32 s16, s20, 5
	s_add_i32 s16, s16, s7
	s_cmp_lt_i32 s16, s0
	s_cselect_b32 s16, -1, 0
	s_add_i32 s22, s22, s8
	s_cmp_lt_i32 s22, s2
	s_cselect_b32 s17, -1, 0
	s_and_b32 s16, s16, s17
	s_andn2_b32 vcc_lo, exec_lo, s16
	s_cbranch_vccnz .LBB36_24
; %bb.8:
	s_load_dwordx4 s[16:19], s[4:5], 0x0
	s_mov_b32 s4, 0
	s_lshl_b32 s24, s9, 8
	s_mov_b32 s25, s4
	s_lshl_b32 s5, s7, 1
	s_lshl_b64 s[24:25], s[24:25], 2
	s_mul_i32 s21, s21, s2
	s_mul_i32 s0, s15, s0
	s_add_i32 s2, s5, s8
	v_cvt_f32_u32_e32 v3, s9
	v_rcp_iflag_f32_e32 v3, v3
	s_waitcnt lgkmcnt(0)
	s_add_u32 s8, s18, s24
	s_addc_u32 s15, s19, s25
	s_add_i32 s0, s0, s7
	s_add_i32 s5, s22, s21
	s_mul_i32 s0, s0, s1
	s_mul_i32 s1, s1, s20
	s_add_i32 s0, s5, s0
	s_mulk_i32 s1, 0xe00
	s_mulk_i32 s0, 0x70
	v_mul_f32_e32 v7, 0x4f7ffffe, v3
	v_add3_u32 v1, s1, s0, v0
	s_lshl_b32 s0, s6, 6
	s_add_i32 s0, s2, s0
	v_ashrrev_i32_e32 v2, 31, v1
	s_ashr_i32 s1, s0, 31
	s_lshl_b64 s[0:1], s[0:1], 3
	v_lshlrev_b64 v[1:2], 2, v[1:2]
	s_add_u32 s0, s18, s0
	s_addc_u32 s1, s19, s1
	s_load_dwordx2 s[0:1], s[0:1], 0x0
	v_add_co_u32 v1, vcc_lo, s16, v1
	v_add_co_ci_u32_e64 v2, null, s17, v2, vcc_lo
	s_add_i32 s17, s6, -1
	v_mad_u64_u32 v[3:4], null, 0x70, s2, v[0:1]
	global_load_dword v5, v[1:2], off
	v_cvt_u32_f32_e32 v0, v7
	s_sub_i32 s16, 0, s9
	s_waitcnt lgkmcnt(0)
	v_mov_b32_e32 v4, s1
	v_mov_b32_e32 v6, s0
.LBB36_9:                               ; =>This Inner Loop Header: Depth=1
	s_mul_hi_i32 s5, s17, s3
	s_mul_i32 s6, s17, s3
	s_cmp_lg_u64 s[4:5], 0
	s_mov_b32 s7, -1
                                        ; implicit-def: $sgpr0_sgpr1
	s_cbranch_scc0 .LBB36_11
; %bb.10:                               ;   in Loop: Header=BB36_9 Depth=1
	s_add_u32 s0, s9, 0
	s_addc_u32 s1, 0, 0
	s_xor_b64 s[0:1], s[0:1], 0
	v_cvt_f32_u32_e32 v7, s0
	v_cvt_f32_u32_e32 v8, s1
	s_sub_u32 s21, 0, s0
	s_subb_u32 s22, 0, s1
	v_fmac_f32_e32 v7, 0x4f800000, v8
	v_rcp_f32_e32 v7, v7
	v_mul_f32_e32 v7, 0x5f7ffffc, v7
	v_mul_f32_e32 v8, 0x2f800000, v7
	v_trunc_f32_e32 v8, v8
	v_fmac_f32_e32 v7, 0xcf800000, v8
	v_cvt_u32_f32_e32 v8, v8
	v_cvt_u32_f32_e32 v7, v7
	v_readfirstlane_b32 s7, v8
	v_readfirstlane_b32 s20, v7
	s_mul_i32 s23, s21, s7
	s_mul_hi_u32 s25, s21, s20
	s_mul_i32 s24, s22, s20
	s_add_i32 s23, s25, s23
	s_mul_i32 s26, s21, s20
	s_add_i32 s23, s23, s24
	s_mul_hi_u32 s25, s20, s26
	s_mul_i32 s28, s20, s23
	s_mul_hi_u32 s27, s7, s26
	s_mul_i32 s24, s7, s26
	s_mul_hi_u32 s26, s20, s23
	s_add_u32 s25, s25, s28
	s_addc_u32 s26, 0, s26
	s_mul_hi_u32 s29, s7, s23
	s_add_u32 s24, s25, s24
	s_mul_i32 s23, s7, s23
	s_addc_u32 s24, s26, s27
	s_addc_u32 s25, s29, 0
	s_add_u32 s23, s24, s23
	s_addc_u32 s24, 0, s25
	s_add_u32 s20, s20, s23
	s_cselect_b32 s23, -1, 0
	s_mul_hi_u32 s25, s21, s20
	s_cmp_lg_u32 s23, 0
	s_mul_i32 s23, s21, s20
	s_addc_u32 s7, s7, s24
	s_mul_i32 s22, s22, s20
	s_mul_i32 s21, s21, s7
	s_mul_hi_u32 s24, s20, s23
	s_add_i32 s21, s25, s21
	s_mul_hi_u32 s25, s7, s23
	s_add_i32 s21, s21, s22
	s_mul_i32 s22, s7, s23
	s_mul_i32 s27, s20, s21
	s_mul_hi_u32 s26, s20, s21
	s_add_u32 s24, s24, s27
	s_addc_u32 s26, 0, s26
	s_mul_hi_u32 s23, s7, s21
	s_add_u32 s22, s24, s22
	s_mul_i32 s21, s7, s21
	s_addc_u32 s22, s26, s25
	s_addc_u32 s23, s23, 0
	s_add_u32 s21, s22, s21
	s_addc_u32 s22, 0, s23
	s_add_u32 s24, s20, s21
	s_cselect_b32 s20, -1, 0
	s_cmp_lg_u32 s20, 0
	s_addc_u32 s7, s7, s22
	s_ashr_i32 s20, s5, 31
	s_add_u32 s22, s6, s20
	s_mov_b32 s21, s20
	s_addc_u32 s23, s5, s20
	s_xor_b64 s[22:23], s[22:23], s[20:21]
	s_mul_i32 s25, s22, s7
	s_mul_hi_u32 s26, s22, s24
	s_mul_hi_u32 s5, s22, s7
	;; [unrolled: 1-line block ×3, first 2 shown]
	s_mul_i32 s24, s23, s24
	s_add_u32 s25, s26, s25
	s_addc_u32 s5, 0, s5
	s_mul_hi_u32 s27, s23, s7
	s_add_u32 s24, s25, s24
	s_mul_i32 s7, s23, s7
	s_addc_u32 s5, s5, s28
	s_addc_u32 s24, s27, 0
	s_add_u32 s5, s5, s7
	s_addc_u32 s7, 0, s24
	s_mul_hi_u32 s24, s0, s5
	s_mul_i32 s25, s0, s7
	s_mul_i32 s26, s1, s5
	s_add_i32 s24, s24, s25
	s_mul_i32 s25, s0, s5
	s_add_i32 s24, s24, s26
	s_sub_i32 s26, s23, s24
	s_sub_u32 s22, s22, s25
	s_cselect_b32 s25, -1, 0
	s_cmp_lg_u32 s25, 0
	s_subb_u32 s26, s26, s1
	s_sub_u32 s27, s22, s0
	s_cselect_b32 s28, -1, 0
	s_cmp_lg_u32 s28, 0
	s_subb_u32 s26, s26, 0
	s_cmp_ge_u32 s26, s1
	s_cselect_b32 s28, -1, 0
	s_cmp_ge_u32 s27, s0
	s_cselect_b32 s27, -1, 0
	s_cmp_eq_u32 s26, s1
	s_cselect_b32 s26, s27, s28
	s_add_u32 s27, s5, 1
	s_addc_u32 s28, s7, 0
	s_add_u32 s29, s5, 2
	s_addc_u32 s30, s7, 0
	s_cmp_lg_u32 s26, 0
	s_cselect_b32 s26, s29, s27
	s_cselect_b32 s27, s30, s28
	s_cmp_lg_u32 s25, 0
	s_subb_u32 s23, s23, s24
	s_cmp_ge_u32 s23, s1
	s_cselect_b32 s24, -1, 0
	s_cmp_ge_u32 s22, s0
	s_cselect_b32 s0, -1, 0
	s_cmp_eq_u32 s23, s1
	s_cselect_b32 s0, s0, s24
	s_cmp_lg_u32 s0, 0
	s_cselect_b32 s1, s27, s7
	s_cselect_b32 s0, s26, s5
	s_xor_b64 s[20:21], s[20:21], 0
	s_mov_b32 s7, 0
	s_xor_b64 s[0:1], s[0:1], s[20:21]
	s_sub_u32 s0, s0, s20
.LBB36_11:                              ;   in Loop: Header=BB36_9 Depth=1
	s_andn2_b32 vcc_lo, exec_lo, s7
	s_cbranch_vccnz .LBB36_13
; %bb.12:                               ;   in Loop: Header=BB36_9 Depth=1
	v_readfirstlane_b32 s0, v0
	s_mul_i32 s1, s16, s0
	s_mul_hi_u32 s1, s0, s1
	s_add_i32 s0, s0, s1
	s_mul_hi_u32 s0, s6, s0
	s_mul_i32 s1, s0, s9
	s_add_i32 s5, s0, 1
	s_sub_i32 s1, s6, s1
	s_sub_i32 s6, s1, s9
	s_cmp_ge_u32 s1, s9
	s_cselect_b32 s0, s5, s0
	s_cselect_b32 s1, s6, s1
	s_add_i32 s5, s0, 1
	s_cmp_ge_u32 s1, s9
	s_cselect_b32 s0, s5, s0
.LBB36_13:                              ;   in Loop: Header=BB36_9 Depth=1
	s_cmp_lg_u32 s10, s0
	s_mov_b32 s6, -1
                                        ; implicit-def: $sgpr5
                                        ; implicit-def: $vgpr8
                                        ; implicit-def: $vgpr7
                                        ; implicit-def: $vgpr9
                                        ; implicit-def: $sgpr1
                                        ; implicit-def: $sgpr20
	s_cbranch_scc0 .LBB36_18
; %bb.14:                               ;   in Loop: Header=BB36_9 Depth=1
	s_add_i32 s1, s17, s9
	s_mov_b32 s7, s4
	s_lshl_b32 s1, s1, 6
	s_mov_b32 s20, s10
	s_add_i32 s6, s1, s2
	s_mul_hi_u32 s1, s0, s12
	s_lshl_b64 s[6:7], s[6:7], 3
	s_add_u32 s6, s18, s6
	s_addc_u32 s7, s19, s7
	s_add_i32 s1, s1, s0
	s_lshr_b32 s1, s1, s13
	s_mul_i32 s5, s1, s14
	s_cmp_eq_u32 s5, s0
	s_cselect_b32 s5, -1, 0
	s_cmp_lt_u32 s1, s11
	s_cselect_b32 s1, -1, 0
	s_or_b32 s1, s1, s5
	s_mov_b32 s5, -1
	s_and_b32 vcc_lo, exec_lo, s1
	s_mov_b32 s1, s17
	s_cbranch_vccnz .LBB36_16
; %bb.15:                               ;   in Loop: Header=BB36_9 Depth=1
	s_add_i32 s1, s17, -1
	s_mov_b32 s5, 0
	s_mov_b32 s20, s0
.LBB36_16:                              ;   in Loop: Header=BB36_9 Depth=1
	v_mad_u64_u32 v[7:8], null, 0x1c00, s17, v[3:4]
	s_load_dwordx2 s[6:7], s[6:7], 0x0
	v_ashrrev_i32_e32 v8, 31, v7
	v_lshlrev_b64 v[7:8], 2, v[7:8]
	v_add_co_u32 v7, vcc_lo, s8, v7
	v_add_co_ci_u32_e64 v8, null, s15, v8, vcc_lo
	s_waitcnt lgkmcnt(0)
	v_max_f32_e64 v9, s6, s6
	global_load_dword v8, v[7:8], off
	v_max_f32_e32 v7, v6, v6
	v_max_f32_e32 v7, v7, v9
	v_sub_f32_e32 v9, s6, v7
	v_sub_f32_e32 v10, v6, v7
	v_mul_f32_e32 v11, 0x3fb8aa3b, v9
	v_mul_f32_e32 v12, 0x3fb8aa3b, v10
	v_cmp_ngt_f32_e32 vcc_lo, 0xc2ce8ed0, v9
	v_fma_f32 v13, 0x3fb8aa3b, v9, -v11
	v_rndne_f32_e32 v14, v11
	v_fma_f32 v15, 0x3fb8aa3b, v10, -v12
	v_rndne_f32_e32 v16, v12
	v_fmac_f32_e32 v13, 0x32a5705f, v9
	v_sub_f32_e32 v11, v11, v14
	v_fmac_f32_e32 v15, 0x32a5705f, v10
	v_sub_f32_e32 v12, v12, v16
	v_add_f32_e32 v11, v11, v13
	v_cvt_i32_f32_e32 v13, v14
	v_add_f32_e32 v12, v12, v15
	v_cvt_i32_f32_e32 v14, v16
	v_exp_f32_e32 v11, v11
	v_exp_f32_e32 v12, v12
	v_ldexp_f32 v11, v11, v13
	v_ldexp_f32 v12, v12, v14
	v_cndmask_b32_e32 v11, 0, v11, vcc_lo
	v_cmp_ngt_f32_e32 vcc_lo, 0xc2ce8ed0, v10
	v_cndmask_b32_e32 v12, 0, v12, vcc_lo
	v_cmp_nlt_f32_e32 vcc_lo, 0x42b17218, v9
	v_cndmask_b32_e32 v11, 0x7f800000, v11, vcc_lo
	v_cmp_nlt_f32_e32 vcc_lo, 0x42b17218, v10
	v_cndmask_b32_e32 v12, 0x7f800000, v12, vcc_lo
	v_cmp_le_f32_e32 vcc_lo, 0xc1a00000, v9
	v_cndmask_b32_e32 v9, 0, v11, vcc_lo
	v_cmp_le_f32_e32 vcc_lo, 0xc1a00000, v10
	v_cndmask_b32_e32 v10, 0, v12, vcc_lo
	s_waitcnt vmcnt(0)
	v_mul_f32_e32 v8, v8, v9
	v_mul_f32_e32 v9, s7, v9
	v_fmac_f32_e32 v8, v5, v10
	v_fmac_f32_e32 v9, v4, v10
	s_cbranch_execz .LBB36_19
.LBB36_17:                              ;   in Loop: Header=BB36_9 Depth=1
	s_andn2_b32 vcc_lo, exec_lo, s5
	s_cbranch_vccnz .LBB36_20
	s_branch .LBB36_23
.LBB36_18:                              ;   in Loop: Header=BB36_9 Depth=1
	s_andn2_b32 vcc_lo, exec_lo, s6
	s_cbranch_vccnz .LBB36_17
.LBB36_19:                              ;   in Loop: Header=BB36_9 Depth=1
	v_mov_b32_e32 v9, v4
	v_mov_b32_e32 v7, v6
	s_waitcnt vmcnt(0)
	v_mov_b32_e32 v8, v5
	s_add_i32 s1, s17, -1
	s_mov_b32 s20, s10
	s_cbranch_execz .LBB36_23
.LBB36_20:                              ;   in Loop: Header=BB36_9 Depth=1
	v_mov_b32_e32 v4, v9
	v_mov_b32_e32 v6, v7
	s_waitcnt vmcnt(0)
	v_mov_b32_e32 v5, v8
	s_mov_b32 s10, s20
	s_mov_b32 s17, s1
	s_branch .LBB36_9
.LBB36_21:
                                        ; implicit-def: $sgpr10_sgpr11
	s_load_dwordx4 s[12:15], s[4:5], 0x44
	s_branch .LBB36_2
.LBB36_22:
                                        ; implicit-def: $sgpr18_sgpr19
	s_branch .LBB36_5
.LBB36_23:
	v_div_scale_f32 v0, null, v9, v9, v8
	v_rcp_f32_e32 v3, v0
	v_fma_f32 v4, -v0, v3, 1.0
	v_fmac_f32_e32 v3, v4, v3
	v_div_scale_f32 v4, vcc_lo, v8, v9, v8
	s_waitcnt vmcnt(0)
	v_mul_f32_e32 v5, v4, v3
	v_fma_f32 v6, -v0, v5, v4
	v_fmac_f32_e32 v5, v6, v3
	v_fma_f32 v0, -v0, v5, v4
	v_div_fmas_f32 v0, v0, v3, v5
	v_div_fixup_f32 v0, v0, v9, v8
	global_store_dword v[1:2], v0, off
.LBB36_24:
	s_endpgm
	.section	.rodata,"a",@progbits
	.p2align	6, 0x0
	.amdhsa_kernel _ZL33flash_attn_stream_k_fixup_generalILi112ELi32ELi2EEvPfPK15HIP_vector_typeIfLj2EEiiiiS1_IjLj3EES5_S5_S5_
		.amdhsa_group_segment_fixed_size 0
		.amdhsa_private_segment_fixed_size 0
		.amdhsa_kernarg_size 336
		.amdhsa_user_sgpr_count 6
		.amdhsa_user_sgpr_private_segment_buffer 1
		.amdhsa_user_sgpr_dispatch_ptr 0
		.amdhsa_user_sgpr_queue_ptr 0
		.amdhsa_user_sgpr_kernarg_segment_ptr 1
		.amdhsa_user_sgpr_dispatch_id 0
		.amdhsa_user_sgpr_flat_scratch_init 0
		.amdhsa_user_sgpr_private_segment_size 0
		.amdhsa_wavefront_size32 1
		.amdhsa_uses_dynamic_stack 0
		.amdhsa_system_sgpr_private_segment_wavefront_offset 0
		.amdhsa_system_sgpr_workgroup_id_x 1
		.amdhsa_system_sgpr_workgroup_id_y 1
		.amdhsa_system_sgpr_workgroup_id_z 1
		.amdhsa_system_sgpr_workgroup_info 0
		.amdhsa_system_vgpr_workitem_id 0
		.amdhsa_next_free_vgpr 17
		.amdhsa_next_free_sgpr 31
		.amdhsa_reserve_vcc 1
		.amdhsa_reserve_flat_scratch 0
		.amdhsa_float_round_mode_32 0
		.amdhsa_float_round_mode_16_64 0
		.amdhsa_float_denorm_mode_32 3
		.amdhsa_float_denorm_mode_16_64 3
		.amdhsa_dx10_clamp 1
		.amdhsa_ieee_mode 1
		.amdhsa_fp16_overflow 0
		.amdhsa_workgroup_processor_mode 1
		.amdhsa_memory_ordered 1
		.amdhsa_forward_progress 1
		.amdhsa_shared_vgpr_count 0
		.amdhsa_exception_fp_ieee_invalid_op 0
		.amdhsa_exception_fp_denorm_src 0
		.amdhsa_exception_fp_ieee_div_zero 0
		.amdhsa_exception_fp_ieee_overflow 0
		.amdhsa_exception_fp_ieee_underflow 0
		.amdhsa_exception_fp_ieee_inexact 0
		.amdhsa_exception_int_div_zero 0
	.end_amdhsa_kernel
	.section	.text._ZL33flash_attn_stream_k_fixup_generalILi112ELi32ELi2EEvPfPK15HIP_vector_typeIfLj2EEiiiiS1_IjLj3EES5_S5_S5_,"axG",@progbits,_ZL33flash_attn_stream_k_fixup_generalILi112ELi32ELi2EEvPfPK15HIP_vector_typeIfLj2EEiiiiS1_IjLj3EES5_S5_S5_,comdat
.Lfunc_end36:
	.size	_ZL33flash_attn_stream_k_fixup_generalILi112ELi32ELi2EEvPfPK15HIP_vector_typeIfLj2EEiiiiS1_IjLj3EES5_S5_S5_, .Lfunc_end36-_ZL33flash_attn_stream_k_fixup_generalILi112ELi32ELi2EEvPfPK15HIP_vector_typeIfLj2EEiiiiS1_IjLj3EES5_S5_S5_
                                        ; -- End function
	.set _ZL33flash_attn_stream_k_fixup_generalILi112ELi32ELi2EEvPfPK15HIP_vector_typeIfLj2EEiiiiS1_IjLj3EES5_S5_S5_.num_vgpr, 17
	.set _ZL33flash_attn_stream_k_fixup_generalILi112ELi32ELi2EEvPfPK15HIP_vector_typeIfLj2EEiiiiS1_IjLj3EES5_S5_S5_.num_agpr, 0
	.set _ZL33flash_attn_stream_k_fixup_generalILi112ELi32ELi2EEvPfPK15HIP_vector_typeIfLj2EEiiiiS1_IjLj3EES5_S5_S5_.numbered_sgpr, 31
	.set _ZL33flash_attn_stream_k_fixup_generalILi112ELi32ELi2EEvPfPK15HIP_vector_typeIfLj2EEiiiiS1_IjLj3EES5_S5_S5_.num_named_barrier, 0
	.set _ZL33flash_attn_stream_k_fixup_generalILi112ELi32ELi2EEvPfPK15HIP_vector_typeIfLj2EEiiiiS1_IjLj3EES5_S5_S5_.private_seg_size, 0
	.set _ZL33flash_attn_stream_k_fixup_generalILi112ELi32ELi2EEvPfPK15HIP_vector_typeIfLj2EEiiiiS1_IjLj3EES5_S5_S5_.uses_vcc, 1
	.set _ZL33flash_attn_stream_k_fixup_generalILi112ELi32ELi2EEvPfPK15HIP_vector_typeIfLj2EEiiiiS1_IjLj3EES5_S5_S5_.uses_flat_scratch, 0
	.set _ZL33flash_attn_stream_k_fixup_generalILi112ELi32ELi2EEvPfPK15HIP_vector_typeIfLj2EEiiiiS1_IjLj3EES5_S5_S5_.has_dyn_sized_stack, 0
	.set _ZL33flash_attn_stream_k_fixup_generalILi112ELi32ELi2EEvPfPK15HIP_vector_typeIfLj2EEiiiiS1_IjLj3EES5_S5_S5_.has_recursion, 0
	.set _ZL33flash_attn_stream_k_fixup_generalILi112ELi32ELi2EEvPfPK15HIP_vector_typeIfLj2EEiiiiS1_IjLj3EES5_S5_S5_.has_indirect_call, 0
	.section	.AMDGPU.csdata,"",@progbits
; Kernel info:
; codeLenInByte = 2948
; TotalNumSgprs: 33
; NumVgprs: 17
; ScratchSize: 0
; MemoryBound: 0
; FloatMode: 240
; IeeeMode: 1
; LDSByteSize: 0 bytes/workgroup (compile time only)
; SGPRBlocks: 0
; VGPRBlocks: 2
; NumSGPRsForWavesPerEU: 33
; NumVGPRsForWavesPerEU: 17
; Occupancy: 16
; WaveLimiterHint : 0
; COMPUTE_PGM_RSRC2:SCRATCH_EN: 0
; COMPUTE_PGM_RSRC2:USER_SGPR: 6
; COMPUTE_PGM_RSRC2:TRAP_HANDLER: 0
; COMPUTE_PGM_RSRC2:TGID_X_EN: 1
; COMPUTE_PGM_RSRC2:TGID_Y_EN: 1
; COMPUTE_PGM_RSRC2:TGID_Z_EN: 1
; COMPUTE_PGM_RSRC2:TIDIG_COMP_CNT: 0
	.section	.text._ZL15flash_attn_tileILi112ELi112ELi16ELi2ELb0EEvPKcS1_S1_S1_S1_PKiPfP15HIP_vector_typeIfLj2EEffffjfiS5_IjLj3EEiiiiiiiiiiiliiliiiiil,"axG",@progbits,_ZL15flash_attn_tileILi112ELi112ELi16ELi2ELb0EEvPKcS1_S1_S1_S1_PKiPfP15HIP_vector_typeIfLj2EEffffjfiS5_IjLj3EEiiiiiiiiiiiliiliiiiil,comdat
	.globl	_ZL15flash_attn_tileILi112ELi112ELi16ELi2ELb0EEvPKcS1_S1_S1_S1_PKiPfP15HIP_vector_typeIfLj2EEffffjfiS5_IjLj3EEiiiiiiiiiiiliiliiiiil ; -- Begin function _ZL15flash_attn_tileILi112ELi112ELi16ELi2ELb0EEvPKcS1_S1_S1_S1_PKiPfP15HIP_vector_typeIfLj2EEffffjfiS5_IjLj3EEiiiiiiiiiiiliiliiiiil
	.p2align	8
	.type	_ZL15flash_attn_tileILi112ELi112ELi16ELi2ELb0EEvPKcS1_S1_S1_S1_PKiPfP15HIP_vector_typeIfLj2EEffffjfiS5_IjLj3EEiiiiiiiiiiiliiliiiiil,@function
_ZL15flash_attn_tileILi112ELi112ELi16ELi2ELb0EEvPKcS1_S1_S1_S1_PKiPfP15HIP_vector_typeIfLj2EEffffjfiS5_IjLj3EEiiiiiiiiiiiliiliiiiil: ; @_ZL15flash_attn_tileILi112ELi112ELi16ELi2ELb0EEvPKcS1_S1_S1_S1_PKiPfP15HIP_vector_typeIfLj2EEffffjfiS5_IjLj3EEiiiiiiiiiiiliiliiiiil
; %bb.0:
	s_clause 0x1
	s_load_dwordx4 s[28:31], s[4:5], 0x5c
	s_load_dwordx2 s[38:39], s[4:5], 0x80
	s_mov_b32 s34, s7
	s_mov_b64 s[40:41], 0
	s_waitcnt lgkmcnt(0)
	s_lshr_b32 s0, s31, 31
	s_add_i32 s0, s31, s0
	s_ashr_i32 s0, s0, 1
	v_cvt_f32_u32_e32 v2, s0
	s_sub_i32 s2, 0, s0
	v_rcp_iflag_f32_e32 v2, v2
	v_mul_f32_e32 v2, 0x4f7ffffe, v2
	v_cvt_u32_f32_e32 v2, v2
	v_readfirstlane_b32 s1, v2
	s_mul_i32 s2, s2, s1
	s_mul_hi_u32 s2, s1, s2
	s_add_i32 s1, s1, s2
	s_mul_hi_u32 s1, s8, s1
	s_mul_i32 s2, s1, s0
	s_add_i32 s3, s1, 1
	s_sub_i32 s2, s8, s2
	s_sub_i32 s7, s2, s0
	s_cmp_ge_u32 s2, s0
	s_cselect_b32 s1, s3, s1
	s_cselect_b32 s2, s7, s2
	s_add_i32 s3, s1, 1
	s_cmp_ge_u32 s2, s0
	s_cselect_b32 s35, s3, s1
	s_abs_i32 s0, s39
	s_lshl_b32 s3, s8, 1
	v_cvt_f32_u32_e32 v2, s0
	s_sub_i32 s2, 0, s0
	s_abs_i32 s8, s31
	s_mul_i32 s7, s35, s31
	v_rcp_iflag_f32_e32 v2, v2
	s_sub_i32 s36, s3, s7
	v_mul_f32_e32 v2, 0x4f7ffffe, v2
	v_cvt_u32_f32_e32 v2, v2
	v_readfirstlane_b32 s1, v2
	s_mul_i32 s2, s2, s1
	s_mul_hi_u32 s2, s1, s2
	s_add_i32 s1, s1, s2
	s_xor_b32 s2, s31, s39
	s_mul_hi_u32 s1, s8, s1
	s_ashr_i32 s2, s2, 31
	s_mul_i32 s3, s1, s0
	s_add_i32 s7, s1, 1
	s_sub_i32 s3, s8, s3
	s_sub_i32 s8, s3, s0
	s_cmp_ge_u32 s3, s0
	s_cselect_b32 s1, s7, s1
	s_cselect_b32 s3, s8, s3
	s_add_i32 s7, s1, 1
	s_cmp_ge_u32 s3, s0
	s_cselect_b32 s0, s7, s1
	s_xor_b32 s0, s0, s2
	s_sub_i32 s37, s0, s2
	s_clause 0x1
	s_load_dwordx16 s[12:27], s[4:5], 0x0
	s_load_dwordx2 s[0:1], s[4:5], 0xb8
	s_abs_i32 s7, s37
	v_cvt_f32_u32_e32 v2, s7
	v_rcp_iflag_f32_e32 v2, v2
	v_mul_f32_e32 v2, 0x4f7ffffe, v2
	s_waitcnt lgkmcnt(0)
	s_cmp_eq_u64 s[18:19], 0
	v_cvt_u32_f32_e32 v2, v2
	v_readfirstlane_b32 s39, v2
	s_cbranch_scc1 .LBB37_2
; %bb.1:
	s_abs_i32 s0, s0
	s_abs_i32 s8, s35
	v_cvt_f32_u32_e32 v2, s0
	s_sub_i32 s3, 0, s0
	v_rcp_iflag_f32_e32 v2, v2
	v_mul_f32_e32 v2, 0x4f7ffffe, v2
	v_cvt_u32_f32_e32 v2, v2
	v_readfirstlane_b32 s2, v2
	s_mul_i32 s3, s3, s2
	s_mul_hi_u32 s3, s2, s3
	s_add_i32 s2, s2, s3
	s_mul_hi_u32 s9, s8, s2
	s_load_dwordx2 s[2:3], s[4:5], 0xc8
	s_mul_i32 s9, s9, s0
	s_sub_i32 s8, s8, s9
	s_ashr_i32 s9, s35, 31
	s_sub_i32 s10, s8, s0
	s_cmp_ge_u32 s8, s0
	s_cselect_b32 s8, s10, s8
	s_sub_i32 s10, s8, s0
	s_cmp_ge_u32 s8, s0
	s_cselect_b32 s0, s10, s8
	s_xor_b32 s0, s0, s9
	s_sub_i32 s0, s0, s9
	s_ashr_i32 s8, s0, 31
	s_waitcnt lgkmcnt(0)
	s_mul_hi_u32 s9, s2, s0
	s_mul_i32 s8, s2, s8
	s_mul_i32 s3, s3, s0
	s_add_i32 s8, s9, s8
	s_mul_i32 s0, s2, s0
	s_add_i32 s8, s8, s3
	s_add_u32 s40, s18, s0
	s_addc_u32 s41, s19, s8
.LBB37_2:
	s_clause 0x1
	s_load_dwordx4 s[44:47], s[4:5], 0x70
	s_load_dword s10, s[4:5], 0x40
	v_lshlrev_b32_e32 v70, 2, v0
	s_lshl_b32 s33, s6, 4
	v_cmp_gt_u32_e64 s0, 28, v0
	v_lshlrev_b32_e32 v85, 3, v0
	v_lshl_add_u32 v2, v1, 1, s33
	v_lshlrev_b32_e32 v4, 2, v70
	s_waitcnt lgkmcnt(0)
	s_mul_i32 s3, s35, s46
	s_mul_i32 s8, s36, s45
	s_ashr_i32 s9, s3, 31
	s_add_u32 s3, s12, s3
	s_addc_u32 s9, s13, s9
	s_ashr_i32 s12, s8, 31
	s_add_u32 s11, s3, s8
	s_mov_b32 s2, s45
	s_addc_u32 s12, s9, s12
	s_ashr_i32 s3, s45, 31
	s_ashr_i32 s45, s44, 31
	s_lshr_b64 s[2:3], s[2:3], 2
	s_lshr_b64 s[8:9], s[44:45], 2
	s_and_saveexec_b32 s13, s0
	s_cbranch_execz .LBB37_4
; %bb.3:
	v_mul_hi_u32 v3, v2, s28
	s_lshl_b64 s[18:19], s[2:3], 2
	s_add_u32 s18, s11, s18
	s_addc_u32 s19, s12, s19
	v_add_nc_u32_e32 v3, v2, v3
	v_lshrrev_b32_e32 v3, s29, v3
	v_mul_lo_u32 v3, v3, s30
	v_sub_nc_u32_e32 v7, v2, v3
	v_mad_u64_u32 v[5:6], null, s8, v7, 0
	v_mov_b32_e32 v3, v6
	v_mad_u64_u32 v[6:7], null, s9, v7, v[3:4]
	v_lshlrev_b64 v[5:6], 2, v[5:6]
	v_add_co_u32 v3, vcc_lo, s11, v5
	v_add_co_ci_u32_e64 v7, null, s12, v6, vcc_lo
	v_add_co_u32 v8, vcc_lo, s18, v5
	v_add_co_ci_u32_e64 v10, null, s19, v6, vcc_lo
	;; [unrolled: 2-line block ×4, first 2 shown]
	s_clause 0x1
	global_load_dwordx4 v[5:8], v[5:6], off
	global_load_dwordx4 v[9:12], v[9:10], off
	s_waitcnt vmcnt(1)
	v_fma_mixlo_f16 v3, s10, v5, 0
	v_fma_mixlo_f16 v5, s10, v6, 0
	;; [unrolled: 1-line block ×4, first 2 shown]
	s_waitcnt vmcnt(0)
	v_fma_mixlo_f16 v8, s10, v9, 0
	v_fma_mixlo_f16 v9, s10, v10, 0
	;; [unrolled: 1-line block ×4, first 2 shown]
	v_lshlrev_b32_e32 v5, 16, v5
	v_and_b32_e32 v3, 0xffff, v3
	v_lshlrev_b32_e32 v9, 16, v9
	v_and_b32_e32 v8, 0xffff, v8
	;; [unrolled: 2-line block ×4, first 2 shown]
	v_or_b32_e32 v3, v5, v3
	v_or_b32_e32 v9, v9, v8
	v_mad_u32_u24 v12, 0x380, v1, v85
	v_or3_b32 v6, v7, v6, 0
	v_or3_b32 v8, v11, v10, 0
	;; [unrolled: 1-line block ×4, first 2 shown]
	ds_write2_b64 v12, v[5:6], v[7:8] offset1:28
.LBB37_4:
	s_or_b32 exec_lo, exec_lo, s13
	v_lshlrev_b32_e32 v3, 2, v1
	v_or_b32_e32 v5, 2, v3
	v_lshrrev_b32_e32 v84, 1, v5
	s_and_saveexec_b32 s13, s0
	s_cbranch_execz .LBB37_6
; %bb.5:
	v_add_nc_u32_e32 v6, s33, v84
	v_mad_u32_u24 v10, 0xe0, v5, v85
	v_mul_hi_u32 v7, v6, s28
	v_add_nc_u32_e32 v7, v6, v7
	v_lshrrev_b32_e32 v7, s29, v7
	v_mul_lo_u32 v7, v7, s30
	v_sub_nc_u32_e32 v8, v6, v7
	v_mad_u64_u32 v[6:7], null, s8, v8, 0
	v_mad_u64_u32 v[7:8], null, s9, v8, v[7:8]
	v_lshlrev_b64 v[6:7], 2, v[6:7]
	v_add_co_u32 v6, vcc_lo, s11, v6
	v_add_co_ci_u32_e64 v7, null, s12, v7, vcc_lo
	v_add_co_u32 v6, vcc_lo, v6, v4
	v_add_co_ci_u32_e64 v7, null, 0, v7, vcc_lo
	global_load_dwordx4 v[6:9], v[6:7], off
	s_waitcnt vmcnt(0)
	v_fma_mixlo_f16 v7, s10, v7, 0
	v_fma_mixlo_f16 v6, s10, v6, 0
	;; [unrolled: 1-line block ×4, first 2 shown]
	v_lshlrev_b32_e32 v7, 16, v7
	v_and_b32_e32 v6, 0xffff, v6
	v_and_b32_e32 v8, 0xffff, v8
	v_lshlrev_b32_e32 v9, 16, v9
	v_or_b32_e32 v7, v7, v6
	v_or3_b32 v6, v9, v8, 0
	v_or3_b32 v5, 0, 0, v7
	ds_write_b64 v10, v[5:6]
.LBB37_6:
	s_or_b32 exec_lo, exec_lo, s13
	v_or_b32_e32 v83, 3, v3
	s_and_saveexec_b32 s13, s0
	s_cbranch_execz .LBB37_8
; %bb.7:
	v_lshrrev_b32_e32 v5, 1, v83
	s_lshl_b64 s[2:3], s[2:3], 2
	v_mad_u32_u24 v8, 0xe0, v83, v85
	s_add_u32 s2, s11, s2
	s_addc_u32 s3, s12, s3
	v_add_nc_u32_e32 v5, s33, v5
	v_mul_hi_u32 v6, v5, s28
	v_add_nc_u32_e32 v6, v5, v6
	v_lshrrev_b32_e32 v6, s29, v6
	v_mul_lo_u32 v6, v6, s30
	v_sub_nc_u32_e32 v7, v5, v6
	v_mad_u64_u32 v[5:6], null, s8, v7, 0
	v_mad_u64_u32 v[6:7], null, s9, v7, v[6:7]
	v_lshlrev_b64 v[5:6], 2, v[5:6]
	v_add_co_u32 v5, vcc_lo, s2, v5
	v_add_co_ci_u32_e64 v6, null, s3, v6, vcc_lo
	v_add_co_u32 v4, vcc_lo, v5, v4
	v_add_co_ci_u32_e64 v5, null, 0, v6, vcc_lo
	global_load_dwordx4 v[4:7], v[4:5], off
	s_waitcnt vmcnt(0)
	v_fma_mixlo_f16 v5, s10, v5, 0
	v_fma_mixlo_f16 v4, s10, v4, 0
	;; [unrolled: 1-line block ×4, first 2 shown]
	v_lshlrev_b32_e32 v5, 16, v5
	v_and_b32_e32 v4, 0xffff, v4
	v_and_b32_e32 v6, 0xffff, v6
	v_lshlrev_b32_e32 v7, 16, v7
	v_or_b32_e32 v4, v5, v4
	v_or3_b32 v5, v7, v6, 0
	v_or3_b32 v4, 0, 0, v4
	ds_write_b64 v8, v[4:5]
.LBB37_8:
	s_or_b32 exec_lo, exec_lo, s13
	s_cmp_eq_u64 s[22:23], 0
	s_waitcnt lgkmcnt(0)
	s_barrier
	buffer_gl0_inv
	s_cbranch_scc1 .LBB37_10
; %bb.9:
	s_load_dword s2, s[4:5], 0xd0
	s_mov_b32 s3, 0
	s_waitcnt lgkmcnt(0)
	s_mul_i32 s2, s2, s35
	s_add_i32 s2, s2, s6
	s_lshl_b64 s[2:3], s[2:3], 2
	s_add_u32 s2, s22, s2
	s_addc_u32 s3, s23, s3
	s_load_dword s38, s[2:3], 0x0
.LBB37_10:
	v_mbcnt_lo_u32_b32 v88, -1, 0
	s_lshl_b32 s22, s34, 5
	s_waitcnt lgkmcnt(0)
	s_cmp_lt_i32 s22, s38
	s_cbranch_scc1 .LBB37_13
; %bb.11:
	v_mbcnt_lo_u32_b32 v6, -1, 0
	v_mov_b32_e32 v91, 32
	v_xor_b32_e32 v115, 16, v6
	v_xor_b32_e32 v116, 8, v6
	v_xor_b32_e32 v117, 4, v6
	v_xor_b32_e32 v118, 2, v6
	v_xor_b32_e32 v119, 1, v6
	s_cbranch_execz .LBB37_14
; %bb.12:
	v_mov_b32_e32 v94, 0
	v_mov_b32_e32 v120, 0
	;; [unrolled: 1-line block ×16, first 2 shown]
	s_branch .LBB37_42
.LBB37_13:
                                        ; implicit-def: $vgpr6
                                        ; implicit-def: $vgpr91
                                        ; implicit-def: $vgpr115
                                        ; implicit-def: $vgpr116
                                        ; implicit-def: $vgpr117
                                        ; implicit-def: $vgpr118
                                        ; implicit-def: $vgpr119
.LBB37_14:
	s_clause 0x1
	s_load_dwordx4 s[8:11], s[4:5], 0x98
	s_load_dwordx2 s[2:3], s[4:5], 0x8c
	s_sub_i32 s6, 0, s7
	v_add_nc_u32_e32 v10, 1, v2
	s_mul_i32 s6, s6, s39
	v_lshrrev_b32_e32 v5, 1, v0
	s_mul_hi_u32 s6, s39, s6
	v_mul_hi_u32 v7, s28, v2
	v_mul_hi_u32 v8, s28, v10
	s_abs_i32 s18, s36
	s_add_i32 s39, s39, s6
	s_ashr_i32 s6, s1, 1
	s_mul_hi_u32 s1, s18, s39
	s_ashr_i32 s39, s35, 31
	v_lshl_add_u32 v11, v1, 4, v5
	v_lshlrev_b32_e32 v5, 7, v0
	s_ashr_i32 s42, s37, 31
	s_ashr_i32 s19, s36, 31
	s_load_dwordx2 s[12:13], s[4:5], 0xa8
	s_mul_i32 s43, s1, s7
	s_waitcnt lgkmcnt(0)
	s_ashr_i32 s23, s10, 2
	s_ashr_i32 s37, s2, 2
	s_mul_hi_u32 s2, s8, s35
	s_mul_i32 s10, s8, s39
	s_mul_i32 s9, s9, s35
	s_add_i32 s2, s2, s10
	s_mul_i32 s8, s8, s35
	v_add_nc_u32_e32 v95, 0x1c00, v5
	v_add_nc_u32_e32 v97, 0x1c60, v5
	v_add_nc_u32_e32 v5, v2, v7
	v_add_nc_u32_e32 v7, v10, v8
	s_add_i32 s2, s2, s9
	s_add_u32 s8, s14, s8
	s_addc_u32 s2, s15, s2
	s_sub_i32 s10, s18, s43
	s_xor_b32 s9, s19, s42
	s_add_i32 s14, s1, 1
	s_sub_i32 s15, s10, s7
	v_lshrrev_b32_e32 v5, s29, v5
	v_lshrrev_b32_e32 v8, s29, v7
	s_cmp_ge_u32 s10, s7
	v_and_b32_e32 v15, 4, v70
	s_cselect_b32 s1, s14, s1
	s_cselect_b32 s10, s15, s10
	s_add_i32 s14, s1, 1
	v_mul_lo_u32 v13, v5, s30
	v_mul_lo_u32 v17, v8, s30
	s_cmp_ge_u32 s10, s7
	v_lshrrev_b32_e32 v6, 2, v0
	s_cselect_b32 s1, s14, s1
	v_lshlrev_b32_e32 v12, 2, v15
	s_xor_b32 s1, s1, s9
	s_mul_hi_u32 s7, s12, s35
	s_sub_i32 s1, s1, s9
	v_sub_nc_u32_e32 v2, v2, v13
	v_sub_nc_u32_e32 v13, v10, v17
	v_lshrrev_b32_e32 v17, 3, v0
	s_mul_i32 s3, s1, s3
	s_mul_i32 s10, s12, s39
	;; [unrolled: 1-line block ×3, first 2 shown]
	s_ashr_i32 s13, s3, 31
	v_and_b32_e32 v16, 12, v70
	s_add_u32 s39, s8, s3
	v_lshl_add_u32 v4, v1, 5, v0
	s_addc_u32 s42, s2, s13
	s_add_i32 s2, s7, s10
	v_lshl_add_u32 v6, v1, 3, v6
	v_lshl_or_b32 v9, v11, 7, v12
	v_mul_lo_u32 v101, v2, s6
	v_add_nc_u32_e32 v3, v17, v3
	v_mul_u32_u24_e32 v2, 0xe0, v11
	s_mul_i32 s12, s12, s35
	s_mul_i32 s1, s1, s11
	s_add_i32 s2, s2, s9
	s_add_u32 s3, s16, s12
	v_lshlrev_b32_e32 v14, 2, v16
	s_addc_u32 s8, s17, s2
	s_ashr_i32 s9, s1, 31
	s_add_u32 s17, s3, s1
	v_cmp_gt_u32_e32 vcc_lo, 32, v4
	v_cmp_gt_u32_e64 s1, 32, v11
	v_mul_lo_u32 v4, s37, v4
	v_mul_lo_u32 v7, s37, v11
	v_add_nc_u32_e32 v98, 0x1c40, v9
	v_mul_lo_u32 v9, s37, v6
	v_mul_lo_u32 v102, v13, s6
	v_cmp_gt_u32_e64 s3, 16, v11
	v_or_b32_e32 v12, v2, v12
	v_mul_lo_u32 v2, s23, v11
	v_mul_lo_u32 v11, s23, v6
	;; [unrolled: 1-line block ×3, first 2 shown]
	v_cmp_gt_u32_e64 s2, 32, v6
	v_lshl_or_b32 v18, v6, 7, v14
	v_cmp_gt_u32_e64 s6, 16, v6
	v_mul_u32_u24_e32 v6, 0xe0, v6
	v_and_b32_e32 v104, 28, v70
	v_ashrrev_i32_e32 v5, 31, v4
	v_ashrrev_i32_e32 v8, 31, v7
	;; [unrolled: 1-line block ×3, first 2 shown]
	v_cmp_gt_u32_e64 s7, 16, v3
	v_mul_u32_u24_e32 v17, 0xe0, v3
	v_add_nc_u32_e32 v105, 0x1cc0, v12
	v_ashrrev_i32_e32 v3, 31, v2
	v_add3_u32 v106, v6, v14, 0x1c80
	v_ashrrev_i32_e32 v12, 31, v11
	v_ashrrev_i32_e32 v14, 31, v13
	v_add_nc_u32_e32 v100, 0x1c00, v18
	v_lshlrev_b32_e32 v18, 2, v104
	v_lshlrev_b64 v[71:72], 2, v[4:5]
	v_lshlrev_b64 v[73:74], 2, v[7:8]
	;; [unrolled: 1-line block ×6, first 2 shown]
	v_mul_u32_u24_e32 v96, 0x380, v1
	v_mov_b32_e32 v86, 0
	v_lshl_add_u32 v103, v1, 8, 0x2c40
	v_add3_u32 v107, v17, v18, 0x1c00
	v_mov_b32_e32 v6, 0xfeffffff
	v_mov_b32_e32 v91, 32
	v_lshlrev_b32_e32 v108, 2, v15
	v_lshlrev_b32_e32 v109, 2, v16
	v_mov_b32_e32 v110, 0x10001
	v_mov_b32_e32 v87, 0
	;; [unrolled: 1-line block ×15, first 2 shown]
	s_addc_u32 s28, s8, s9
	s_add_u32 s18, s4, 0xd0
	s_addc_u32 s19, s5, 0
.LBB37_15:                              ; =>This Inner Loop Header: Depth=1
	s_mul_hi_i32 s9, s22, s37
	s_mul_i32 s8, s22, s37
	s_lshl_b64 s[10:11], s[8:9], 2
	s_add_u32 s9, s39, s10
	s_addc_u32 s10, s42, s11
	s_and_saveexec_b32 s11, vcc_lo
	s_cbranch_execnz .LBB37_33
; %bb.16:                               ;   in Loop: Header=BB37_15 Depth=1
	s_or_b32 exec_lo, exec_lo, s11
	s_and_saveexec_b32 s11, s1
	s_cbranch_execnz .LBB37_34
.LBB37_17:                              ;   in Loop: Header=BB37_15 Depth=1
	s_or_b32 exec_lo, exec_lo, s11
	s_and_saveexec_b32 s11, s2
	s_cbranch_execz .LBB37_19
.LBB37_18:                              ;   in Loop: Header=BB37_15 Depth=1
	v_add_co_u32 v2, s8, s9, v75
	v_add_co_ci_u32_e64 v3, null, s10, v76, s8
	v_add_co_u32 v2, s8, v2, v109
	v_add_co_ci_u32_e64 v3, null, 0, v3, s8
	global_load_dwordx4 v[2:5], v[2:3], off
	s_waitcnt vmcnt(0)
	ds_write_b128 v100, v[2:5]
.LBB37_19:                              ;   in Loop: Header=BB37_15 Depth=1
	s_or_b32 exec_lo, exec_lo, s11
	s_waitcnt lgkmcnt(0)
	s_barrier
	buffer_gl0_inv
	ds_read_b128 v[10:13], v95
	ds_read_b128 v[14:17], v96
	ds_read_b128 v[18:21], v96 offset:224
	ds_read_b128 v[22:25], v96 offset:448
	;; [unrolled: 1-line block ×3, first 2 shown]
	v_mov_b32_e32 v2, 0
	v_mov_b32_e32 v3, 0
	;; [unrolled: 1-line block ×4, first 2 shown]
	s_waitcnt lgkmcnt(3)
	;;#ASMSTART
	v_dot2_f32_f16 v2, v10, v14, v2
	;;#ASMEND
	;;#ASMSTART
	v_dot2_f32_f16 v2, v11, v15, v2
	;;#ASMEND
	;;#ASMSTART
	v_dot2_f32_f16 v2, v12, v16, v2
	;;#ASMEND
	;;#ASMSTART
	v_dot2_f32_f16 v2, v13, v17, v2
	;;#ASMEND
	s_waitcnt lgkmcnt(2)
	;;#ASMSTART
	v_dot2_f32_f16 v3, v10, v18, v3
	;;#ASMEND
	;;#ASMSTART
	v_dot2_f32_f16 v3, v11, v19, v3
	;;#ASMEND
	;;#ASMSTART
	v_dot2_f32_f16 v3, v12, v20, v3
	;;#ASMEND
	;;#ASMSTART
	v_dot2_f32_f16 v3, v13, v21, v3
	;;#ASMEND
	s_waitcnt lgkmcnt(1)
	;;#ASMSTART
	v_dot2_f32_f16 v4, v10, v22, v4
	;;#ASMEND
	;;#ASMSTART
	v_dot2_f32_f16 v4, v11, v23, v4
	;;#ASMEND
	;;#ASMSTART
	v_dot2_f32_f16 v4, v12, v24, v4
	;;#ASMEND
	;;#ASMSTART
	v_dot2_f32_f16 v4, v13, v25, v4
	;;#ASMEND
	s_waitcnt lgkmcnt(0)
	;;#ASMSTART
	v_dot2_f32_f16 v5, v10, v26, v5
	;;#ASMEND
	;;#ASMSTART
	v_dot2_f32_f16 v5, v11, v27, v5
	;;#ASMEND
	;;#ASMSTART
	v_dot2_f32_f16 v5, v12, v28, v5
	;;#ASMEND
	;;#ASMSTART
	v_dot2_f32_f16 v5, v13, v29, v5
	;;#ASMEND
	ds_read_b128 v[10:13], v95 offset:16
	ds_read_b128 v[14:17], v96 offset:16
	ds_read_b128 v[18:21], v96 offset:240
	ds_read_b128 v[22:25], v96 offset:464
	ds_read_b128 v[26:29], v96 offset:688
	s_waitcnt lgkmcnt(3)
	;;#ASMSTART
	v_dot2_f32_f16 v2, v10, v14, v2
	;;#ASMEND
	;;#ASMSTART
	v_dot2_f32_f16 v2, v11, v15, v2
	;;#ASMEND
	;;#ASMSTART
	v_dot2_f32_f16 v2, v12, v16, v2
	;;#ASMEND
	;;#ASMSTART
	v_dot2_f32_f16 v2, v13, v17, v2
	;;#ASMEND
	s_waitcnt lgkmcnt(2)
	;;#ASMSTART
	v_dot2_f32_f16 v3, v10, v18, v3
	;;#ASMEND
	;;#ASMSTART
	v_dot2_f32_f16 v3, v11, v19, v3
	;;#ASMEND
	;;#ASMSTART
	v_dot2_f32_f16 v3, v12, v20, v3
	;;#ASMEND
	;;#ASMSTART
	v_dot2_f32_f16 v3, v13, v21, v3
	;;#ASMEND
	s_waitcnt lgkmcnt(1)
	;;#ASMSTART
	v_dot2_f32_f16 v4, v10, v22, v4
	;;#ASMEND
	;;#ASMSTART
	v_dot2_f32_f16 v4, v11, v23, v4
	;;#ASMEND
	;;#ASMSTART
	v_dot2_f32_f16 v4, v12, v24, v4
	;;#ASMEND
	;;#ASMSTART
	v_dot2_f32_f16 v4, v13, v25, v4
	;;#ASMEND
	s_waitcnt lgkmcnt(0)
	;;#ASMSTART
	v_dot2_f32_f16 v5, v10, v26, v5
	;;#ASMEND
	;;#ASMSTART
	v_dot2_f32_f16 v5, v11, v27, v5
	;;#ASMEND
	;;#ASMSTART
	v_dot2_f32_f16 v5, v12, v28, v5
	;;#ASMEND
	;;#ASMSTART
	v_dot2_f32_f16 v5, v13, v29, v5
	;;#ASMEND
	ds_read_b128 v[10:13], v95 offset:32
	ds_read_b128 v[14:17], v96 offset:32
	ds_read_b128 v[18:21], v96 offset:256
	ds_read_b128 v[22:25], v96 offset:480
	ds_read_b128 v[26:29], v96 offset:704
	s_waitcnt lgkmcnt(3)
	;;#ASMSTART
	v_dot2_f32_f16 v2, v10, v14, v2
	;;#ASMEND
	;;#ASMSTART
	v_dot2_f32_f16 v2, v11, v15, v2
	;;#ASMEND
	;;#ASMSTART
	v_dot2_f32_f16 v2, v12, v16, v2
	;;#ASMEND
	;;#ASMSTART
	v_dot2_f32_f16 v2, v13, v17, v2
	;;#ASMEND
	s_waitcnt lgkmcnt(2)
	;;#ASMSTART
	v_dot2_f32_f16 v3, v10, v18, v3
	;;#ASMEND
	;;#ASMSTART
	v_dot2_f32_f16 v3, v11, v19, v3
	;;#ASMEND
	;;#ASMSTART
	v_dot2_f32_f16 v3, v12, v20, v3
	;;#ASMEND
	;;#ASMSTART
	v_dot2_f32_f16 v3, v13, v21, v3
	;;#ASMEND
	s_waitcnt lgkmcnt(1)
	;;#ASMSTART
	v_dot2_f32_f16 v4, v10, v22, v4
	;;#ASMEND
	;;#ASMSTART
	v_dot2_f32_f16 v4, v11, v23, v4
	;;#ASMEND
	;;#ASMSTART
	v_dot2_f32_f16 v4, v12, v24, v4
	;;#ASMEND
	;;#ASMSTART
	v_dot2_f32_f16 v4, v13, v25, v4
	;;#ASMEND
	s_waitcnt lgkmcnt(0)
	;;#ASMSTART
	v_dot2_f32_f16 v5, v10, v26, v5
	;;#ASMEND
	;;#ASMSTART
	v_dot2_f32_f16 v5, v11, v27, v5
	;;#ASMEND
	;;#ASMSTART
	v_dot2_f32_f16 v5, v12, v28, v5
	;;#ASMEND
	;;#ASMSTART
	v_dot2_f32_f16 v5, v13, v29, v5
	;;#ASMEND
	ds_read_b128 v[10:13], v95 offset:48
	ds_read_b128 v[14:17], v96 offset:48
	ds_read_b128 v[18:21], v96 offset:272
	ds_read_b128 v[22:25], v96 offset:496
	ds_read_b128 v[26:29], v96 offset:720
	s_waitcnt lgkmcnt(3)
	;;#ASMSTART
	v_dot2_f32_f16 v2, v10, v14, v2
	;;#ASMEND
	;;#ASMSTART
	v_dot2_f32_f16 v2, v11, v15, v2
	;;#ASMEND
	;;#ASMSTART
	v_dot2_f32_f16 v2, v12, v16, v2
	;;#ASMEND
	;;#ASMSTART
	v_dot2_f32_f16 v2, v13, v17, v2
	;;#ASMEND
	s_waitcnt lgkmcnt(2)
	;;#ASMSTART
	v_dot2_f32_f16 v3, v10, v18, v3
	;;#ASMEND
	;;#ASMSTART
	v_dot2_f32_f16 v3, v11, v19, v3
	;;#ASMEND
	;;#ASMSTART
	v_dot2_f32_f16 v3, v12, v20, v3
	;;#ASMEND
	;;#ASMSTART
	v_dot2_f32_f16 v3, v13, v21, v3
	;;#ASMEND
	s_waitcnt lgkmcnt(1)
	;;#ASMSTART
	v_dot2_f32_f16 v4, v10, v22, v4
	;;#ASMEND
	;;#ASMSTART
	v_dot2_f32_f16 v4, v11, v23, v4
	;;#ASMEND
	;;#ASMSTART
	v_dot2_f32_f16 v4, v12, v24, v4
	;;#ASMEND
	;;#ASMSTART
	v_dot2_f32_f16 v4, v13, v25, v4
	;;#ASMEND
	s_waitcnt lgkmcnt(0)
	;;#ASMSTART
	v_dot2_f32_f16 v5, v10, v26, v5
	;;#ASMEND
	;;#ASMSTART
	v_dot2_f32_f16 v5, v11, v27, v5
	;;#ASMEND
	;;#ASMSTART
	v_dot2_f32_f16 v5, v12, v28, v5
	;;#ASMEND
	;;#ASMSTART
	v_dot2_f32_f16 v5, v13, v29, v5
	;;#ASMEND
	ds_read_b128 v[10:13], v95 offset:64
	ds_read_b128 v[14:17], v96 offset:64
	ds_read_b128 v[18:21], v96 offset:288
	ds_read_b128 v[22:25], v96 offset:512
	ds_read_b128 v[26:29], v96 offset:736
	s_waitcnt lgkmcnt(3)
	;;#ASMSTART
	v_dot2_f32_f16 v2, v10, v14, v2
	;;#ASMEND
	;;#ASMSTART
	v_dot2_f32_f16 v2, v11, v15, v2
	;;#ASMEND
	;;#ASMSTART
	v_dot2_f32_f16 v2, v12, v16, v2
	;;#ASMEND
	;;#ASMSTART
	v_dot2_f32_f16 v2, v13, v17, v2
	;;#ASMEND
	s_waitcnt lgkmcnt(2)
	;;#ASMSTART
	v_dot2_f32_f16 v3, v10, v18, v3
	;;#ASMEND
	;;#ASMSTART
	v_dot2_f32_f16 v3, v11, v19, v3
	;;#ASMEND
	;;#ASMSTART
	v_dot2_f32_f16 v3, v12, v20, v3
	;;#ASMEND
	;;#ASMSTART
	v_dot2_f32_f16 v3, v13, v21, v3
	;;#ASMEND
	s_waitcnt lgkmcnt(1)
	;;#ASMSTART
	v_dot2_f32_f16 v4, v10, v22, v4
	;;#ASMEND
	;;#ASMSTART
	v_dot2_f32_f16 v4, v11, v23, v4
	;;#ASMEND
	;;#ASMSTART
	v_dot2_f32_f16 v4, v12, v24, v4
	;;#ASMEND
	;;#ASMSTART
	v_dot2_f32_f16 v4, v13, v25, v4
	;;#ASMEND
	s_waitcnt lgkmcnt(0)
	;;#ASMSTART
	v_dot2_f32_f16 v5, v10, v26, v5
	;;#ASMEND
	;;#ASMSTART
	v_dot2_f32_f16 v5, v11, v27, v5
	;;#ASMEND
	;;#ASMSTART
	v_dot2_f32_f16 v5, v12, v28, v5
	;;#ASMEND
	;;#ASMSTART
	v_dot2_f32_f16 v5, v13, v29, v5
	;;#ASMEND
	ds_read_b128 v[10:13], v95 offset:80
	ds_read_b128 v[14:17], v96 offset:80
	ds_read_b128 v[18:21], v96 offset:304
	ds_read_b128 v[22:25], v96 offset:528
	ds_read_b128 v[26:29], v96 offset:752
	s_waitcnt lgkmcnt(3)
	;;#ASMSTART
	v_dot2_f32_f16 v2, v10, v14, v2
	;;#ASMEND
	;;#ASMSTART
	v_dot2_f32_f16 v2, v11, v15, v2
	;;#ASMEND
	;;#ASMSTART
	v_dot2_f32_f16 v2, v12, v16, v2
	;;#ASMEND
	;;#ASMSTART
	v_dot2_f32_f16 v2, v13, v17, v2
	;;#ASMEND
	s_waitcnt lgkmcnt(2)
	;;#ASMSTART
	v_dot2_f32_f16 v3, v10, v18, v3
	;;#ASMEND
	;;#ASMSTART
	v_dot2_f32_f16 v3, v11, v19, v3
	;;#ASMEND
	;;#ASMSTART
	v_dot2_f32_f16 v3, v12, v20, v3
	;;#ASMEND
	;;#ASMSTART
	v_dot2_f32_f16 v3, v13, v21, v3
	;;#ASMEND
	s_waitcnt lgkmcnt(1)
	;;#ASMSTART
	v_dot2_f32_f16 v4, v10, v22, v4
	;;#ASMEND
	;;#ASMSTART
	v_dot2_f32_f16 v4, v11, v23, v4
	;;#ASMEND
	;;#ASMSTART
	v_dot2_f32_f16 v4, v12, v24, v4
	;;#ASMEND
	;;#ASMSTART
	v_dot2_f32_f16 v4, v13, v25, v4
	;;#ASMEND
	s_waitcnt lgkmcnt(0)
	;;#ASMSTART
	v_dot2_f32_f16 v5, v10, v26, v5
	;;#ASMEND
	;;#ASMSTART
	v_dot2_f32_f16 v5, v11, v27, v5
	;;#ASMEND
	;;#ASMSTART
	v_dot2_f32_f16 v5, v12, v28, v5
	;;#ASMEND
	;;#ASMSTART
	v_dot2_f32_f16 v5, v13, v29, v5
	;;#ASMEND
	ds_read_b128 v[10:13], v95 offset:96
	ds_read_b128 v[14:17], v96 offset:96
	ds_read_b128 v[18:21], v96 offset:320
	ds_read_b128 v[22:25], v96 offset:544
	ds_read_b128 v[26:29], v96 offset:768
	s_waitcnt lgkmcnt(3)
	;;#ASMSTART
	v_dot2_f32_f16 v2, v10, v14, v2
	;;#ASMEND
	;;#ASMSTART
	v_dot2_f32_f16 v2, v11, v15, v2
	;;#ASMEND
	;;#ASMSTART
	v_dot2_f32_f16 v2, v12, v16, v2
	;;#ASMEND
	;;#ASMSTART
	v_dot2_f32_f16 v2, v13, v17, v2
	;;#ASMEND
	s_waitcnt lgkmcnt(2)
	;;#ASMSTART
	v_dot2_f32_f16 v3, v10, v18, v3
	;;#ASMEND
	;;#ASMSTART
	v_dot2_f32_f16 v3, v11, v19, v3
	;;#ASMEND
	;;#ASMSTART
	v_dot2_f32_f16 v3, v12, v20, v3
	;;#ASMEND
	;;#ASMSTART
	v_dot2_f32_f16 v3, v13, v21, v3
	;;#ASMEND
	;; [unrolled: 13-line block ×4, first 2 shown]
	s_barrier
	buffer_gl0_inv
	s_and_saveexec_b32 s11, vcc_lo
	s_cbranch_execnz .LBB37_35
; %bb.20:                               ;   in Loop: Header=BB37_15 Depth=1
	s_or_b32 exec_lo, exec_lo, s11
	s_and_saveexec_b32 s11, s1
	s_cbranch_execnz .LBB37_36
.LBB37_21:                              ;   in Loop: Header=BB37_15 Depth=1
	s_or_b32 exec_lo, exec_lo, s11
	s_and_saveexec_b32 s11, s2
	s_cbranch_execz .LBB37_23
.LBB37_22:                              ;   in Loop: Header=BB37_15 Depth=1
	v_add_co_u32 v10, s8, s9, v75
	v_add_co_ci_u32_e64 v11, null, s10, v76, s8
	v_add_co_u32 v10, s8, v10, v109
	v_add_co_ci_u32_e64 v11, null, 0, v11, s8
	global_load_dwordx4 v[10:13], v[10:11], off offset:112
	s_waitcnt vmcnt(0)
	ds_write_b128 v100, v[10:13]
.LBB37_23:                              ;   in Loop: Header=BB37_15 Depth=1
	s_or_b32 exec_lo, exec_lo, s11
	s_waitcnt lgkmcnt(0)
	s_barrier
	buffer_gl0_inv
	ds_read_b128 v[10:13], v95
	ds_read_b128 v[14:17], v96 offset:112
	ds_read_b128 v[18:21], v96 offset:336
	;; [unrolled: 1-line block ×4, first 2 shown]
	v_add_nc_u32_e32 v31, s22, v0
	v_xor_b32_e32 v115, 16, v88
	v_xor_b32_e32 v116, 8, v88
	;; [unrolled: 1-line block ×4, first 2 shown]
	v_add_nc_u32_e32 v30, v31, v101
	v_add_nc_u32_e32 v32, v31, v102
	v_xor_b32_e32 v119, 1, v88
	s_mul_hi_i32 s45, s22, s23
	s_mul_i32 s44, s22, s23
	v_ashrrev_i32_e32 v31, 31, v30
	v_ashrrev_i32_e32 v33, 31, v32
	s_lshl_b64 s[44:45], s[44:45], 2
	s_waitcnt lgkmcnt(3)
	;;#ASMSTART
	v_dot2_f32_f16 v2, v10, v14, v2
	;;#ASMEND
	;;#ASMSTART
	v_dot2_f32_f16 v2, v11, v15, v2
	;;#ASMEND
	;;#ASMSTART
	v_dot2_f32_f16 v2, v12, v16, v2
	;;#ASMEND
	;;#ASMSTART
	v_dot2_f32_f16 v2, v13, v17, v2
	;;#ASMEND
	s_waitcnt lgkmcnt(2)
	;;#ASMSTART
	v_dot2_f32_f16 v3, v10, v18, v3
	;;#ASMEND
	;;#ASMSTART
	v_dot2_f32_f16 v3, v11, v19, v3
	;;#ASMEND
	;;#ASMSTART
	v_dot2_f32_f16 v3, v12, v20, v3
	;;#ASMEND
	;;#ASMSTART
	v_dot2_f32_f16 v3, v13, v21, v3
	;;#ASMEND
	;; [unrolled: 13-line block ×4, first 2 shown]
	ds_read_b128 v[10:13], v95 offset:16
	ds_read_b128 v[14:17], v96 offset:128
	;; [unrolled: 1-line block ×5, first 2 shown]
	v_lshlrev_b64 v[30:31], 1, v[30:31]
	v_lshlrev_b64 v[32:33], 1, v[32:33]
	s_add_u32 s29, s17, s44
	s_addc_u32 s43, s28, s45
	s_waitcnt lgkmcnt(3)
	;;#ASMSTART
	v_dot2_f32_f16 v2, v10, v14, v2
	;;#ASMEND
	;;#ASMSTART
	v_dot2_f32_f16 v2, v11, v15, v2
	;;#ASMEND
	;;#ASMSTART
	v_dot2_f32_f16 v2, v12, v16, v2
	;;#ASMEND
	;;#ASMSTART
	v_dot2_f32_f16 v2, v13, v17, v2
	;;#ASMEND
	s_waitcnt lgkmcnt(2)
	;;#ASMSTART
	v_dot2_f32_f16 v3, v10, v18, v3
	;;#ASMEND
	;;#ASMSTART
	v_dot2_f32_f16 v3, v11, v19, v3
	;;#ASMEND
	;;#ASMSTART
	v_dot2_f32_f16 v3, v12, v20, v3
	;;#ASMEND
	;;#ASMSTART
	v_dot2_f32_f16 v3, v13, v21, v3
	;;#ASMEND
	;; [unrolled: 13-line block ×4, first 2 shown]
	ds_read_b128 v[10:13], v95 offset:32
	ds_read_b128 v[14:17], v96 offset:144
	;; [unrolled: 1-line block ×5, first 2 shown]
	v_add_co_u32 v30, s8, s40, v30
	v_add_co_ci_u32_e64 v31, null, s41, v31, s8
	v_add_co_u32 v32, s8, s40, v32
	s_waitcnt lgkmcnt(3)
	;;#ASMSTART
	v_dot2_f32_f16 v2, v10, v14, v2
	;;#ASMEND
	;;#ASMSTART
	v_dot2_f32_f16 v2, v11, v15, v2
	;;#ASMEND
	;;#ASMSTART
	v_dot2_f32_f16 v2, v12, v16, v2
	;;#ASMEND
	;;#ASMSTART
	v_dot2_f32_f16 v2, v13, v17, v2
	;;#ASMEND
	s_waitcnt lgkmcnt(2)
	;;#ASMSTART
	v_dot2_f32_f16 v3, v10, v18, v3
	;;#ASMEND
	;;#ASMSTART
	v_dot2_f32_f16 v3, v11, v19, v3
	;;#ASMEND
	;;#ASMSTART
	v_dot2_f32_f16 v3, v12, v20, v3
	;;#ASMEND
	;;#ASMSTART
	v_dot2_f32_f16 v3, v13, v21, v3
	;;#ASMEND
	;; [unrolled: 13-line block ×4, first 2 shown]
	ds_read_b128 v[10:13], v95 offset:48
	ds_read_b128 v[14:17], v96 offset:160
	;; [unrolled: 1-line block ×5, first 2 shown]
	v_add_co_ci_u32_e64 v33, null, s41, v33, s8
	s_waitcnt lgkmcnt(3)
	;;#ASMSTART
	v_dot2_f32_f16 v2, v10, v14, v2
	;;#ASMEND
	;;#ASMSTART
	v_dot2_f32_f16 v2, v11, v15, v2
	;;#ASMEND
	;;#ASMSTART
	v_dot2_f32_f16 v2, v12, v16, v2
	;;#ASMEND
	;;#ASMSTART
	v_dot2_f32_f16 v2, v13, v17, v2
	;;#ASMEND
	s_waitcnt lgkmcnt(2)
	;;#ASMSTART
	v_dot2_f32_f16 v3, v10, v18, v3
	;;#ASMEND
	;;#ASMSTART
	v_dot2_f32_f16 v3, v11, v19, v3
	;;#ASMEND
	;;#ASMSTART
	v_dot2_f32_f16 v3, v12, v20, v3
	;;#ASMEND
	;;#ASMSTART
	v_dot2_f32_f16 v3, v13, v21, v3
	;;#ASMEND
	s_waitcnt lgkmcnt(1)
	;;#ASMSTART
	v_dot2_f32_f16 v4, v10, v22, v4
	;;#ASMEND
	;;#ASMSTART
	v_dot2_f32_f16 v4, v11, v23, v4
	;;#ASMEND
	;;#ASMSTART
	v_dot2_f32_f16 v4, v12, v24, v4
	;;#ASMEND
	;;#ASMSTART
	v_dot2_f32_f16 v4, v13, v25, v4
	;;#ASMEND
	s_waitcnt lgkmcnt(0)
	;;#ASMSTART
	v_dot2_f32_f16 v5, v10, v26, v5
	;;#ASMEND
	;;#ASMSTART
	v_dot2_f32_f16 v5, v11, v27, v5
	;;#ASMEND
	;;#ASMSTART
	v_dot2_f32_f16 v5, v12, v28, v5
	;;#ASMEND
	;;#ASMSTART
	v_dot2_f32_f16 v5, v13, v29, v5
	;;#ASMEND
	ds_read_b128 v[10:13], v95 offset:64
	ds_read_b128 v[14:17], v96 offset:176
	ds_read_b128 v[18:21], v96 offset:400
	ds_read_b128 v[22:25], v96 offset:624
	ds_read_b128 v[26:29], v96 offset:848
	s_waitcnt lgkmcnt(3)
	;;#ASMSTART
	v_dot2_f32_f16 v2, v10, v14, v2
	;;#ASMEND
	;;#ASMSTART
	v_dot2_f32_f16 v2, v11, v15, v2
	;;#ASMEND
	;;#ASMSTART
	v_dot2_f32_f16 v2, v12, v16, v2
	;;#ASMEND
	;;#ASMSTART
	v_dot2_f32_f16 v2, v13, v17, v2
	;;#ASMEND
	s_waitcnt lgkmcnt(2)
	;;#ASMSTART
	v_dot2_f32_f16 v3, v10, v18, v3
	;;#ASMEND
	;;#ASMSTART
	v_dot2_f32_f16 v3, v11, v19, v3
	;;#ASMEND
	;;#ASMSTART
	v_dot2_f32_f16 v3, v12, v20, v3
	;;#ASMEND
	;;#ASMSTART
	v_dot2_f32_f16 v3, v13, v21, v3
	;;#ASMEND
	s_waitcnt lgkmcnt(1)
	;;#ASMSTART
	v_dot2_f32_f16 v4, v10, v22, v4
	;;#ASMEND
	;;#ASMSTART
	v_dot2_f32_f16 v4, v11, v23, v4
	;;#ASMEND
	;;#ASMSTART
	v_dot2_f32_f16 v4, v12, v24, v4
	;;#ASMEND
	;;#ASMSTART
	v_dot2_f32_f16 v4, v13, v25, v4
	;;#ASMEND
	s_waitcnt lgkmcnt(0)
	;;#ASMSTART
	v_dot2_f32_f16 v5, v10, v26, v5
	;;#ASMEND
	;;#ASMSTART
	v_dot2_f32_f16 v5, v11, v27, v5
	;;#ASMEND
	;;#ASMSTART
	v_dot2_f32_f16 v5, v12, v28, v5
	;;#ASMEND
	;;#ASMSTART
	v_dot2_f32_f16 v5, v13, v29, v5
	;;#ASMEND
	ds_read_b128 v[10:13], v95 offset:80
	ds_read_b128 v[14:17], v96 offset:192
	ds_read_b128 v[18:21], v96 offset:416
	ds_read_b128 v[22:25], v96 offset:640
	ds_read_b128 v[26:29], v96 offset:864
	;; [unrolled: 57-line block ×3, first 2 shown]
	s_waitcnt lgkmcnt(3)
	;;#ASMSTART
	v_dot2_f32_f16 v2, v10, v14, v2
	;;#ASMEND
	;;#ASMSTART
	v_dot2_f32_f16 v2, v11, v15, v2
	;;#ASMEND
	;;#ASMSTART
	v_dot2_f32_f16 v2, v12, v16, v2
	;;#ASMEND
	;;#ASMSTART
	v_dot2_f32_f16 v2, v13, v17, v2
	;;#ASMEND
	s_waitcnt lgkmcnt(2)
	;;#ASMSTART
	v_dot2_f32_f16 v3, v10, v18, v3
	;;#ASMEND
	;;#ASMSTART
	v_dot2_f32_f16 v3, v11, v19, v3
	;;#ASMEND
	;;#ASMSTART
	v_dot2_f32_f16 v3, v12, v20, v3
	;;#ASMEND
	;;#ASMSTART
	v_dot2_f32_f16 v3, v13, v21, v3
	;;#ASMEND
	;; [unrolled: 13-line block ×4, first 2 shown]
	s_clause 0x1
	global_load_ushort v10, v[30:31], off
	global_load_ushort v11, v[32:33], off
	v_cmp_gt_i32_e64 s8, 32, v115
	v_max_f32_e32 v12, v6, v6
	v_max_f32_e32 v13, v8, v8
	;; [unrolled: 1-line block ×4, first 2 shown]
	s_waitcnt vmcnt(0)
	s_barrier
	buffer_gl0_inv
	v_cvt_f32_f16_e32 v10, v10
	v_cvt_f32_f16_e32 v11, v11
	v_add_f32_e32 v16, v2, v10
	v_cndmask_b32_e64 v2, v88, v115, s8
	v_add_f32_e32 v10, v3, v10
	v_add_f32_e32 v17, v4, v11
	;; [unrolled: 1-line block ×4, first 2 shown]
	v_lshlrev_b32_e32 v2, 2, v2
	v_add_f32_e32 v4, 0x40051340, v10
	v_add_f32_e32 v5, 0x40051340, v17
	;; [unrolled: 1-line block ×3, first 2 shown]
	v_max_f32_e32 v3, v12, v3
	v_cmp_gt_i32_e64 s8, 32, v116
	v_max_f32_e32 v4, v13, v4
	v_max_f32_e32 v5, v14, v5
	;; [unrolled: 1-line block ×3, first 2 shown]
	ds_bpermute_b32 v13, v2, v3
	v_cndmask_b32_e64 v18, v88, v116, s8
	ds_bpermute_b32 v14, v2, v4
	ds_bpermute_b32 v15, v2, v5
	;; [unrolled: 1-line block ×3, first 2 shown]
	v_cmp_gt_i32_e64 s8, 32, v117
	v_lshlrev_b32_e32 v18, 2, v18
	s_waitcnt lgkmcnt(3)
	v_max_f32_e32 v13, v13, v13
	s_waitcnt lgkmcnt(2)
	v_max_f32_e32 v14, v14, v14
	s_waitcnt lgkmcnt(1)
	v_max_f32_e32 v15, v15, v15
	s_waitcnt lgkmcnt(0)
	v_max_f32_e32 v2, v2, v2
	v_max_f32_e32 v3, v3, v13
	v_max_f32_e32 v4, v4, v14
	v_max_f32_e32 v5, v5, v15
	v_max_f32_e32 v2, v12, v2
	ds_bpermute_b32 v12, v18, v3
	ds_bpermute_b32 v13, v18, v4
	ds_bpermute_b32 v14, v18, v5
	ds_bpermute_b32 v15, v18, v2
	v_cndmask_b32_e64 v18, v88, v117, s8
	v_cmp_gt_i32_e64 s8, 32, v118
	v_lshlrev_b32_e32 v18, 2, v18
	s_waitcnt lgkmcnt(3)
	v_max_f32_e32 v12, v12, v12
	s_waitcnt lgkmcnt(2)
	v_max_f32_e32 v13, v13, v13
	s_waitcnt lgkmcnt(1)
	v_max_f32_e32 v14, v14, v14
	s_waitcnt lgkmcnt(0)
	v_max_f32_e32 v15, v15, v15
	v_max_f32_e32 v3, v3, v12
	v_max_f32_e32 v4, v4, v13
	v_max_f32_e32 v5, v5, v14
	v_max_f32_e32 v2, v2, v15
	ds_bpermute_b32 v12, v18, v3
	ds_bpermute_b32 v13, v18, v4
	ds_bpermute_b32 v14, v18, v5
	ds_bpermute_b32 v15, v18, v2
	v_cndmask_b32_e64 v18, v88, v118, s8
	;; [unrolled: 19-line block ×3, first 2 shown]
	v_lshlrev_b32_e32 v18, 2, v18
	s_waitcnt lgkmcnt(3)
	v_max_f32_e32 v12, v12, v12
	s_waitcnt lgkmcnt(2)
	v_max_f32_e32 v13, v13, v13
	;; [unrolled: 2-line block ×4, first 2 shown]
	v_max_f32_e32 v3, v3, v12
	v_max_f32_e32 v4, v4, v13
	;; [unrolled: 1-line block ×4, first 2 shown]
	ds_bpermute_b32 v2, v18, v3
	ds_bpermute_b32 v13, v18, v4
	;; [unrolled: 1-line block ×4, first 2 shown]
	v_add_nc_u32_e32 v18, v103, v85
	s_waitcnt lgkmcnt(3)
	v_max_f32_e32 v2, v2, v2
	s_waitcnt lgkmcnt(2)
	v_max_f32_e32 v13, v13, v13
	;; [unrolled: 2-line block ×4, first 2 shown]
	v_max_f32_e32 v2, v3, v2
	v_max_f32_e32 v3, v4, v13
	v_max_f32_e32 v4, v5, v14
	v_max_f32_e32 v5, v12, v15
	v_sub_f32_e32 v130, v6, v2
	v_sub_f32_e32 v6, v16, v2
	v_sub_f32_e32 v131, v8, v3
	v_sub_f32_e32 v8, v10, v3
	v_sub_f32_e32 v10, v11, v5
	v_sub_f32_e32 v128, v9, v4
	v_mul_f32_e32 v11, 0x3fb8aa3b, v6
	v_sub_f32_e32 v9, v17, v4
	v_sub_f32_e32 v129, v7, v5
	v_mul_f32_e32 v7, 0x3fb8aa3b, v8
	v_mul_f32_e32 v13, 0x3fb8aa3b, v10
	v_fma_f32 v14, 0x3fb8aa3b, v6, -v11
	v_rndne_f32_e32 v15, v11
	v_mul_f32_e32 v12, 0x3fb8aa3b, v9
	v_fma_f32 v16, 0x3fb8aa3b, v8, -v7
	v_rndne_f32_e32 v17, v7
	v_fmac_f32_e32 v14, 0x32a5705f, v6
	v_sub_f32_e32 v11, v11, v15
	v_fma_f32 v19, 0x3fb8aa3b, v9, -v12
	v_rndne_f32_e32 v20, v12
	v_fmac_f32_e32 v16, 0x32a5705f, v8
	v_sub_f32_e32 v7, v7, v17
	v_add_f32_e32 v11, v11, v14
	v_fma_f32 v21, 0x3fb8aa3b, v10, -v13
	v_rndne_f32_e32 v22, v13
	v_fmac_f32_e32 v19, 0x32a5705f, v9
	v_sub_f32_e32 v12, v12, v20
	v_add_f32_e32 v7, v7, v16
	v_exp_f32_e32 v11, v11
	v_fmac_f32_e32 v21, 0x32a5705f, v10
	v_sub_f32_e32 v13, v13, v22
	v_add_f32_e32 v12, v12, v19
	v_exp_f32_e32 v7, v7
	v_cvt_i32_f32_e32 v14, v15
	v_cvt_i32_f32_e32 v15, v17
	v_add_f32_e32 v13, v13, v21
	v_exp_f32_e32 v12, v12
	v_cmp_ngt_f32_e64 s12, 0xc2ce8ed0, v6
	v_ldexp_f32 v11, v11, v14
	v_cvt_i32_f32_e32 v16, v20
	v_exp_f32_e32 v13, v13
	v_cvt_i32_f32_e32 v17, v22
	v_ldexp_f32 v7, v7, v15
	v_cndmask_b32_e64 v11, 0, v11, s12
	v_cmp_ngt_f32_e64 s12, 0xc2ce8ed0, v8
	v_cmp_ngt_f32_e64 s8, 0xc2ce8ed0, v130
	v_ldexp_f32 v12, v12, v16
	v_cmp_nlt_f32_e64 s9, 0x42b17218, v130
	v_cmp_ngt_f32_e64 s10, 0xc2ce8ed0, v131
	v_cndmask_b32_e64 v7, 0, v7, s12
	v_cmp_ngt_f32_e64 s12, 0xc2ce8ed0, v9
	v_ldexp_f32 v13, v13, v17
	v_cmp_nlt_f32_e64 s11, 0x42b17218, v131
	v_cmp_nlt_f32_e64 s13, 0x42b17218, v128
	v_cmp_ngt_f32_e64 s15, 0xc2ce8ed0, v129
	v_cndmask_b32_e64 v12, 0, v12, s12
	v_cmp_ngt_f32_e64 s12, 0xc2ce8ed0, v10
	v_cmp_nlt_f32_e64 s14, 0x42b17218, v129
	v_cndmask_b32_e64 v13, 0, v13, s12
	v_cmp_nlt_f32_e64 s12, 0x42b17218, v6
	v_cndmask_b32_e64 v122, 0x7f800000, v11, s12
	v_cmp_nlt_f32_e64 s12, 0x42b17218, v9
	v_cvt_f16_f32_e32 v6, v122
	v_cndmask_b32_e64 v121, 0x7f800000, v12, s12
	v_cmp_nlt_f32_e64 s12, 0x42b17218, v10
	v_cndmask_b32_e64 v120, 0x7f800000, v13, s12
	v_cmp_nlt_f32_e64 s12, 0x42b17218, v8
	v_cvt_f16_f32_e32 v8, v120
	v_cndmask_b32_e64 v123, 0x7f800000, v7, s12
	v_cvt_f16_f32_e32 v7, v121
	v_cmp_ngt_f32_e64 s12, 0xc2ce8ed0, v128
	v_cvt_f16_f32_e32 v9, v123
	v_pack_b32_f16 v7, v7, v8
	v_pack_b32_f16 v6, v6, v9
	ds_write_b64 v18, v[6:7]
	s_and_saveexec_b32 s44, s3
	s_cbranch_execnz .LBB37_37
; %bb.24:                               ;   in Loop: Header=BB37_15 Depth=1
	s_or_b32 exec_lo, exec_lo, s44
	s_and_saveexec_b32 s44, s6
	s_cbranch_execnz .LBB37_38
.LBB37_25:                              ;   in Loop: Header=BB37_15 Depth=1
	s_or_b32 exec_lo, exec_lo, s44
	v_lshlrev_b32_e32 v132, 2, v104
	s_and_saveexec_b32 s44, s7
	s_cbranch_execz .LBB37_27
.LBB37_26:                              ;   in Loop: Header=BB37_15 Depth=1
	v_add_co_u32 v6, s16, s29, v81
	v_add_co_ci_u32_e64 v7, null, s43, v82, s16
	v_add_co_u32 v6, s16, v6, v132
	v_add_co_ci_u32_e64 v7, null, 0, v7, s16
	global_load_dwordx4 v[6:9], v[6:7], off
	s_waitcnt vmcnt(0)
	ds_write_b128 v107, v[6:9]
.LBB37_27:                              ;   in Loop: Header=BB37_15 Depth=1
	s_or_b32 exec_lo, exec_lo, s44
	v_add_nc_u32_e32 v127, 0x1800, v85
	v_add_nc_u32_e32 v125, 0x2000, v85
	;; [unrolled: 1-line block ×4, first 2 shown]
	s_waitcnt lgkmcnt(0)
	s_barrier
	buffer_gl0_inv
	ds_read2_b64 v[30:33], v127 offset0:128 offset1:156
	ds_read_b128 v[62:65], v103
	ds_read_b128 v[50:53], v103 offset:16
	ds_read_b128 v[58:61], v103 offset:32
	;; [unrolled: 1-line block ×3, first 2 shown]
	ds_read2_b64 v[34:37], v127 offset0:184 offset1:212
	ds_read2_b64 v[26:29], v126 offset0:112 offset1:140
	;; [unrolled: 1-line block ×5, first 2 shown]
	ds_read_b128 v[66:69], v103 offset:64
	ds_read_b128 v[54:57], v103 offset:80
	ds_read2_b64 v[10:13], v125 offset0:208 offset1:236
	ds_read2_b64 v[6:9], v124 offset0:8 offset1:36
	ds_read_b128 v[46:49], v103 offset:96
	ds_read_b128 v[38:41], v103 offset:112
	s_or_b32 s16, s22, 16
	s_waitcnt lgkmcnt(0)
	s_mul_hi_i32 s45, s16, s23
	s_mul_i32 s44, s16, s23
	s_barrier
	s_lshl_b64 s[44:45], s[44:45], 2
	buffer_gl0_inv
	s_add_u32 s29, s17, s44
	s_addc_u32 s43, s28, s45
	s_and_saveexec_b32 s44, s3
	s_cbranch_execnz .LBB37_39
; %bb.28:                               ;   in Loop: Header=BB37_15 Depth=1
	s_or_b32 exec_lo, exec_lo, s44
	s_and_saveexec_b32 s44, s6
	s_cbranch_execnz .LBB37_40
.LBB37_29:                              ;   in Loop: Header=BB37_15 Depth=1
	s_or_b32 exec_lo, exec_lo, s44
	s_and_saveexec_b32 s44, s7
	s_cbranch_execz .LBB37_31
.LBB37_30:                              ;   in Loop: Header=BB37_15 Depth=1
	v_add_co_u32 v133, s16, s29, v81
	v_add_co_ci_u32_e64 v134, null, s43, v82, s16
	v_add_co_u32 v132, s16, v133, v132
	v_add_co_ci_u32_e64 v133, null, 0, v134, s16
	global_load_dwordx4 v[132:135], v[132:133], off
	s_waitcnt vmcnt(0)
	ds_write_b128 v107, v[132:135]
.LBB37_31:                              ;   in Loop: Header=BB37_15 Depth=1
	s_or_b32 exec_lo, exec_lo, s44
	v_mul_f32_e32 v132, 0x3fb8aa3b, v130
	v_mul_f32_e32 v133, 0x3fb8aa3b, v131
	;; [unrolled: 1-line block ×4, first 2 shown]
	v_mul_u32_u24_sdwa v142, v44, v110 dst_sel:DWORD dst_unused:UNUSED_PAD src0_sel:WORD_0 src1_sel:DWORD
	v_fma_f32 v135, 0x3fb8aa3b, v130, -v132
	v_rndne_f32_e32 v136, v132
	v_fma_f32 v137, 0x3fb8aa3b, v131, -v133
	v_rndne_f32_e32 v139, v133
	v_fma_f32 v140, 0x3fb8aa3b, v129, -v138
	v_fmac_f32_e32 v135, 0x32a5705f, v130
	v_sub_f32_e32 v130, v132, v136
	v_fmac_f32_e32 v137, 0x32a5705f, v131
	v_fma_f32 v131, 0x3fb8aa3b, v128, -v134
	v_rndne_f32_e32 v132, v134
	v_rndne_f32_e32 v141, v138
	v_sub_f32_e32 v133, v133, v139
	v_fmac_f32_e32 v140, 0x32a5705f, v129
	v_fmac_f32_e32 v131, 0x32a5705f, v128
	v_sub_f32_e32 v128, v134, v132
	v_sub_f32_e32 v129, v138, v141
	v_add_f32_e32 v130, v130, v135
	v_add_f32_e32 v133, v133, v137
	v_cvt_i32_f32_e32 v134, v139
	v_add_f32_e32 v128, v128, v131
	v_add_f32_e32 v129, v129, v140
	v_exp_f32_e32 v130, v130
	v_exp_f32_e32 v131, v133
	v_cvt_i32_f32_e32 v133, v136
	v_exp_f32_e32 v128, v128
	v_exp_f32_e32 v129, v129
	v_cvt_i32_f32_e32 v132, v132
	v_cvt_i32_f32_e32 v135, v141
	v_mul_u32_u24_sdwa v136, v58, v110 dst_sel:DWORD dst_unused:UNUSED_PAD src0_sel:WORD_0 src1_sel:DWORD
	v_mul_u32_u24_sdwa v58, v58, v110 dst_sel:DWORD dst_unused:UNUSED_PAD src0_sel:WORD_1 src1_sel:DWORD
	v_mul_u32_u24_sdwa v137, v59, v110 dst_sel:DWORD dst_unused:UNUSED_PAD src0_sel:WORD_0 src1_sel:DWORD
	v_ldexp_f32 v130, v130, v133
	v_ldexp_f32 v131, v131, v134
	v_mul_u32_u24_sdwa v133, v51, v110 dst_sel:DWORD dst_unused:UNUSED_PAD src0_sel:WORD_0 src1_sel:DWORD
	v_ldexp_f32 v128, v128, v132
	v_ldexp_f32 v129, v129, v135
	v_cndmask_b32_e64 v130, 0, v130, s8
	v_cndmask_b32_e64 v131, 0, v131, s10
	v_mul_u32_u24_sdwa v132, v50, v110 dst_sel:DWORD dst_unused:UNUSED_PAD src0_sel:WORD_0 src1_sel:DWORD
	v_cndmask_b32_e64 v128, 0, v128, s12
	v_cndmask_b32_e64 v129, 0, v129, s15
	v_cndmask_b32_e64 v130, 0x7f800000, v130, s9
	v_cndmask_b32_e64 v131, 0x7f800000, v131, s11
	v_mul_u32_u24_sdwa v50, v50, v110 dst_sel:DWORD dst_unused:UNUSED_PAD src0_sel:WORD_1 src1_sel:DWORD
	v_cndmask_b32_e64 v128, 0x7f800000, v128, s13
	v_cndmask_b32_e64 v129, 0x7f800000, v129, s14
	v_fmac_f32_e32 v122, v112, v130
	v_fmac_f32_e32 v123, v113, v131
	v_cvt_f16_f32_e32 v112, v130
	v_fmac_f32_e32 v121, v114, v128
	v_cvt_f16_f32_e32 v113, v131
	v_cvt_f16_f32_e32 v114, v128
	;; [unrolled: 1-line block ×3, first 2 shown]
	v_fmac_f32_e32 v120, v111, v129
	v_mul_u32_u24_sdwa v111, v112, v110 dst_sel:DWORD dst_unused:UNUSED_PAD src0_sel:WORD_0 src1_sel:DWORD
	v_mul_u32_u24_sdwa v112, v113, v110 dst_sel:DWORD dst_unused:UNUSED_PAD src0_sel:WORD_0 src1_sel:DWORD
	v_mul_u32_u24_sdwa v113, v114, v110 dst_sel:DWORD dst_unused:UNUSED_PAD src0_sel:WORD_0 src1_sel:DWORD
	v_mul_u32_u24_sdwa v114, v128, v110 dst_sel:DWORD dst_unused:UNUSED_PAD src0_sel:WORD_0 src1_sel:DWORD
	v_mul_u32_u24_sdwa v128, v62, v110 dst_sel:DWORD dst_unused:UNUSED_PAD src0_sel:WORD_0 src1_sel:DWORD
	v_mul_u32_u24_sdwa v62, v62, v110 dst_sel:DWORD dst_unused:UNUSED_PAD src0_sel:WORD_1 src1_sel:DWORD
	v_mul_u32_u24_sdwa v129, v63, v110 dst_sel:DWORD dst_unused:UNUSED_PAD src0_sel:WORD_0 src1_sel:DWORD
	v_mul_u32_u24_sdwa v63, v63, v110 dst_sel:DWORD dst_unused:UNUSED_PAD src0_sel:WORD_1 src1_sel:DWORD
	v_pk_mul_f16 v99, v99, v111
	v_pk_mul_f16 v93, v93, v112
	;; [unrolled: 1-line block ×6, first 2 shown]
	v_mul_u32_u24_sdwa v130, v64, v110 dst_sel:DWORD dst_unused:UNUSED_PAD src0_sel:WORD_0 src1_sel:DWORD
	v_mul_u32_u24_sdwa v64, v64, v110 dst_sel:DWORD dst_unused:UNUSED_PAD src0_sel:WORD_1 src1_sel:DWORD
	v_mul_u32_u24_sdwa v131, v65, v110 dst_sel:DWORD dst_unused:UNUSED_PAD src0_sel:WORD_0 src1_sel:DWORD
	v_mul_u32_u24_sdwa v65, v65, v110 dst_sel:DWORD dst_unused:UNUSED_PAD src0_sel:WORD_1 src1_sel:DWORD
	v_pk_mul_f16 v90, v90, v113
	v_pk_mul_f16 v86, v86, v114
	v_pk_fma_f16 v94, v94, v111, v160
	v_pk_fma_f16 v92, v92, v112, v161
	;; [unrolled: 1-line block ×6, first 2 shown]
	v_mul_u32_u24_sdwa v51, v51, v110 dst_sel:DWORD dst_unused:UNUSED_PAD src0_sel:WORD_1 src1_sel:DWORD
	v_pk_fma_f16 v90, v31, v129, v90
	v_pk_fma_f16 v31, v31, v63, v86
	;; [unrolled: 1-line block ×8, first 2 shown]
	v_mul_u32_u24_sdwa v134, v52, v110 dst_sel:DWORD dst_unused:UNUSED_PAD src0_sel:WORD_0 src1_sel:DWORD
	v_mul_u32_u24_sdwa v52, v52, v110 dst_sel:DWORD dst_unused:UNUSED_PAD src0_sel:WORD_1 src1_sel:DWORD
	v_mul_u32_u24_sdwa v135, v53, v110 dst_sel:DWORD dst_unused:UNUSED_PAD src0_sel:WORD_0 src1_sel:DWORD
	v_mul_u32_u24_sdwa v53, v53, v110 dst_sel:DWORD dst_unused:UNUSED_PAD src0_sel:WORD_1 src1_sel:DWORD
	v_pk_fma_f16 v64, v33, v131, v90
	v_pk_fma_f16 v31, v33, v65, v31
	;; [unrolled: 1-line block ×8, first 2 shown]
	v_mul_u32_u24_sdwa v59, v59, v110 dst_sel:DWORD dst_unused:UNUSED_PAD src0_sel:WORD_1 src1_sel:DWORD
	v_pk_fma_f16 v50, v35, v133, v64
	v_pk_fma_f16 v31, v35, v51, v31
	;; [unrolled: 1-line block ×8, first 2 shown]
	v_mul_u32_u24_sdwa v138, v60, v110 dst_sel:DWORD dst_unused:UNUSED_PAD src0_sel:WORD_0 src1_sel:DWORD
	v_mul_u32_u24_sdwa v60, v60, v110 dst_sel:DWORD dst_unused:UNUSED_PAD src0_sel:WORD_1 src1_sel:DWORD
	v_mul_u32_u24_sdwa v139, v61, v110 dst_sel:DWORD dst_unused:UNUSED_PAD src0_sel:WORD_0 src1_sel:DWORD
	v_mul_u32_u24_sdwa v61, v61, v110 dst_sel:DWORD dst_unused:UNUSED_PAD src0_sel:WORD_1 src1_sel:DWORD
	v_pk_fma_f16 v36, v37, v135, v50
	v_pk_fma_f16 v31, v37, v53, v31
	;; [unrolled: 1-line block ×8, first 2 shown]
	v_mul_u32_u24_sdwa v140, v42, v110 dst_sel:DWORD dst_unused:UNUSED_PAD src0_sel:WORD_0 src1_sel:DWORD
	v_mul_u32_u24_sdwa v42, v42, v110 dst_sel:DWORD dst_unused:UNUSED_PAD src0_sel:WORD_1 src1_sel:DWORD
	v_mul_u32_u24_sdwa v141, v43, v110 dst_sel:DWORD dst_unused:UNUSED_PAD src0_sel:WORD_0 src1_sel:DWORD
	v_mul_u32_u24_sdwa v43, v43, v110 dst_sel:DWORD dst_unused:UNUSED_PAD src0_sel:WORD_1 src1_sel:DWORD
	v_pk_fma_f16 v34, v27, v137, v36
	v_pk_fma_f16 v27, v27, v59, v31
	v_pk_fma_f16 v31, v28, v138, v33
	v_pk_fma_f16 v33, v28, v60, v35
	v_pk_fma_f16 v35, v28, v139, v37
	v_pk_fma_f16 v26, v28, v61, v26
	v_pk_fma_f16 v28, v29, v138, v30
	v_pk_fma_f16 v30, v29, v60, v32
	v_mul_u32_u24_sdwa v44, v44, v110 dst_sel:DWORD dst_unused:UNUSED_PAD src0_sel:WORD_1 src1_sel:DWORD
	v_mul_u32_u24_sdwa v143, v45, v110 dst_sel:DWORD dst_unused:UNUSED_PAD src0_sel:WORD_0 src1_sel:DWORD
	v_mul_u32_u24_sdwa v45, v45, v110 dst_sel:DWORD dst_unused:UNUSED_PAD src0_sel:WORD_1 src1_sel:DWORD
	v_pk_fma_f16 v32, v29, v139, v34
	v_pk_fma_f16 v27, v29, v61, v27
	v_pk_fma_f16 v29, v22, v140, v31
	v_pk_fma_f16 v31, v22, v42, v33
	v_pk_fma_f16 v33, v22, v141, v35
	v_pk_fma_f16 v22, v22, v43, v26
	v_pk_fma_f16 v26, v23, v140, v28
	v_pk_fma_f16 v28, v23, v42, v30
	v_mul_u32_u24_sdwa v144, v66, v110 dst_sel:DWORD dst_unused:UNUSED_PAD src0_sel:WORD_0 src1_sel:DWORD
	v_mul_u32_u24_sdwa v66, v66, v110 dst_sel:DWORD dst_unused:UNUSED_PAD src0_sel:WORD_1 src1_sel:DWORD
	v_mul_u32_u24_sdwa v145, v67, v110 dst_sel:DWORD dst_unused:UNUSED_PAD src0_sel:WORD_0 src1_sel:DWORD
	v_mul_u32_u24_sdwa v67, v67, v110 dst_sel:DWORD dst_unused:UNUSED_PAD src0_sel:WORD_1 src1_sel:DWORD
	v_pk_fma_f16 v30, v23, v141, v32
	v_pk_fma_f16 v23, v23, v43, v27
	v_pk_fma_f16 v27, v24, v142, v29
	v_pk_fma_f16 v29, v24, v44, v31
	v_pk_fma_f16 v31, v24, v143, v33
	v_pk_fma_f16 v22, v24, v45, v22
	v_pk_fma_f16 v24, v25, v142, v26
	v_pk_fma_f16 v26, v25, v44, v28
	v_mul_u32_u24_sdwa v146, v68, v110 dst_sel:DWORD dst_unused:UNUSED_PAD src0_sel:WORD_0 src1_sel:DWORD
	;; [unrolled: 12-line block ×7, first 2 shown]
	v_mul_u32_u24_sdwa v38, v38, v110 dst_sel:DWORD dst_unused:UNUSED_PAD src0_sel:WORD_1 src1_sel:DWORD
	v_mul_u32_u24_sdwa v157, v39, v110 dst_sel:DWORD dst_unused:UNUSED_PAD src0_sel:WORD_0 src1_sel:DWORD
	v_mul_u32_u24_sdwa v39, v39, v110 dst_sel:DWORD dst_unused:UNUSED_PAD src0_sel:WORD_1 src1_sel:DWORD
	v_pk_fma_f16 v18, v11, v153, v20
	v_pk_fma_f16 v11, v11, v47, v15
	;; [unrolled: 1-line block ×8, first 2 shown]
	s_waitcnt lgkmcnt(0)
	s_barrier
	buffer_gl0_inv
	ds_read_b128 v[14:17], v103 offset:128
	v_pk_fma_f16 v18, v13, v155, v18
	v_pk_fma_f16 v24, v13, v49, v11
	;; [unrolled: 1-line block ×6, first 2 shown]
	ds_read2_b64 v[10:13], v127 offset0:128 offset1:156
	v_mul_u32_u24_sdwa v158, v40, v110 dst_sel:DWORD dst_unused:UNUSED_PAD src0_sel:WORD_0 src1_sel:DWORD
	v_mul_u32_u24_sdwa v40, v40, v110 dst_sel:DWORD dst_unused:UNUSED_PAD src0_sel:WORD_1 src1_sel:DWORD
	v_mul_u32_u24_sdwa v159, v41, v110 dst_sel:DWORD dst_unused:UNUSED_PAD src0_sel:WORD_0 src1_sel:DWORD
	v_mul_u32_u24_sdwa v41, v41, v110 dst_sel:DWORD dst_unused:UNUSED_PAD src0_sel:WORD_1 src1_sel:DWORD
	v_pk_fma_f16 v22, v7, v156, v22
	v_pk_fma_f16 v23, v7, v38, v23
	;; [unrolled: 1-line block ×12, first 2 shown]
	ds_read_b128 v[6:9], v103 offset:144
	s_waitcnt lgkmcnt(2)
	v_mul_u32_u24_sdwa v34, v14, v110 dst_sel:DWORD dst_unused:UNUSED_PAD src0_sel:WORD_0 src1_sel:DWORD
	v_mul_u32_u24_sdwa v14, v14, v110 dst_sel:DWORD dst_unused:UNUSED_PAD src0_sel:WORD_1 src1_sel:DWORD
	v_mul_u32_u24_sdwa v35, v15, v110 dst_sel:DWORD dst_unused:UNUSED_PAD src0_sel:WORD_0 src1_sel:DWORD
	v_mul_u32_u24_sdwa v15, v15, v110 dst_sel:DWORD dst_unused:UNUSED_PAD src0_sel:WORD_1 src1_sel:DWORD
	ds_read_b128 v[18:21], v103 offset:160
	ds_read_b128 v[22:25], v103 offset:176
	s_waitcnt lgkmcnt(3)
	v_pk_fma_f16 v36, v10, v34, v26
	v_pk_fma_f16 v37, v10, v14, v27
	;; [unrolled: 1-line block ×4, first 2 shown]
	ds_read2_b64 v[26:29], v127 offset0:184 offset1:212
	v_pk_fma_f16 v30, v11, v34, v30
	v_pk_fma_f16 v14, v11, v14, v31
	;; [unrolled: 1-line block ×3, first 2 shown]
	v_mul_u32_u24_sdwa v32, v16, v110 dst_sel:DWORD dst_unused:UNUSED_PAD src0_sel:WORD_0 src1_sel:DWORD
	v_mul_u32_u24_sdwa v16, v16, v110 dst_sel:DWORD dst_unused:UNUSED_PAD src0_sel:WORD_1 src1_sel:DWORD
	v_mul_u32_u24_sdwa v34, v17, v110 dst_sel:DWORD dst_unused:UNUSED_PAD src0_sel:WORD_0 src1_sel:DWORD
	v_mul_u32_u24_sdwa v17, v17, v110 dst_sel:DWORD dst_unused:UNUSED_PAD src0_sel:WORD_1 src1_sel:DWORD
	v_pk_fma_f16 v11, v11, v15, v33
	v_pk_fma_f16 v15, v12, v32, v36
	;; [unrolled: 1-line block ×8, first 2 shown]
	s_waitcnt lgkmcnt(3)
	v_mul_u32_u24_sdwa v30, v6, v110 dst_sel:DWORD dst_unused:UNUSED_PAD src0_sel:WORD_0 src1_sel:DWORD
	v_mul_u32_u24_sdwa v6, v6, v110 dst_sel:DWORD dst_unused:UNUSED_PAD src0_sel:WORD_1 src1_sel:DWORD
	v_mul_u32_u24_sdwa v31, v7, v110 dst_sel:DWORD dst_unused:UNUSED_PAD src0_sel:WORD_0 src1_sel:DWORD
	v_mul_u32_u24_sdwa v7, v7, v110 dst_sel:DWORD dst_unused:UNUSED_PAD src0_sel:WORD_1 src1_sel:DWORD
	v_pk_fma_f16 v17, v13, v17, v11
	s_waitcnt lgkmcnt(0)
	v_pk_fma_f16 v15, v26, v30, v15
	v_pk_fma_f16 v32, v26, v6, v33
	;; [unrolled: 1-line block ×5, first 2 shown]
	ds_read2_b64 v[10:13], v126 offset0:112 offset1:140
	v_pk_fma_f16 v6, v27, v6, v14
	v_pk_fma_f16 v14, v27, v31, v16
	v_mul_u32_u24_sdwa v16, v8, v110 dst_sel:DWORD dst_unused:UNUSED_PAD src0_sel:WORD_0 src1_sel:DWORD
	v_mul_u32_u24_sdwa v8, v8, v110 dst_sel:DWORD dst_unused:UNUSED_PAD src0_sel:WORD_1 src1_sel:DWORD
	v_mul_u32_u24_sdwa v31, v9, v110 dst_sel:DWORD dst_unused:UNUSED_PAD src0_sel:WORD_0 src1_sel:DWORD
	v_mul_u32_u24_sdwa v9, v9, v110 dst_sel:DWORD dst_unused:UNUSED_PAD src0_sel:WORD_1 src1_sel:DWORD
	v_pk_fma_f16 v7, v27, v7, v17
	v_pk_fma_f16 v15, v28, v16, v15
	;; [unrolled: 1-line block ×7, first 2 shown]
	v_mul_u32_u24_sdwa v6, v18, v110 dst_sel:DWORD dst_unused:UNUSED_PAD src0_sel:WORD_0 src1_sel:DWORD
	v_pk_fma_f16 v14, v29, v31, v14
	v_pk_fma_f16 v29, v29, v9, v7
	v_mul_u32_u24_sdwa v18, v18, v110 dst_sel:DWORD dst_unused:UNUSED_PAD src0_sel:WORD_1 src1_sel:DWORD
	v_mul_u32_u24_sdwa v30, v19, v110 dst_sel:DWORD dst_unused:UNUSED_PAD src0_sel:WORD_0 src1_sel:DWORD
	v_mul_u32_u24_sdwa v19, v19, v110 dst_sel:DWORD dst_unused:UNUSED_PAD src0_sel:WORD_1 src1_sel:DWORD
	s_waitcnt lgkmcnt(0)
	v_pk_fma_f16 v15, v10, v6, v15
	v_pk_fma_f16 v16, v11, v6, v16
	ds_read2_b64 v[6:9], v125 offset0:40 offset1:68
	v_pk_fma_f16 v17, v10, v18, v17
	v_pk_fma_f16 v27, v10, v30, v27
	;; [unrolled: 1-line block ×5, first 2 shown]
	v_mul_u32_u24_sdwa v26, v20, v110 dst_sel:DWORD dst_unused:UNUSED_PAD src0_sel:WORD_0 src1_sel:DWORD
	v_mul_u32_u24_sdwa v20, v20, v110 dst_sel:DWORD dst_unused:UNUSED_PAD src0_sel:WORD_1 src1_sel:DWORD
	v_mul_u32_u24_sdwa v28, v21, v110 dst_sel:DWORD dst_unused:UNUSED_PAD src0_sel:WORD_0 src1_sel:DWORD
	v_mul_u32_u24_sdwa v21, v21, v110 dst_sel:DWORD dst_unused:UNUSED_PAD src0_sel:WORD_1 src1_sel:DWORD
	v_pk_fma_f16 v11, v11, v19, v29
	v_pk_fma_f16 v15, v12, v26, v15
	;; [unrolled: 1-line block ×8, first 2 shown]
	v_mul_u32_u24_sdwa v14, v22, v110 dst_sel:DWORD dst_unused:UNUSED_PAD src0_sel:WORD_0 src1_sel:DWORD
	v_mul_u32_u24_sdwa v22, v22, v110 dst_sel:DWORD dst_unused:UNUSED_PAD src0_sel:WORD_1 src1_sel:DWORD
	v_pk_fma_f16 v21, v13, v21, v11
	v_mul_u32_u24_sdwa v26, v23, v110 dst_sel:DWORD dst_unused:UNUSED_PAD src0_sel:WORD_0 src1_sel:DWORD
	v_mul_u32_u24_sdwa v23, v23, v110 dst_sel:DWORD dst_unused:UNUSED_PAD src0_sel:WORD_1 src1_sel:DWORD
	ds_read_b128 v[10:13], v103 offset:192
	s_waitcnt lgkmcnt(1)
	v_pk_fma_f16 v28, v6, v14, v15
	v_pk_fma_f16 v29, v6, v22, v17
	;; [unrolled: 1-line block ×5, first 2 shown]
	ds_read2_b64 v[14:17], v125 offset0:96 offset1:124
	v_pk_fma_f16 v18, v7, v22, v18
	v_pk_fma_f16 v20, v7, v26, v20
	v_mul_u32_u24_sdwa v22, v24, v110 dst_sel:DWORD dst_unused:UNUSED_PAD src0_sel:WORD_0 src1_sel:DWORD
	v_mul_u32_u24_sdwa v24, v24, v110 dst_sel:DWORD dst_unused:UNUSED_PAD src0_sel:WORD_1 src1_sel:DWORD
	v_mul_u32_u24_sdwa v26, v25, v110 dst_sel:DWORD dst_unused:UNUSED_PAD src0_sel:WORD_0 src1_sel:DWORD
	v_mul_u32_u24_sdwa v25, v25, v110 dst_sel:DWORD dst_unused:UNUSED_PAD src0_sel:WORD_1 src1_sel:DWORD
	v_pk_fma_f16 v7, v7, v23, v21
	v_pk_fma_f16 v23, v8, v22, v28
	;; [unrolled: 1-line block ×8, first 2 shown]
	ds_read_b128 v[18:21], v103 offset:208
	s_waitcnt lgkmcnt(2)
	v_mul_u32_u24_sdwa v26, v10, v110 dst_sel:DWORD dst_unused:UNUSED_PAD src0_sel:WORD_0 src1_sel:DWORD
	v_mul_u32_u24_sdwa v10, v10, v110 dst_sel:DWORD dst_unused:UNUSED_PAD src0_sel:WORD_1 src1_sel:DWORD
	v_mul_u32_u24_sdwa v27, v11, v110 dst_sel:DWORD dst_unused:UNUSED_PAD src0_sel:WORD_0 src1_sel:DWORD
	v_mul_u32_u24_sdwa v11, v11, v110 dst_sel:DWORD dst_unused:UNUSED_PAD src0_sel:WORD_1 src1_sel:DWORD
	v_pk_fma_f16 v25, v9, v25, v7
	s_waitcnt lgkmcnt(1)
	v_pk_fma_f16 v23, v14, v26, v23
	v_pk_fma_f16 v28, v14, v10, v28
	;; [unrolled: 1-line block ×5, first 2 shown]
	ds_read2_b64 v[6:9], v125 offset0:152 offset1:180
	v_pk_fma_f16 v10, v15, v10, v22
	v_pk_fma_f16 v22, v15, v27, v24
	v_mul_u32_u24_sdwa v24, v12, v110 dst_sel:DWORD dst_unused:UNUSED_PAD src0_sel:WORD_0 src1_sel:DWORD
	v_mul_u32_u24_sdwa v12, v12, v110 dst_sel:DWORD dst_unused:UNUSED_PAD src0_sel:WORD_1 src1_sel:DWORD
	v_mul_u32_u24_sdwa v27, v13, v110 dst_sel:DWORD dst_unused:UNUSED_PAD src0_sel:WORD_0 src1_sel:DWORD
	v_mul_u32_u24_sdwa v13, v13, v110 dst_sel:DWORD dst_unused:UNUSED_PAD src0_sel:WORD_1 src1_sel:DWORD
	v_pk_fma_f16 v11, v15, v11, v25
	v_pk_fma_f16 v15, v16, v24, v23
	;; [unrolled: 1-line block ×8, first 2 shown]
	s_waitcnt lgkmcnt(1)
	v_mul_u32_u24_sdwa v26, v18, v110 dst_sel:DWORD dst_unused:UNUSED_PAD src0_sel:WORD_0 src1_sel:DWORD
	v_mul_u32_u24_sdwa v18, v18, v110 dst_sel:DWORD dst_unused:UNUSED_PAD src0_sel:WORD_1 src1_sel:DWORD
	v_pk_fma_f16 v27, v17, v13, v11
	v_mul_u32_u24_sdwa v28, v19, v110 dst_sel:DWORD dst_unused:UNUSED_PAD src0_sel:WORD_0 src1_sel:DWORD
	v_mul_u32_u24_sdwa v19, v19, v110 dst_sel:DWORD dst_unused:UNUSED_PAD src0_sel:WORD_1 src1_sel:DWORD
	ds_read_b128 v[10:13], v103 offset:224
	s_waitcnt lgkmcnt(1)
	v_pk_fma_f16 v29, v6, v26, v15
	v_pk_fma_f16 v23, v6, v18, v23
	;; [unrolled: 1-line block ×5, first 2 shown]
	ds_read2_b64 v[14:17], v125 offset0:208 offset1:236
	v_pk_fma_f16 v18, v7, v18, v24
	v_pk_fma_f16 v22, v7, v28, v22
	v_mul_u32_u24_sdwa v24, v20, v110 dst_sel:DWORD dst_unused:UNUSED_PAD src0_sel:WORD_0 src1_sel:DWORD
	v_mul_u32_u24_sdwa v20, v20, v110 dst_sel:DWORD dst_unused:UNUSED_PAD src0_sel:WORD_1 src1_sel:DWORD
	v_mul_u32_u24_sdwa v28, v21, v110 dst_sel:DWORD dst_unused:UNUSED_PAD src0_sel:WORD_0 src1_sel:DWORD
	v_mul_u32_u24_sdwa v30, v21, v110 dst_sel:DWORD dst_unused:UNUSED_PAD src0_sel:WORD_1 src1_sel:DWORD
	v_pk_fma_f16 v7, v7, v19, v27
	v_pk_fma_f16 v27, v8, v24, v29
	;; [unrolled: 1-line block ×8, first 2 shown]
	ds_read_b128 v[18:21], v103 offset:240
	s_waitcnt lgkmcnt(2)
	v_mul_u32_u24_sdwa v26, v10, v110 dst_sel:DWORD dst_unused:UNUSED_PAD src0_sel:WORD_0 src1_sel:DWORD
	v_mul_u32_u24_sdwa v10, v10, v110 dst_sel:DWORD dst_unused:UNUSED_PAD src0_sel:WORD_1 src1_sel:DWORD
	v_mul_u32_u24_sdwa v28, v11, v110 dst_sel:DWORD dst_unused:UNUSED_PAD src0_sel:WORD_0 src1_sel:DWORD
	v_mul_u32_u24_sdwa v11, v11, v110 dst_sel:DWORD dst_unused:UNUSED_PAD src0_sel:WORD_1 src1_sel:DWORD
	v_pk_fma_f16 v29, v9, v30, v7
	s_waitcnt lgkmcnt(1)
	v_pk_fma_f16 v27, v14, v26, v27
	v_pk_fma_f16 v23, v14, v10, v23
	;; [unrolled: 1-line block ×5, first 2 shown]
	ds_read2_b64 v[6:9], v124 offset0:8 offset1:36
	s_waitcnt lgkmcnt(0)
	s_barrier
	buffer_gl0_inv
	s_load_dword s8, s[18:19], 0x4
	v_pk_fma_f16 v10, v15, v10, v24
	v_pk_fma_f16 v22, v15, v28, v22
	v_mul_u32_u24_sdwa v24, v12, v110 dst_sel:DWORD dst_unused:UNUSED_PAD src0_sel:WORD_0 src1_sel:DWORD
	v_mul_u32_u24_sdwa v12, v12, v110 dst_sel:DWORD dst_unused:UNUSED_PAD src0_sel:WORD_1 src1_sel:DWORD
	v_mul_u32_u24_sdwa v28, v13, v110 dst_sel:DWORD dst_unused:UNUSED_PAD src0_sel:WORD_0 src1_sel:DWORD
	v_mul_u32_u24_sdwa v13, v13, v110 dst_sel:DWORD dst_unused:UNUSED_PAD src0_sel:WORD_1 src1_sel:DWORD
	v_pk_fma_f16 v11, v15, v11, v29
	v_pk_fma_f16 v15, v16, v24, v27
	;; [unrolled: 1-line block ×9, first 2 shown]
	v_mul_u32_u24_sdwa v13, v18, v110 dst_sel:DWORD dst_unused:UNUSED_PAD src0_sel:WORD_0 src1_sel:DWORD
	v_mul_u32_u24_sdwa v17, v18, v110 dst_sel:DWORD dst_unused:UNUSED_PAD src0_sel:WORD_1 src1_sel:DWORD
	v_mul_u32_u24_sdwa v18, v19, v110 dst_sel:DWORD dst_unused:UNUSED_PAD src0_sel:WORD_0 src1_sel:DWORD
	v_mul_u32_u24_sdwa v19, v19, v110 dst_sel:DWORD dst_unused:UNUSED_PAD src0_sel:WORD_1 src1_sel:DWORD
	s_waitcnt lgkmcnt(0)
	s_lshl_b32 s8, s8, 5
	v_pk_fma_f16 v15, v6, v13, v15
	v_pk_fma_f16 v22, v6, v17, v23
	;; [unrolled: 1-line block ×7, first 2 shown]
	v_mul_u32_u24_sdwa v14, v20, v110 dst_sel:DWORD dst_unused:UNUSED_PAD src0_sel:WORD_0 src1_sel:DWORD
	v_mul_u32_u24_sdwa v16, v20, v110 dst_sel:DWORD dst_unused:UNUSED_PAD src0_sel:WORD_1 src1_sel:DWORD
	v_mul_u32_u24_sdwa v17, v21, v110 dst_sel:DWORD dst_unused:UNUSED_PAD src0_sel:WORD_0 src1_sel:DWORD
	v_mul_u32_u24_sdwa v18, v21, v110 dst_sel:DWORD dst_unused:UNUSED_PAD src0_sel:WORD_1 src1_sel:DWORD
	v_pk_fma_f16 v7, v7, v19, v11
	v_pk_fma_f16 v94, v8, v14, v15
	;; [unrolled: 1-line block ×9, first 2 shown]
	s_add_i32 s22, s8, s22
	s_cmp_ge_i32 s22, s38
	s_cbranch_scc1 .LBB37_41
; %bb.32:                               ;   in Loop: Header=BB37_15 Depth=1
	v_mov_b32_e32 v6, v2
	v_mov_b32_e32 v8, v3
	;; [unrolled: 1-line block ×8, first 2 shown]
	s_branch .LBB37_15
.LBB37_33:                              ;   in Loop: Header=BB37_15 Depth=1
	v_add_co_u32 v2, s8, s9, v71
	v_add_co_ci_u32_e64 v3, null, s10, v72, s8
	global_load_dwordx4 v[2:5], v[2:3], off offset:96
	s_waitcnt vmcnt(0)
	ds_write_b128 v97, v[2:5]
	s_or_b32 exec_lo, exec_lo, s11
	s_and_saveexec_b32 s11, s1
	s_cbranch_execz .LBB37_17
.LBB37_34:                              ;   in Loop: Header=BB37_15 Depth=1
	v_add_co_u32 v2, s8, s9, v73
	v_add_co_ci_u32_e64 v3, null, s10, v74, s8
	v_add_co_u32 v2, s8, v2, v108
	v_add_co_ci_u32_e64 v3, null, 0, v3, s8
	global_load_dwordx4 v[2:5], v[2:3], off offset:64
	s_waitcnt vmcnt(0)
	ds_write_b128 v98, v[2:5]
	s_or_b32 exec_lo, exec_lo, s11
	s_and_saveexec_b32 s11, s2
	s_cbranch_execnz .LBB37_18
	s_branch .LBB37_19
.LBB37_35:                              ;   in Loop: Header=BB37_15 Depth=1
	v_add_co_u32 v10, s8, s9, v71
	v_add_co_ci_u32_e64 v11, null, s10, v72, s8
	global_load_dwordx4 v[10:13], v[10:11], off offset:208
	s_waitcnt vmcnt(0)
	ds_write_b128 v97, v[10:13]
	s_or_b32 exec_lo, exec_lo, s11
	s_and_saveexec_b32 s11, s1
	s_cbranch_execz .LBB37_21
.LBB37_36:                              ;   in Loop: Header=BB37_15 Depth=1
	v_add_co_u32 v10, s8, s9, v73
	v_add_co_ci_u32_e64 v11, null, s10, v74, s8
	v_add_co_u32 v10, s8, v10, v108
	v_add_co_ci_u32_e64 v11, null, 0, v11, s8
	global_load_dwordx4 v[10:13], v[10:11], off offset:176
	s_waitcnt vmcnt(0)
	ds_write_b128 v98, v[10:13]
	s_or_b32 exec_lo, exec_lo, s11
	s_and_saveexec_b32 s11, s2
	s_cbranch_execnz .LBB37_22
	s_branch .LBB37_23
.LBB37_37:                              ;   in Loop: Header=BB37_15 Depth=1
	v_add_co_u32 v6, s16, s29, v77
	v_add_co_ci_u32_e64 v7, null, s43, v78, s16
	v_add_co_u32 v6, s16, v6, v108
	v_add_co_ci_u32_e64 v7, null, 0, v7, s16
	global_load_dwordx4 v[6:9], v[6:7], off offset:192
	s_waitcnt vmcnt(0)
	ds_write_b128 v105, v[6:9]
	s_or_b32 exec_lo, exec_lo, s44
	s_and_saveexec_b32 s44, s6
	s_cbranch_execz .LBB37_25
.LBB37_38:                              ;   in Loop: Header=BB37_15 Depth=1
	v_add_co_u32 v6, s16, s29, v79
	v_add_co_ci_u32_e64 v7, null, s43, v80, s16
	v_add_co_u32 v6, s16, v6, v109
	v_add_co_ci_u32_e64 v7, null, 0, v7, s16
	global_load_dwordx4 v[6:9], v[6:7], off offset:128
	s_waitcnt vmcnt(0)
	ds_write_b128 v106, v[6:9]
	s_or_b32 exec_lo, exec_lo, s44
	v_lshlrev_b32_e32 v132, 2, v104
	s_and_saveexec_b32 s44, s7
	s_cbranch_execnz .LBB37_26
	s_branch .LBB37_27
.LBB37_39:                              ;   in Loop: Header=BB37_15 Depth=1
	v_add_co_u32 v133, s16, s29, v77
	v_add_co_ci_u32_e64 v134, null, s43, v78, s16
	v_add_co_u32 v133, s16, v133, v108
	v_add_co_ci_u32_e64 v134, null, 0, v134, s16
	global_load_dwordx4 v[133:136], v[133:134], off offset:192
	s_waitcnt vmcnt(0)
	ds_write_b128 v105, v[133:136]
	s_or_b32 exec_lo, exec_lo, s44
	s_and_saveexec_b32 s44, s6
	s_cbranch_execz .LBB37_29
.LBB37_40:                              ;   in Loop: Header=BB37_15 Depth=1
	v_add_co_u32 v133, s16, s29, v79
	v_add_co_ci_u32_e64 v134, null, s43, v80, s16
	v_add_co_u32 v133, s16, v133, v109
	v_add_co_ci_u32_e64 v134, null, 0, v134, s16
	global_load_dwordx4 v[133:136], v[133:134], off offset:128
	s_waitcnt vmcnt(0)
	ds_write_b128 v106, v[133:136]
	s_or_b32 exec_lo, exec_lo, s44
	s_and_saveexec_b32 s44, s7
	s_cbranch_execnz .LBB37_30
	s_branch .LBB37_31
.LBB37_41:
	v_mov_b32_e32 v6, v88
.LBB37_42:
	v_cmp_lt_i32_e32 vcc_lo, v115, v91
	s_cmp_lg_u64 s[20:21], 0
	s_cselect_b32 s1, -1, 0
	s_cmp_eq_u32 s34, 0
	v_cndmask_b32_e32 v7, v6, v115, vcc_lo
	v_cmp_lt_i32_e32 vcc_lo, v116, v91
	s_cselect_b32 s2, -1, 0
	s_and_b32 s1, s2, s1
	v_lshlrev_b32_e32 v7, 2, v7
	v_cndmask_b32_e32 v11, v6, v116, vcc_lo
	v_cmp_lt_i32_e32 vcc_lo, v117, v91
	ds_bpermute_b32 v8, v7, v122
	ds_bpermute_b32 v9, v7, v123
	;; [unrolled: 1-line block ×4, first 2 shown]
	v_lshlrev_b32_e32 v11, 2, v11
	v_cndmask_b32_e32 v15, v6, v117, vcc_lo
	v_cmp_lt_i32_e32 vcc_lo, v118, v91
	v_lshlrev_b32_e32 v15, 2, v15
	s_waitcnt lgkmcnt(3)
	v_add_f32_e32 v8, v122, v8
	s_waitcnt lgkmcnt(2)
	v_add_f32_e32 v9, v123, v9
	s_waitcnt lgkmcnt(1)
	v_add_f32_e32 v10, v121, v10
	s_waitcnt lgkmcnt(0)
	v_add_f32_e32 v7, v120, v7
	ds_bpermute_b32 v12, v11, v8
	ds_bpermute_b32 v13, v11, v9
	ds_bpermute_b32 v14, v11, v10
	ds_bpermute_b32 v11, v11, v7
	s_waitcnt lgkmcnt(3)
	v_add_f32_e32 v8, v8, v12
	s_waitcnt lgkmcnt(2)
	v_add_f32_e32 v9, v9, v13
	;; [unrolled: 2-line block ×4, first 2 shown]
	ds_bpermute_b32 v11, v15, v8
	ds_bpermute_b32 v12, v15, v9
	;; [unrolled: 1-line block ×4, first 2 shown]
	v_cndmask_b32_e32 v15, v6, v118, vcc_lo
	v_cmp_lt_i32_e32 vcc_lo, v119, v91
	v_lshlrev_b32_e32 v15, 2, v15
	v_cndmask_b32_e32 v6, v6, v119, vcc_lo
	s_and_b32 vcc_lo, exec_lo, s1
	v_lshlrev_b32_e32 v6, 2, v6
	s_waitcnt lgkmcnt(3)
	v_add_f32_e32 v8, v8, v11
	s_waitcnt lgkmcnt(2)
	v_add_f32_e32 v9, v9, v12
	;; [unrolled: 2-line block ×4, first 2 shown]
	ds_bpermute_b32 v11, v15, v8
	ds_bpermute_b32 v12, v15, v9
	;; [unrolled: 1-line block ×4, first 2 shown]
	s_waitcnt lgkmcnt(3)
	v_add_f32_e32 v8, v8, v11
	s_waitcnt lgkmcnt(2)
	v_add_f32_e32 v9, v9, v12
	;; [unrolled: 2-line block ×4, first 2 shown]
	ds_bpermute_b32 v7, v6, v8
	ds_bpermute_b32 v12, v6, v9
	;; [unrolled: 1-line block ×4, first 2 shown]
	s_waitcnt lgkmcnt(3)
	v_add_f32_e32 v6, v8, v7
	s_waitcnt lgkmcnt(2)
	v_add_f32_e32 v7, v9, v12
	;; [unrolled: 2-line block ×4, first 2 shown]
	s_cbranch_vccz .LBB37_44
; %bb.43:
	s_ashr_i32 s37, s36, 31
	v_mov_b32_e32 v10, 0
	s_lshl_b64 s[2:3], s[36:37], 2
	v_max_f32_e32 v11, v3, v3
	s_add_u32 s2, s20, s2
	s_addc_u32 s3, s21, s3
	v_max_f32_e32 v16, v4, v4
	global_load_dwordx2 v[14:15], v10, s[2:3]
	v_max_f32_e32 v10, v2, v2
	v_max_f32_e32 v17, v5, v5
	v_mov_b32_e32 v18, 0x10001
	s_waitcnt vmcnt(0)
	v_max_f32_e32 v12, v14, v14
	v_max_f32_e32 v13, v15, v15
	;; [unrolled: 1-line block ×6, first 2 shown]
	v_sub_f32_e32 v16, v2, v10
	v_sub_f32_e32 v19, v3, v11
	;; [unrolled: 1-line block ×4, first 2 shown]
	v_mov_b32_e32 v2, v10
	v_sub_f32_e32 v17, v14, v10
	v_mov_b32_e32 v3, v11
	v_mov_b32_e32 v4, v12
	;; [unrolled: 1-line block ×3, first 2 shown]
	v_mul_f32_e32 v10, 0x3fb8aa3b, v16
	v_sub_f32_e32 v20, v15, v11
	v_mul_f32_e32 v11, 0x3fb8aa3b, v17
	v_sub_f32_e32 v14, v14, v12
	v_mul_f32_e32 v12, 0x3fb8aa3b, v19
	v_fma_f32 v27, 0x3fb8aa3b, v16, -v10
	v_rndne_f32_e32 v28, v10
	v_fma_f32 v29, 0x3fb8aa3b, v17, -v11
	v_rndne_f32_e32 v30, v11
	v_sub_f32_e32 v15, v15, v13
	v_fmac_f32_e32 v27, 0x32a5705f, v16
	v_sub_f32_e32 v10, v10, v28
	v_mul_f32_e32 v13, 0x3fb8aa3b, v20
	v_fma_f32 v31, 0x3fb8aa3b, v19, -v12
	v_rndne_f32_e32 v32, v12
	v_fmac_f32_e32 v29, 0x32a5705f, v17
	v_sub_f32_e32 v11, v11, v30
	v_add_f32_e32 v10, v10, v27
	v_mul_f32_e32 v23, 0x3fb8aa3b, v21
	v_fma_f32 v33, 0x3fb8aa3b, v20, -v13
	v_rndne_f32_e32 v34, v13
	v_fmac_f32_e32 v31, 0x32a5705f, v19
	v_sub_f32_e32 v12, v12, v32
	v_add_f32_e32 v11, v11, v29
	v_exp_f32_e32 v10, v10
	v_mul_f32_e32 v24, 0x3fb8aa3b, v14
	v_fma_f32 v35, 0x3fb8aa3b, v21, -v23
	v_rndne_f32_e32 v36, v23
	v_cvt_i32_f32_e32 v28, v28
	v_fmac_f32_e32 v33, 0x32a5705f, v20
	v_sub_f32_e32 v13, v13, v34
	v_add_f32_e32 v12, v12, v31
	v_exp_f32_e32 v11, v11
	v_mul_f32_e32 v25, 0x3fb8aa3b, v22
	v_fma_f32 v37, 0x3fb8aa3b, v14, -v24
	v_rndne_f32_e32 v38, v24
	v_cvt_i32_f32_e32 v30, v30
	v_fmac_f32_e32 v35, 0x32a5705f, v21
	v_sub_f32_e32 v23, v23, v36
	v_add_f32_e32 v13, v13, v33
	v_exp_f32_e32 v12, v12
	v_ldexp_f32 v10, v10, v28
	v_cmp_ngt_f32_e32 vcc_lo, 0xc2ce8ed0, v16
	v_mul_f32_e32 v26, 0x3fb8aa3b, v15
	v_fma_f32 v39, 0x3fb8aa3b, v22, -v25
	v_rndne_f32_e32 v40, v25
	v_cvt_i32_f32_e32 v32, v32
	v_fmac_f32_e32 v37, 0x32a5705f, v14
	v_sub_f32_e32 v24, v24, v38
	v_add_f32_e32 v23, v23, v35
	v_exp_f32_e32 v13, v13
	v_ldexp_f32 v11, v11, v30
	v_cndmask_b32_e32 v10, 0, v10, vcc_lo
	v_cmp_ngt_f32_e32 vcc_lo, 0xc2ce8ed0, v17
	v_fma_f32 v41, 0x3fb8aa3b, v15, -v26
	v_rndne_f32_e32 v42, v26
	v_cvt_i32_f32_e32 v34, v34
	v_fmac_f32_e32 v39, 0x32a5705f, v22
	v_sub_f32_e32 v25, v25, v40
	v_add_f32_e32 v24, v24, v37
	v_exp_f32_e32 v23, v23
	v_ldexp_f32 v12, v12, v32
	v_cndmask_b32_e32 v11, 0, v11, vcc_lo
	v_cmp_ngt_f32_e32 vcc_lo, 0xc2ce8ed0, v19
	v_cvt_i32_f32_e32 v36, v36
	v_fmac_f32_e32 v41, 0x32a5705f, v15
	v_sub_f32_e32 v26, v26, v42
	v_add_f32_e32 v25, v25, v39
	v_exp_f32_e32 v24, v24
	v_ldexp_f32 v13, v13, v34
	v_cndmask_b32_e32 v12, 0, v12, vcc_lo
	v_cmp_ngt_f32_e32 vcc_lo, 0xc2ce8ed0, v20
	v_cvt_i32_f32_e32 v38, v38
	v_add_f32_e32 v26, v26, v41
	v_exp_f32_e32 v25, v25
	v_ldexp_f32 v23, v23, v36
	v_cndmask_b32_e32 v13, 0, v13, vcc_lo
	v_cmp_ngt_f32_e32 vcc_lo, 0xc2ce8ed0, v21
	v_exp_f32_e32 v26, v26
	v_cvt_i32_f32_e32 v27, v40
	v_ldexp_f32 v24, v24, v38
	v_cvt_i32_f32_e32 v29, v42
	v_cndmask_b32_e32 v23, 0, v23, vcc_lo
	v_cmp_ngt_f32_e32 vcc_lo, 0xc2ce8ed0, v14
	v_ldexp_f32 v25, v25, v27
	v_cndmask_b32_e32 v24, 0, v24, vcc_lo
	v_cmp_ngt_f32_e32 vcc_lo, 0xc2ce8ed0, v22
	v_ldexp_f32 v26, v26, v29
	v_cndmask_b32_e32 v25, 0, v25, vcc_lo
	v_cmp_ngt_f32_e32 vcc_lo, 0xc2ce8ed0, v15
	v_cndmask_b32_e32 v26, 0, v26, vcc_lo
	v_cmp_nlt_f32_e32 vcc_lo, 0x42b17218, v16
	v_cndmask_b32_e32 v16, 0x7f800000, v10, vcc_lo
	v_cmp_nlt_f32_e32 vcc_lo, 0x42b17218, v17
	;; [unrolled: 2-line block ×3, first 2 shown]
	v_fmac_f32_e32 v10, v6, v16
	v_cndmask_b32_e32 v17, 0x7f800000, v12, vcc_lo
	v_cmp_nlt_f32_e32 vcc_lo, 0x42b17218, v20
	v_cvt_f16_f32_e32 v6, v16
	v_cndmask_b32_e32 v11, 0x7f800000, v13, vcc_lo
	v_cmp_nlt_f32_e32 vcc_lo, 0x42b17218, v21
	v_fmac_f32_e32 v11, v7, v17
	v_cndmask_b32_e32 v19, 0x7f800000, v23, vcc_lo
	v_cmp_nlt_f32_e32 vcc_lo, 0x42b17218, v14
	v_cvt_f16_f32_e32 v7, v17
	v_cndmask_b32_e32 v12, 0x7f800000, v24, vcc_lo
	v_cmp_nlt_f32_e32 vcc_lo, 0x42b17218, v22
	v_fmac_f32_e32 v12, v8, v19
	v_cndmask_b32_e32 v14, 0x7f800000, v25, vcc_lo
	v_cmp_nlt_f32_e32 vcc_lo, 0x42b17218, v15
	v_cvt_f16_f32_e32 v8, v19
	v_cvt_f16_f32_e32 v15, v14
	v_cndmask_b32_e32 v13, 0x7f800000, v26, vcc_lo
	v_mul_u32_u24_sdwa v16, v8, v18 dst_sel:DWORD dst_unused:UNUSED_PAD src0_sel:WORD_0 src1_sel:DWORD
	v_mov_b32_e32 v8, v12
	v_mul_u32_u24_sdwa v15, v15, v18 dst_sel:DWORD dst_unused:UNUSED_PAD src0_sel:WORD_0 src1_sel:DWORD
	v_fmac_f32_e32 v13, v9, v14
	v_mul_u32_u24_sdwa v9, v6, v18 dst_sel:DWORD dst_unused:UNUSED_PAD src0_sel:WORD_0 src1_sel:DWORD
	v_mul_u32_u24_sdwa v14, v7, v18 dst_sel:DWORD dst_unused:UNUSED_PAD src0_sel:WORD_0 src1_sel:DWORD
	v_mov_b32_e32 v6, v10
	v_mov_b32_e32 v7, v11
	v_pk_mul_f16 v89, v89, v16
	v_pk_mul_f16 v94, v94, v9
	;; [unrolled: 1-line block ×8, first 2 shown]
	v_mov_b32_e32 v9, v13
	s_branch .LBB37_45
.LBB37_44:
	v_mov_b32_e32 v13, v9
	v_mov_b32_e32 v12, v8
	;; [unrolled: 1-line block ×4, first 2 shown]
.LBB37_45:
	v_lshlrev_b32_e32 v1, 1, v1
	s_mov_b32 s1, exec_lo
	v_add_nc_u32_e32 v14, s33, v1
	v_cmpx_gt_i32_e64 s30, v14
	s_cbranch_execz .LBB37_72
; %bb.46:
	s_load_dword s1, s[4:5], 0xd4
	v_mov_b32_e32 v16, 1.0
	s_waitcnt lgkmcnt(0)
	s_cmp_lg_u32 s1, 1
	s_cselect_b32 s4, -1, 0
	s_cmp_eq_u32 s1, 1
	s_cselect_b32 s2, -1, 0
	s_and_b32 vcc_lo, exec_lo, s4
	s_cbranch_vccnz .LBB37_48
; %bb.47:
	v_div_scale_f32 v14, null, v6, v6, 1.0
	v_rcp_f32_e32 v15, v14
	v_fma_f32 v16, -v14, v15, 1.0
	v_fmac_f32_e32 v15, v16, v15
	v_div_scale_f32 v16, vcc_lo, 1.0, v6, 1.0
	v_mul_f32_e32 v17, v16, v15
	v_fma_f32 v18, -v14, v17, v16
	v_fmac_f32_e32 v17, v18, v15
	v_fma_f32 v14, -v14, v17, v16
	v_div_fmas_f32 v14, v14, v15, v17
	v_div_fixup_f32 v16, v14, v6, 1.0
.LBB37_48:
	s_mul_i32 s3, s35, s30
	s_add_i32 s3, s3, s33
	v_add_nc_u32_e32 v1, s3, v1
	v_mul_lo_u32 v1, v1, s31
	v_add_nc_u32_e32 v6, s36, v1
	v_mad_u64_u32 v[14:15], null, s1, v6, s[34:35]
	s_and_saveexec_b32 s5, s0
	s_cbranch_execz .LBB37_50
; %bb.49:
	v_mad_u64_u32 v[17:18], null, 0x70, v14, v[70:71]
	v_mov_b32_e32 v18, 0
	v_cvt_f32_f16_sdwa v6, v99 dst_sel:DWORD dst_unused:UNUSED_PAD src0_sel:WORD_1
	v_cvt_f32_f16_e32 v15, v99
	v_cvt_f32_f16_sdwa v22, v94 dst_sel:DWORD dst_unused:UNUSED_PAD src0_sel:WORD_1
	v_cvt_f32_f16_e32 v23, v94
	v_mul_f32_e32 v19, v16, v6
	v_lshlrev_b64 v[20:21], 2, v[17:18]
	v_mul_f32_e32 v18, v16, v15
	v_mul_f32_e32 v17, v16, v22
	;; [unrolled: 1-line block ×3, first 2 shown]
	v_add_co_u32 v20, vcc_lo, s24, v20
	v_add_co_ci_u32_e64 v21, null, s25, v21, vcc_lo
	global_store_dwordx4 v[20:21], v[16:19], off
.LBB37_50:
	s_or_b32 exec_lo, exec_lo, s5
	v_cmp_eq_u32_e32 vcc_lo, 0, v0
	s_and_b32 s4, vcc_lo, s4
	s_and_saveexec_b32 s5, s4
	s_cbranch_execz .LBB37_52
; %bb.51:
	v_ashrrev_i32_e32 v15, 31, v14
	v_mov_b32_e32 v16, v2
	v_mov_b32_e32 v17, v10
	v_lshlrev_b64 v[14:15], 3, v[14:15]
	v_add_co_u32 v14, vcc_lo, s26, v14
	v_add_co_ci_u32_e64 v15, null, s27, v15, vcc_lo
	global_store_dwordx2 v[14:15], v[16:17], off
.LBB37_52:
	s_or_b32 exec_lo, exec_lo, s5
	v_cndmask_b32_e64 v2, 0, 1, s2
	v_mov_b32_e32 v6, 1.0
	s_andn2_b32 vcc_lo, exec_lo, s2
	s_cbranch_vccnz .LBB37_54
; %bb.53:
	v_div_scale_f32 v0, null, v7, v7, 1.0
	v_rcp_f32_e32 v6, v0
	v_fma_f32 v10, -v0, v6, 1.0
	v_fmac_f32_e32 v6, v10, v6
	v_div_scale_f32 v10, vcc_lo, 1.0, v7, 1.0
	v_mul_f32_e32 v14, v10, v6
	v_fma_f32 v15, -v0, v14, v10
	v_fmac_f32_e32 v14, v15, v6
	v_fma_f32 v0, -v0, v14, v10
	v_div_fmas_f32 v0, v0, v6, v14
	v_div_fixup_f32 v6, v0, v7, 1.0
.LBB37_54:
	s_add_i32 s2, s36, 1
	v_add_nc_u32_e32 v0, s2, v1
	v_mad_u64_u32 v[0:1], null, s1, v0, s[34:35]
	s_and_saveexec_b32 s5, s0
	s_cbranch_execz .LBB37_56
; %bb.55:
	v_mad_u64_u32 v[14:15], null, 0x70, v0, v[70:71]
	v_mov_b32_e32 v15, 0
	v_cvt_f32_f16_sdwa v1, v93 dst_sel:DWORD dst_unused:UNUSED_PAD src0_sel:WORD_1
	v_cvt_f32_f16_e32 v7, v93
	v_cvt_f32_f16_sdwa v10, v92 dst_sel:DWORD dst_unused:UNUSED_PAD src0_sel:WORD_1
	v_mul_f32_e32 v17, v6, v1
	v_lshlrev_b64 v[18:19], 2, v[14:15]
	v_cvt_f32_f16_e32 v14, v92
	v_mul_f32_e32 v16, v6, v7
	v_mul_f32_e32 v15, v6, v10
	;; [unrolled: 1-line block ×3, first 2 shown]
	v_add_co_u32 v18, vcc_lo, s24, v18
	v_add_co_ci_u32_e64 v19, null, s25, v19, vcc_lo
	global_store_dwordx4 v[18:19], v[14:17], off
.LBB37_56:
	s_or_b32 exec_lo, exec_lo, s5
	s_and_saveexec_b32 s5, s4
	s_cbranch_execz .LBB37_58
; %bb.57:
	v_ashrrev_i32_e32 v1, 31, v0
	v_mov_b32_e32 v10, v3
	v_lshlrev_b64 v[0:1], 3, v[0:1]
	v_add_co_u32 v0, vcc_lo, s26, v0
	v_add_co_ci_u32_e64 v1, null, s27, v1, vcc_lo
	global_store_dwordx2 v[0:1], v[10:11], off
.LBB37_58:
	s_or_b32 exec_lo, exec_lo, s5
	v_add_nc_u32_e32 v0, s33, v84
	v_cmp_gt_i32_e32 vcc_lo, s30, v0
	s_and_b32 exec_lo, exec_lo, vcc_lo
	s_cbranch_execz .LBB37_72
; %bb.59:
	v_cmp_ne_u32_e32 vcc_lo, 1, v2
	v_mov_b32_e32 v3, 1.0
	s_cbranch_vccnz .LBB37_61
; %bb.60:
	v_div_scale_f32 v0, null, v8, v8, 1.0
	v_rcp_f32_e32 v1, v0
	v_fma_f32 v3, -v0, v1, 1.0
	v_fmac_f32_e32 v1, v3, v1
	v_div_scale_f32 v3, vcc_lo, 1.0, v8, 1.0
	v_mul_f32_e32 v6, v3, v1
	v_fma_f32 v7, -v0, v6, v3
	v_fmac_f32_e32 v6, v7, v1
	v_fma_f32 v0, -v0, v6, v3
	v_div_fmas_f32 v0, v0, v1, v6
	v_div_fixup_f32 v3, v0, v8, 1.0
.LBB37_61:
	v_add_nc_u32_e32 v0, s3, v84
	v_mad_u64_u32 v[0:1], null, v0, s31, s[36:37]
	v_mad_u64_u32 v[0:1], null, s1, v0, s[34:35]
	s_and_saveexec_b32 s5, s0
	s_cbranch_execz .LBB37_63
; %bb.62:
	v_mad_u64_u32 v[6:7], null, 0x70, v0, v[70:71]
	v_mov_b32_e32 v7, 0
	v_cvt_f32_f16_sdwa v1, v90 dst_sel:DWORD dst_unused:UNUSED_PAD src0_sel:WORD_1
	v_cvt_f32_f16_e32 v8, v90
	v_cvt_f32_f16_sdwa v10, v89 dst_sel:DWORD dst_unused:UNUSED_PAD src0_sel:WORD_1
	v_cvt_f32_f16_e32 v11, v89
	v_mul_f32_e32 v17, v3, v1
	v_lshlrev_b64 v[6:7], 2, v[6:7]
	v_mul_f32_e32 v16, v3, v8
	v_mul_f32_e32 v15, v3, v10
	;; [unrolled: 1-line block ×3, first 2 shown]
	v_add_co_u32 v6, vcc_lo, s24, v6
	v_add_co_ci_u32_e64 v7, null, s25, v7, vcc_lo
	global_store_dwordx4 v[6:7], v[14:17], off
.LBB37_63:
	s_or_b32 exec_lo, exec_lo, s5
	s_and_saveexec_b32 s5, s4
	s_cbranch_execz .LBB37_65
; %bb.64:
	v_ashrrev_i32_e32 v1, 31, v0
	v_mov_b32_e32 v11, v4
	v_lshlrev_b64 v[0:1], 3, v[0:1]
	v_add_co_u32 v0, vcc_lo, s26, v0
	v_add_co_ci_u32_e64 v1, null, s27, v1, vcc_lo
	global_store_dwordx2 v[0:1], v[11:12], off
.LBB37_65:
	s_or_b32 exec_lo, exec_lo, s5
	v_lshrrev_b32_e32 v0, 1, v83
	v_add_nc_u32_e32 v1, s33, v0
	v_cmp_gt_i32_e32 vcc_lo, s30, v1
	s_and_b32 exec_lo, exec_lo, vcc_lo
	s_cbranch_execz .LBB37_72
; %bb.66:
	v_cmp_ne_u32_e32 vcc_lo, 1, v2
	v_mov_b32_e32 v2, 1.0
	s_cbranch_vccnz .LBB37_68
; %bb.67:
	v_div_scale_f32 v1, null, v9, v9, 1.0
	v_rcp_f32_e32 v2, v1
	v_fma_f32 v3, -v1, v2, 1.0
	v_fmac_f32_e32 v2, v3, v2
	v_div_scale_f32 v3, vcc_lo, 1.0, v9, 1.0
	v_mul_f32_e32 v4, v3, v2
	v_fma_f32 v6, -v1, v4, v3
	v_fmac_f32_e32 v4, v6, v2
	v_fma_f32 v1, -v1, v4, v3
	v_div_fmas_f32 v1, v1, v2, v4
	v_div_fixup_f32 v2, v1, v9, 1.0
.LBB37_68:
	v_add_nc_u32_e32 v0, s3, v0
	v_mad_u64_u32 v[0:1], null, v0, s31, s[2:3]
	v_mad_u64_u32 v[0:1], null, s1, v0, s[34:35]
	s_and_saveexec_b32 s1, s0
	s_cbranch_execz .LBB37_70
; %bb.69:
	v_mad_u64_u32 v[3:4], null, 0x70, v0, v[70:71]
	v_mov_b32_e32 v4, 0
	v_cvt_f32_f16_sdwa v1, v86 dst_sel:DWORD dst_unused:UNUSED_PAD src0_sel:WORD_1
	v_cvt_f32_f16_e32 v6, v86
	v_cvt_f32_f16_sdwa v7, v87 dst_sel:DWORD dst_unused:UNUSED_PAD src0_sel:WORD_1
	v_cvt_f32_f16_e32 v10, v87
	v_mul_f32_e32 v9, v2, v1
	v_lshlrev_b64 v[3:4], 2, v[3:4]
	v_mul_f32_e32 v8, v2, v6
	v_mul_f32_e32 v7, v2, v7
	;; [unrolled: 1-line block ×3, first 2 shown]
	v_add_co_u32 v3, vcc_lo, s24, v3
	v_add_co_ci_u32_e64 v4, null, s25, v4, vcc_lo
	global_store_dwordx4 v[3:4], v[6:9], off
.LBB37_70:
	s_or_b32 exec_lo, exec_lo, s1
	s_and_b32 exec_lo, exec_lo, s4
	s_cbranch_execz .LBB37_72
; %bb.71:
	v_ashrrev_i32_e32 v1, 31, v0
	v_mov_b32_e32 v12, v5
	v_lshlrev_b64 v[0:1], 3, v[0:1]
	v_add_co_u32 v0, vcc_lo, s26, v0
	v_add_co_ci_u32_e64 v1, null, s27, v1, vcc_lo
	global_store_dwordx2 v[0:1], v[12:13], off
.LBB37_72:
	s_endpgm
	.section	.rodata,"a",@progbits
	.p2align	6, 0x0
	.amdhsa_kernel _ZL15flash_attn_tileILi112ELi112ELi16ELi2ELb0EEvPKcS1_S1_S1_S1_PKiPfP15HIP_vector_typeIfLj2EEffffjfiS5_IjLj3EEiiiiiiiiiiiliiliiiiil
		.amdhsa_group_segment_fixed_size 13376
		.amdhsa_private_segment_fixed_size 0
		.amdhsa_kernarg_size 464
		.amdhsa_user_sgpr_count 6
		.amdhsa_user_sgpr_private_segment_buffer 1
		.amdhsa_user_sgpr_dispatch_ptr 0
		.amdhsa_user_sgpr_queue_ptr 0
		.amdhsa_user_sgpr_kernarg_segment_ptr 1
		.amdhsa_user_sgpr_dispatch_id 0
		.amdhsa_user_sgpr_flat_scratch_init 0
		.amdhsa_user_sgpr_private_segment_size 0
		.amdhsa_wavefront_size32 1
		.amdhsa_uses_dynamic_stack 0
		.amdhsa_system_sgpr_private_segment_wavefront_offset 0
		.amdhsa_system_sgpr_workgroup_id_x 1
		.amdhsa_system_sgpr_workgroup_id_y 1
		.amdhsa_system_sgpr_workgroup_id_z 1
		.amdhsa_system_sgpr_workgroup_info 0
		.amdhsa_system_vgpr_workitem_id 1
		.amdhsa_next_free_vgpr 163
		.amdhsa_next_free_sgpr 48
		.amdhsa_reserve_vcc 1
		.amdhsa_reserve_flat_scratch 0
		.amdhsa_float_round_mode_32 0
		.amdhsa_float_round_mode_16_64 0
		.amdhsa_float_denorm_mode_32 3
		.amdhsa_float_denorm_mode_16_64 3
		.amdhsa_dx10_clamp 1
		.amdhsa_ieee_mode 1
		.amdhsa_fp16_overflow 0
		.amdhsa_workgroup_processor_mode 1
		.amdhsa_memory_ordered 1
		.amdhsa_forward_progress 1
		.amdhsa_shared_vgpr_count 0
		.amdhsa_exception_fp_ieee_invalid_op 0
		.amdhsa_exception_fp_denorm_src 0
		.amdhsa_exception_fp_ieee_div_zero 0
		.amdhsa_exception_fp_ieee_overflow 0
		.amdhsa_exception_fp_ieee_underflow 0
		.amdhsa_exception_fp_ieee_inexact 0
		.amdhsa_exception_int_div_zero 0
	.end_amdhsa_kernel
	.section	.text._ZL15flash_attn_tileILi112ELi112ELi16ELi2ELb0EEvPKcS1_S1_S1_S1_PKiPfP15HIP_vector_typeIfLj2EEffffjfiS5_IjLj3EEiiiiiiiiiiiliiliiiiil,"axG",@progbits,_ZL15flash_attn_tileILi112ELi112ELi16ELi2ELb0EEvPKcS1_S1_S1_S1_PKiPfP15HIP_vector_typeIfLj2EEffffjfiS5_IjLj3EEiiiiiiiiiiiliiliiiiil,comdat
.Lfunc_end37:
	.size	_ZL15flash_attn_tileILi112ELi112ELi16ELi2ELb0EEvPKcS1_S1_S1_S1_PKiPfP15HIP_vector_typeIfLj2EEffffjfiS5_IjLj3EEiiiiiiiiiiiliiliiiiil, .Lfunc_end37-_ZL15flash_attn_tileILi112ELi112ELi16ELi2ELb0EEvPKcS1_S1_S1_S1_PKiPfP15HIP_vector_typeIfLj2EEffffjfiS5_IjLj3EEiiiiiiiiiiiliiliiiiil
                                        ; -- End function
	.set _ZL15flash_attn_tileILi112ELi112ELi16ELi2ELb0EEvPKcS1_S1_S1_S1_PKiPfP15HIP_vector_typeIfLj2EEffffjfiS5_IjLj3EEiiiiiiiiiiiliiliiiiil.num_vgpr, 163
	.set _ZL15flash_attn_tileILi112ELi112ELi16ELi2ELb0EEvPKcS1_S1_S1_S1_PKiPfP15HIP_vector_typeIfLj2EEffffjfiS5_IjLj3EEiiiiiiiiiiiliiliiiiil.num_agpr, 0
	.set _ZL15flash_attn_tileILi112ELi112ELi16ELi2ELb0EEvPKcS1_S1_S1_S1_PKiPfP15HIP_vector_typeIfLj2EEffffjfiS5_IjLj3EEiiiiiiiiiiiliiliiiiil.numbered_sgpr, 48
	.set _ZL15flash_attn_tileILi112ELi112ELi16ELi2ELb0EEvPKcS1_S1_S1_S1_PKiPfP15HIP_vector_typeIfLj2EEffffjfiS5_IjLj3EEiiiiiiiiiiiliiliiiiil.num_named_barrier, 0
	.set _ZL15flash_attn_tileILi112ELi112ELi16ELi2ELb0EEvPKcS1_S1_S1_S1_PKiPfP15HIP_vector_typeIfLj2EEffffjfiS5_IjLj3EEiiiiiiiiiiiliiliiiiil.private_seg_size, 0
	.set _ZL15flash_attn_tileILi112ELi112ELi16ELi2ELb0EEvPKcS1_S1_S1_S1_PKiPfP15HIP_vector_typeIfLj2EEffffjfiS5_IjLj3EEiiiiiiiiiiiliiliiiiil.uses_vcc, 1
	.set _ZL15flash_attn_tileILi112ELi112ELi16ELi2ELb0EEvPKcS1_S1_S1_S1_PKiPfP15HIP_vector_typeIfLj2EEffffjfiS5_IjLj3EEiiiiiiiiiiiliiliiiiil.uses_flat_scratch, 0
	.set _ZL15flash_attn_tileILi112ELi112ELi16ELi2ELb0EEvPKcS1_S1_S1_S1_PKiPfP15HIP_vector_typeIfLj2EEffffjfiS5_IjLj3EEiiiiiiiiiiiliiliiiiil.has_dyn_sized_stack, 0
	.set _ZL15flash_attn_tileILi112ELi112ELi16ELi2ELb0EEvPKcS1_S1_S1_S1_PKiPfP15HIP_vector_typeIfLj2EEffffjfiS5_IjLj3EEiiiiiiiiiiiliiliiiiil.has_recursion, 0
	.set _ZL15flash_attn_tileILi112ELi112ELi16ELi2ELb0EEvPKcS1_S1_S1_S1_PKiPfP15HIP_vector_typeIfLj2EEffffjfiS5_IjLj3EEiiiiiiiiiiiliiliiiiil.has_indirect_call, 0
	.section	.AMDGPU.csdata,"",@progbits
; Kernel info:
; codeLenInByte = 16352
; TotalNumSgprs: 50
; NumVgprs: 163
; ScratchSize: 0
; MemoryBound: 0
; FloatMode: 240
; IeeeMode: 1
; LDSByteSize: 13376 bytes/workgroup (compile time only)
; SGPRBlocks: 0
; VGPRBlocks: 20
; NumSGPRsForWavesPerEU: 50
; NumVGPRsForWavesPerEU: 163
; Occupancy: 5
; WaveLimiterHint : 1
; COMPUTE_PGM_RSRC2:SCRATCH_EN: 0
; COMPUTE_PGM_RSRC2:USER_SGPR: 6
; COMPUTE_PGM_RSRC2:TRAP_HANDLER: 0
; COMPUTE_PGM_RSRC2:TGID_X_EN: 1
; COMPUTE_PGM_RSRC2:TGID_Y_EN: 1
; COMPUTE_PGM_RSRC2:TGID_Z_EN: 1
; COMPUTE_PGM_RSRC2:TIDIG_COMP_CNT: 1
	.section	.text._ZL33flash_attn_stream_k_fixup_uniformILi112ELi16ELi2EEvPfPK15HIP_vector_typeIfLj2EEiiiiiiS1_IjLj3EES5_S5_,"axG",@progbits,_ZL33flash_attn_stream_k_fixup_uniformILi112ELi16ELi2EEvPfPK15HIP_vector_typeIfLj2EEiiiiiiS1_IjLj3EES5_S5_,comdat
	.globl	_ZL33flash_attn_stream_k_fixup_uniformILi112ELi16ELi2EEvPfPK15HIP_vector_typeIfLj2EEiiiiiiS1_IjLj3EES5_S5_ ; -- Begin function _ZL33flash_attn_stream_k_fixup_uniformILi112ELi16ELi2EEvPfPK15HIP_vector_typeIfLj2EEiiiiiiS1_IjLj3EES5_S5_
	.p2align	8
	.type	_ZL33flash_attn_stream_k_fixup_uniformILi112ELi16ELi2EEvPfPK15HIP_vector_typeIfLj2EEiiiiiiS1_IjLj3EES5_S5_,@function
_ZL33flash_attn_stream_k_fixup_uniformILi112ELi16ELi2EEvPfPK15HIP_vector_typeIfLj2EEiiiiiiS1_IjLj3EES5_S5_: ; @_ZL33flash_attn_stream_k_fixup_uniformILi112ELi16ELi2EEvPfPK15HIP_vector_typeIfLj2EEiiiiiiS1_IjLj3EES5_S5_
; %bb.0:
	s_clause 0x2
	s_load_dwordx8 s[12:19], s[4:5], 0x1c
	s_load_dwordx4 s[20:23], s[4:5], 0x3c
	s_load_dwordx2 s[10:11], s[4:5], 0x10
	s_waitcnt lgkmcnt(0)
	s_mul_hi_u32 s0, s15, s6
	s_add_i32 s0, s6, s0
	s_lshr_b32 s0, s0, s16
	s_mul_i32 s1, s0, s17
	s_sub_i32 s1, s6, s1
	s_mul_hi_u32 s2, s1, s18
	s_add_i32 s2, s1, s2
	s_lshr_b32 s9, s2, s19
	s_mul_i32 s2, s9, s20
	s_sub_i32 s1, s1, s2
	s_mul_hi_u32 s2, s1, s21
	s_add_i32 s2, s1, s2
	s_lshr_b32 s2, s2, s22
	s_mul_i32 s3, s2, s23
	s_lshl_b32 s16, s2, 1
	s_sub_i32 s15, s1, s3
	s_lshl_b32 s1, s15, 4
	s_add_i32 s1, s1, s7
	s_cmp_lt_i32 s1, s10
	s_cselect_b32 s1, -1, 0
	s_add_i32 s16, s16, s8
	s_cmp_lt_i32 s16, s13
	s_cselect_b32 s2, -1, 0
	s_and_b32 s1, s1, s2
	s_andn2_b32 vcc_lo, exec_lo, s1
	s_cbranch_vccnz .LBB38_6
; %bb.1:
	s_mul_i32 s10, s0, s10
	s_load_dwordx4 s[0:3], s[4:5], 0x0
	s_add_i32 s4, s10, s7
	s_mul_i32 s9, s9, s13
	s_mul_i32 s4, s4, s11
	s_add_i32 s5, s16, s9
	s_mul_i32 s9, s11, s15
	s_add_i32 s4, s5, s4
	s_mulk_i32 s9, 0x700
	s_mulk_i32 s4, 0x70
	s_lshl_b32 s10, s7, 1
	v_add3_u32 v1, s4, s9, v0
	s_mul_i32 s4, s14, s6
	s_add_i32 s11, s4, s14
	v_ashrrev_i32_e32 v2, 31, v1
	v_lshlrev_b64 v[1:2], 2, v[1:2]
	s_waitcnt lgkmcnt(0)
	v_add_co_u32 v1, vcc_lo, s0, v1
	v_add_co_ci_u32_e64 v2, null, s1, v2, vcc_lo
	s_add_i32 s0, s10, s8
	s_lshl_b32 s1, s11, 5
	global_load_dword v5, v[1:2], off
	s_add_i32 s0, s0, s1
	s_sub_i32 s0, s0, 32
	s_ashr_i32 s1, s0, 31
	s_lshl_b64 s[0:1], s[0:1], 3
	s_add_u32 s0, s2, s0
	s_addc_u32 s1, s3, s1
	s_add_i32 s5, s11, -2
	s_load_dword s13, s[0:1], 0x4
	s_cmp_lt_i32 s5, s4
	s_cbranch_scc1 .LBB38_4
; %bb.2:
	s_load_dword s15, s[0:1], 0x0
	s_lshl_b32 s16, s12, 7
	s_mulk_i32 s7, 0xe0
	s_ashr_i32 s17, s16, 31
	s_waitcnt lgkmcnt(0)
	v_mov_b32_e32 v6, s13
	s_lshl_b64 s[0:1], s[16:17], 2
	s_add_u32 s5, s2, s0
	s_addc_u32 s9, s3, s1
	s_add_i32 s6, s6, 1
	s_mul_i32 s0, s14, s6
	s_mul_i32 s6, s8, 0x70
	s_lshl_b32 s1, s0, 5
	s_mulk_i32 s0, 0xe00
	s_add_i32 s6, s6, s7
	s_add_i32 s1, s8, s1
	s_lshl_b32 s7, s12, 5
	s_add_i32 s6, s6, s0
	s_add_i32 s0, s1, s7
	v_add3_u32 v3, s6, v0, 0xffffe400
	v_mov_b32_e32 v0, s15
	s_add_i32 s0, s0, s10
	s_add_i32 s6, s11, -1
	s_sub_i32 s0, s0, 64
.LBB38_3:                               ; =>This Inner Loop Header: Depth=1
	v_ashrrev_i32_e32 v4, 31, v3
	s_ashr_i32 s1, s0, 31
	s_lshl_b64 s[10:11], s[0:1], 3
	s_add_u32 s10, s2, s10
	v_lshlrev_b64 v[7:8], 2, v[3:4]
	s_addc_u32 s11, s3, s11
	v_add_nc_u32_e32 v3, 0xfffff200, v3
	s_add_i32 s6, s6, -1
	s_sub_i32 s0, s0, 32
	s_cmp_le_i32 s6, s4
	v_add_co_u32 v7, vcc_lo, s5, v7
	v_add_co_ci_u32_e64 v8, null, s9, v8, vcc_lo
	s_load_dwordx2 s[10:11], s[10:11], 0x0
	global_load_dword v4, v[7:8], off
	v_max_f32_e32 v7, v0, v0
	s_waitcnt lgkmcnt(0)
	v_max_f32_e64 v8, s10, s10
	v_max_f32_e32 v7, v7, v8
	v_sub_f32_e32 v8, s10, v7
	v_sub_f32_e32 v0, v0, v7
	v_mul_f32_e32 v9, 0x3fb8aa3b, v8
	v_mul_f32_e32 v12, 0x3fb8aa3b, v0
	v_cmp_ngt_f32_e32 vcc_lo, 0xc2ce8ed0, v8
	v_fma_f32 v10, 0x3fb8aa3b, v8, -v9
	v_rndne_f32_e32 v11, v9
	v_fma_f32 v13, 0x3fb8aa3b, v0, -v12
	v_rndne_f32_e32 v14, v12
	v_fmac_f32_e32 v10, 0x32a5705f, v8
	v_sub_f32_e32 v9, v9, v11
	v_fmac_f32_e32 v13, 0x32a5705f, v0
	v_cvt_i32_f32_e32 v11, v11
	v_add_f32_e32 v9, v9, v10
	v_sub_f32_e32 v10, v12, v14
	v_exp_f32_e32 v9, v9
	v_add_f32_e32 v10, v10, v13
	v_exp_f32_e32 v10, v10
	v_ldexp_f32 v9, v9, v11
	v_cvt_i32_f32_e32 v11, v14
	v_cndmask_b32_e32 v9, 0, v9, vcc_lo
	v_cmp_nlt_f32_e32 vcc_lo, 0x42b17218, v8
	v_ldexp_f32 v10, v10, v11
	v_mov_b32_e32 v11, v6
	v_cndmask_b32_e32 v9, 0x7f800000, v9, vcc_lo
	v_cmp_ngt_f32_e32 vcc_lo, 0xc2ce8ed0, v0
	v_cndmask_b32_e32 v10, 0, v10, vcc_lo
	v_cmp_le_f32_e32 vcc_lo, 0xc1a00000, v8
	v_cndmask_b32_e32 v8, 0, v9, vcc_lo
	v_cmp_nlt_f32_e32 vcc_lo, 0x42b17218, v0
	s_waitcnt vmcnt(1)
	v_mov_b32_e32 v9, v5
	v_cndmask_b32_e32 v5, 0x7f800000, v10, vcc_lo
	v_mul_f32_e32 v10, s11, v8
	v_cmp_le_f32_e32 vcc_lo, 0xc1a00000, v0
	v_mov_b32_e32 v0, v7
	v_mov_b32_e32 v6, v10
	v_cndmask_b32_e32 v12, 0, v5, vcc_lo
	v_fmac_f32_e32 v6, v11, v12
	s_waitcnt vmcnt(0)
	v_mul_f32_e32 v5, v4, v8
	v_fmac_f32_e32 v5, v9, v12
	s_cbranch_scc0 .LBB38_3
	s_branch .LBB38_5
.LBB38_4:
	s_waitcnt lgkmcnt(0)
	v_mov_b32_e32 v6, s13
.LBB38_5:
	s_waitcnt vmcnt(0)
	v_div_scale_f32 v0, null, v6, v6, v5
	v_rcp_f32_e32 v3, v0
	v_fma_f32 v4, -v0, v3, 1.0
	v_fmac_f32_e32 v3, v4, v3
	v_div_scale_f32 v4, vcc_lo, v5, v6, v5
	v_mul_f32_e32 v7, v4, v3
	v_fma_f32 v8, -v0, v7, v4
	v_fmac_f32_e32 v7, v8, v3
	v_fma_f32 v0, -v0, v7, v4
	v_div_fmas_f32 v0, v0, v3, v7
	v_div_fixup_f32 v0, v0, v6, v5
	global_store_dword v[1:2], v0, off
.LBB38_6:
	s_endpgm
	.section	.rodata,"a",@progbits
	.p2align	6, 0x0
	.amdhsa_kernel _ZL33flash_attn_stream_k_fixup_uniformILi112ELi16ELi2EEvPfPK15HIP_vector_typeIfLj2EEiiiiiiS1_IjLj3EES5_S5_
		.amdhsa_group_segment_fixed_size 0
		.amdhsa_private_segment_fixed_size 0
		.amdhsa_kernarg_size 76
		.amdhsa_user_sgpr_count 6
		.amdhsa_user_sgpr_private_segment_buffer 1
		.amdhsa_user_sgpr_dispatch_ptr 0
		.amdhsa_user_sgpr_queue_ptr 0
		.amdhsa_user_sgpr_kernarg_segment_ptr 1
		.amdhsa_user_sgpr_dispatch_id 0
		.amdhsa_user_sgpr_flat_scratch_init 0
		.amdhsa_user_sgpr_private_segment_size 0
		.amdhsa_wavefront_size32 1
		.amdhsa_uses_dynamic_stack 0
		.amdhsa_system_sgpr_private_segment_wavefront_offset 0
		.amdhsa_system_sgpr_workgroup_id_x 1
		.amdhsa_system_sgpr_workgroup_id_y 1
		.amdhsa_system_sgpr_workgroup_id_z 1
		.amdhsa_system_sgpr_workgroup_info 0
		.amdhsa_system_vgpr_workitem_id 0
		.amdhsa_next_free_vgpr 15
		.amdhsa_next_free_sgpr 24
		.amdhsa_reserve_vcc 1
		.amdhsa_reserve_flat_scratch 0
		.amdhsa_float_round_mode_32 0
		.amdhsa_float_round_mode_16_64 0
		.amdhsa_float_denorm_mode_32 3
		.amdhsa_float_denorm_mode_16_64 3
		.amdhsa_dx10_clamp 1
		.amdhsa_ieee_mode 1
		.amdhsa_fp16_overflow 0
		.amdhsa_workgroup_processor_mode 1
		.amdhsa_memory_ordered 1
		.amdhsa_forward_progress 1
		.amdhsa_shared_vgpr_count 0
		.amdhsa_exception_fp_ieee_invalid_op 0
		.amdhsa_exception_fp_denorm_src 0
		.amdhsa_exception_fp_ieee_div_zero 0
		.amdhsa_exception_fp_ieee_overflow 0
		.amdhsa_exception_fp_ieee_underflow 0
		.amdhsa_exception_fp_ieee_inexact 0
		.amdhsa_exception_int_div_zero 0
	.end_amdhsa_kernel
	.section	.text._ZL33flash_attn_stream_k_fixup_uniformILi112ELi16ELi2EEvPfPK15HIP_vector_typeIfLj2EEiiiiiiS1_IjLj3EES5_S5_,"axG",@progbits,_ZL33flash_attn_stream_k_fixup_uniformILi112ELi16ELi2EEvPfPK15HIP_vector_typeIfLj2EEiiiiiiS1_IjLj3EES5_S5_,comdat
.Lfunc_end38:
	.size	_ZL33flash_attn_stream_k_fixup_uniformILi112ELi16ELi2EEvPfPK15HIP_vector_typeIfLj2EEiiiiiiS1_IjLj3EES5_S5_, .Lfunc_end38-_ZL33flash_attn_stream_k_fixup_uniformILi112ELi16ELi2EEvPfPK15HIP_vector_typeIfLj2EEiiiiiiS1_IjLj3EES5_S5_
                                        ; -- End function
	.set _ZL33flash_attn_stream_k_fixup_uniformILi112ELi16ELi2EEvPfPK15HIP_vector_typeIfLj2EEiiiiiiS1_IjLj3EES5_S5_.num_vgpr, 15
	.set _ZL33flash_attn_stream_k_fixup_uniformILi112ELi16ELi2EEvPfPK15HIP_vector_typeIfLj2EEiiiiiiS1_IjLj3EES5_S5_.num_agpr, 0
	.set _ZL33flash_attn_stream_k_fixup_uniformILi112ELi16ELi2EEvPfPK15HIP_vector_typeIfLj2EEiiiiiiS1_IjLj3EES5_S5_.numbered_sgpr, 24
	.set _ZL33flash_attn_stream_k_fixup_uniformILi112ELi16ELi2EEvPfPK15HIP_vector_typeIfLj2EEiiiiiiS1_IjLj3EES5_S5_.num_named_barrier, 0
	.set _ZL33flash_attn_stream_k_fixup_uniformILi112ELi16ELi2EEvPfPK15HIP_vector_typeIfLj2EEiiiiiiS1_IjLj3EES5_S5_.private_seg_size, 0
	.set _ZL33flash_attn_stream_k_fixup_uniformILi112ELi16ELi2EEvPfPK15HIP_vector_typeIfLj2EEiiiiiiS1_IjLj3EES5_S5_.uses_vcc, 1
	.set _ZL33flash_attn_stream_k_fixup_uniformILi112ELi16ELi2EEvPfPK15HIP_vector_typeIfLj2EEiiiiiiS1_IjLj3EES5_S5_.uses_flat_scratch, 0
	.set _ZL33flash_attn_stream_k_fixup_uniformILi112ELi16ELi2EEvPfPK15HIP_vector_typeIfLj2EEiiiiiiS1_IjLj3EES5_S5_.has_dyn_sized_stack, 0
	.set _ZL33flash_attn_stream_k_fixup_uniformILi112ELi16ELi2EEvPfPK15HIP_vector_typeIfLj2EEiiiiiiS1_IjLj3EES5_S5_.has_recursion, 0
	.set _ZL33flash_attn_stream_k_fixup_uniformILi112ELi16ELi2EEvPfPK15HIP_vector_typeIfLj2EEiiiiiiS1_IjLj3EES5_S5_.has_indirect_call, 0
	.section	.AMDGPU.csdata,"",@progbits
; Kernel info:
; codeLenInByte = 848
; TotalNumSgprs: 26
; NumVgprs: 15
; ScratchSize: 0
; MemoryBound: 0
; FloatMode: 240
; IeeeMode: 1
; LDSByteSize: 0 bytes/workgroup (compile time only)
; SGPRBlocks: 0
; VGPRBlocks: 1
; NumSGPRsForWavesPerEU: 26
; NumVGPRsForWavesPerEU: 15
; Occupancy: 16
; WaveLimiterHint : 0
; COMPUTE_PGM_RSRC2:SCRATCH_EN: 0
; COMPUTE_PGM_RSRC2:USER_SGPR: 6
; COMPUTE_PGM_RSRC2:TRAP_HANDLER: 0
; COMPUTE_PGM_RSRC2:TGID_X_EN: 1
; COMPUTE_PGM_RSRC2:TGID_Y_EN: 1
; COMPUTE_PGM_RSRC2:TGID_Z_EN: 1
; COMPUTE_PGM_RSRC2:TIDIG_COMP_CNT: 0
	.section	.text._ZL33flash_attn_stream_k_fixup_generalILi112ELi16ELi2EEvPfPK15HIP_vector_typeIfLj2EEiiiiS1_IjLj3EES5_S5_S5_,"axG",@progbits,_ZL33flash_attn_stream_k_fixup_generalILi112ELi16ELi2EEvPfPK15HIP_vector_typeIfLj2EEiiiiS1_IjLj3EES5_S5_S5_,comdat
	.globl	_ZL33flash_attn_stream_k_fixup_generalILi112ELi16ELi2EEvPfPK15HIP_vector_typeIfLj2EEiiiiS1_IjLj3EES5_S5_S5_ ; -- Begin function _ZL33flash_attn_stream_k_fixup_generalILi112ELi16ELi2EEvPfPK15HIP_vector_typeIfLj2EEiiiiS1_IjLj3EES5_S5_S5_
	.p2align	8
	.type	_ZL33flash_attn_stream_k_fixup_generalILi112ELi16ELi2EEvPfPK15HIP_vector_typeIfLj2EEiiiiS1_IjLj3EES5_S5_S5_,@function
_ZL33flash_attn_stream_k_fixup_generalILi112ELi16ELi2EEvPfPK15HIP_vector_typeIfLj2EEiiiiS1_IjLj3EES5_S5_S5_: ; @_ZL33flash_attn_stream_k_fixup_generalILi112ELi16ELi2EEvPfPK15HIP_vector_typeIfLj2EEiiiiS1_IjLj3EES5_S5_S5_
; %bb.0:
	s_clause 0x1
	s_load_dwordx4 s[0:3], s[4:5], 0x10
	s_load_dword s9, s[4:5], 0x50
	s_mov_b32 s16, 0
	s_waitcnt lgkmcnt(0)
	s_mul_hi_i32 s17, s3, s6
	s_mul_i32 s18, s3, s6
	s_cmp_lg_u64 s[16:17], 0
	s_cbranch_scc0 .LBB39_21
; %bb.1:
	s_add_u32 s10, s9, 0
	s_addc_u32 s11, 0, 0
	s_xor_b64 s[10:11], s[10:11], 0
	v_cvt_f32_u32_e32 v1, s10
	v_cvt_f32_u32_e32 v2, s11
	s_sub_u32 s14, 0, s10
	s_subb_u32 s15, 0, s11
	v_fmamk_f32 v1, v2, 0x4f800000, v1
	v_rcp_f32_e32 v1, v1
	v_mul_f32_e32 v1, 0x5f7ffffc, v1
	v_mul_f32_e32 v2, 0x2f800000, v1
	v_trunc_f32_e32 v2, v2
	v_fmamk_f32 v1, v2, 0xcf800000, v1
	v_cvt_u32_f32_e32 v2, v2
	v_cvt_u32_f32_e32 v1, v1
	v_readfirstlane_b32 s12, v2
	v_readfirstlane_b32 s13, v1
	s_mul_i32 s19, s14, s12
	s_mul_hi_u32 s21, s14, s13
	s_mul_i32 s20, s15, s13
	s_add_i32 s19, s21, s19
	s_mul_i32 s22, s14, s13
	s_add_i32 s19, s19, s20
	s_mul_hi_u32 s21, s13, s22
	s_mul_i32 s24, s13, s19
	s_mul_hi_u32 s23, s12, s22
	s_mul_i32 s20, s12, s22
	s_mul_hi_u32 s22, s13, s19
	s_add_u32 s21, s21, s24
	s_addc_u32 s22, 0, s22
	s_mul_hi_u32 s25, s12, s19
	s_add_u32 s20, s21, s20
	s_mul_i32 s19, s12, s19
	s_addc_u32 s20, s22, s23
	s_addc_u32 s21, s25, 0
	s_add_u32 s19, s20, s19
	s_addc_u32 s20, 0, s21
	s_add_u32 s13, s13, s19
	s_cselect_b32 s19, -1, 0
	s_mul_hi_u32 s21, s14, s13
	s_cmp_lg_u32 s19, 0
	s_mul_i32 s19, s14, s13
	s_addc_u32 s12, s12, s20
	s_mul_i32 s15, s15, s13
	s_mul_i32 s14, s14, s12
	s_mul_hi_u32 s20, s13, s19
	s_add_i32 s14, s21, s14
	s_mul_hi_u32 s21, s12, s19
	s_add_i32 s14, s14, s15
	s_mul_i32 s15, s12, s19
	s_mul_i32 s23, s13, s14
	s_mul_hi_u32 s22, s13, s14
	s_add_u32 s20, s20, s23
	s_addc_u32 s22, 0, s22
	s_mul_hi_u32 s19, s12, s14
	s_add_u32 s15, s20, s15
	s_mul_i32 s14, s12, s14
	s_addc_u32 s15, s22, s21
	s_addc_u32 s19, s19, 0
	s_add_u32 s14, s15, s14
	s_addc_u32 s15, 0, s19
	s_add_u32 s19, s13, s14
	s_cselect_b32 s13, -1, 0
	s_cmp_lg_u32 s13, 0
	s_addc_u32 s20, s12, s15
	s_ashr_i32 s12, s17, 31
	s_add_u32 s14, s18, s12
	s_mov_b32 s13, s12
	s_addc_u32 s15, s17, s12
	s_xor_b64 s[14:15], s[14:15], s[12:13]
	s_mul_i32 s21, s14, s20
	s_mul_hi_u32 s22, s14, s19
	s_mul_hi_u32 s17, s14, s20
	;; [unrolled: 1-line block ×3, first 2 shown]
	s_mul_i32 s19, s15, s19
	s_add_u32 s21, s22, s21
	s_addc_u32 s17, 0, s17
	s_mul_hi_u32 s23, s15, s20
	s_add_u32 s19, s21, s19
	s_mul_i32 s20, s15, s20
	s_addc_u32 s17, s17, s24
	s_addc_u32 s19, s23, 0
	s_add_u32 s17, s17, s20
	s_addc_u32 s19, 0, s19
	s_mul_hi_u32 s20, s10, s17
	s_mul_i32 s21, s10, s19
	s_mul_i32 s22, s11, s17
	s_add_i32 s20, s20, s21
	s_mul_i32 s21, s10, s17
	s_add_i32 s20, s20, s22
	s_sub_i32 s22, s15, s20
	s_sub_u32 s14, s14, s21
	s_cselect_b32 s21, -1, 0
	s_cmp_lg_u32 s21, 0
	s_subb_u32 s22, s22, s11
	s_sub_u32 s23, s14, s10
	s_cselect_b32 s24, -1, 0
	s_cmp_lg_u32 s24, 0
	s_subb_u32 s22, s22, 0
	s_cmp_ge_u32 s22, s11
	s_cselect_b32 s24, -1, 0
	s_cmp_ge_u32 s23, s10
	s_cselect_b32 s23, -1, 0
	s_cmp_eq_u32 s22, s11
	s_cselect_b32 s22, s23, s24
	s_add_u32 s23, s17, 1
	s_addc_u32 s24, s19, 0
	s_add_u32 s25, s17, 2
	s_addc_u32 s26, s19, 0
	s_cmp_lg_u32 s22, 0
	s_cselect_b32 s22, s25, s23
	s_cselect_b32 s23, s26, s24
	s_cmp_lg_u32 s21, 0
	s_subb_u32 s15, s15, s20
	s_cmp_ge_u32 s15, s11
	s_cselect_b32 s20, -1, 0
	s_cmp_ge_u32 s14, s10
	s_cselect_b32 s10, -1, 0
	s_cmp_eq_u32 s15, s11
	s_cselect_b32 s10, s10, s20
	s_cmp_lg_u32 s10, 0
	s_cselect_b32 s11, s23, s19
	s_cselect_b32 s10, s22, s17
	s_xor_b64 s[12:13], s[12:13], 0
	s_xor_b64 s[10:11], s[10:11], s[12:13]
	s_sub_u32 s10, s10, s12
	s_load_dwordx4 s[12:15], s[4:5], 0x44
	s_andn2_b32 vcc_lo, exec_lo, s16
	s_cbranch_vccnz .LBB39_3
.LBB39_2:
	v_cvt_f32_u32_e32 v1, s9
	s_sub_i32 s11, 0, s9
	v_rcp_iflag_f32_e32 v1, v1
	v_mul_f32_e32 v1, 0x4f7ffffe, v1
	v_cvt_u32_f32_e32 v1, v1
	v_readfirstlane_b32 s10, v1
	s_mul_i32 s11, s11, s10
	s_mul_hi_u32 s11, s10, s11
	s_add_i32 s10, s10, s11
	s_mul_hi_u32 s10, s18, s10
	s_mul_i32 s11, s10, s9
	s_waitcnt lgkmcnt(0)
	s_add_i32 s15, s10, 1
	s_sub_i32 s11, s18, s11
	s_sub_i32 s16, s11, s9
	s_cmp_ge_u32 s11, s9
	s_cselect_b32 s10, s15, s10
	s_cselect_b32 s11, s16, s11
	s_add_i32 s15, s10, 1
	s_cmp_ge_u32 s11, s9
	s_cselect_b32 s10, s15, s10
.LBB39_3:
	s_add_i32 s11, s6, 1
	s_mov_b32 s16, 0
	s_mul_hi_i32 s17, s3, s11
	s_mul_i32 s11, s3, s11
	s_cmp_lg_u64 s[16:17], 0
	s_cbranch_scc0 .LBB39_22
; %bb.4:
	s_add_u32 s18, s9, 0
	s_addc_u32 s19, 0, 0
	s_xor_b64 s[18:19], s[18:19], 0
	v_cvt_f32_u32_e32 v1, s18
	v_cvt_f32_u32_e32 v2, s19
	s_sub_u32 s21, 0, s18
	s_subb_u32 s22, 0, s19
	v_fmamk_f32 v1, v2, 0x4f800000, v1
	v_rcp_f32_e32 v1, v1
	v_mul_f32_e32 v1, 0x5f7ffffc, v1
	v_mul_f32_e32 v2, 0x2f800000, v1
	v_trunc_f32_e32 v2, v2
	v_fmamk_f32 v1, v2, 0xcf800000, v1
	v_cvt_u32_f32_e32 v2, v2
	v_cvt_u32_f32_e32 v1, v1
	s_waitcnt lgkmcnt(0)
	v_readfirstlane_b32 s15, v2
	v_readfirstlane_b32 s20, v1
	s_mul_i32 s23, s21, s15
	s_mul_hi_u32 s25, s21, s20
	s_mul_i32 s24, s22, s20
	s_add_i32 s23, s25, s23
	s_mul_i32 s26, s21, s20
	s_add_i32 s23, s23, s24
	s_mul_hi_u32 s25, s20, s26
	s_mul_i32 s28, s20, s23
	s_mul_hi_u32 s27, s15, s26
	s_mul_i32 s24, s15, s26
	s_mul_hi_u32 s26, s20, s23
	s_add_u32 s25, s25, s28
	s_addc_u32 s26, 0, s26
	s_mul_hi_u32 s29, s15, s23
	s_add_u32 s24, s25, s24
	s_mul_i32 s23, s15, s23
	s_addc_u32 s24, s26, s27
	s_addc_u32 s25, s29, 0
	s_add_u32 s23, s24, s23
	s_addc_u32 s24, 0, s25
	s_add_u32 s20, s20, s23
	s_cselect_b32 s23, -1, 0
	s_mul_hi_u32 s25, s21, s20
	s_cmp_lg_u32 s23, 0
	s_mul_i32 s23, s21, s20
	s_addc_u32 s15, s15, s24
	s_mul_i32 s22, s22, s20
	s_mul_i32 s21, s21, s15
	s_mul_hi_u32 s24, s20, s23
	s_add_i32 s21, s25, s21
	s_mul_hi_u32 s25, s15, s23
	s_add_i32 s21, s21, s22
	s_mul_i32 s22, s15, s23
	s_mul_i32 s27, s20, s21
	s_mul_hi_u32 s26, s20, s21
	s_add_u32 s24, s24, s27
	s_addc_u32 s26, 0, s26
	s_mul_hi_u32 s23, s15, s21
	s_add_u32 s22, s24, s22
	s_mul_i32 s21, s15, s21
	s_addc_u32 s22, s26, s25
	s_addc_u32 s23, s23, 0
	s_add_u32 s21, s22, s21
	s_addc_u32 s22, 0, s23
	s_add_u32 s24, s20, s21
	s_cselect_b32 s20, -1, 0
	s_cmp_lg_u32 s20, 0
	s_addc_u32 s15, s15, s22
	s_ashr_i32 s20, s17, 31
	s_add_u32 s22, s11, s20
	s_mov_b32 s21, s20
	s_addc_u32 s23, s17, s20
	s_xor_b64 s[22:23], s[22:23], s[20:21]
	s_mul_i32 s25, s22, s15
	s_mul_hi_u32 s26, s22, s24
	s_mul_hi_u32 s17, s22, s15
	;; [unrolled: 1-line block ×3, first 2 shown]
	s_mul_i32 s24, s23, s24
	s_add_u32 s25, s26, s25
	s_addc_u32 s17, 0, s17
	s_mul_hi_u32 s27, s23, s15
	s_add_u32 s24, s25, s24
	s_mul_i32 s15, s23, s15
	s_addc_u32 s17, s17, s28
	s_addc_u32 s24, s27, 0
	s_add_u32 s15, s17, s15
	s_addc_u32 s17, 0, s24
	s_mul_hi_u32 s24, s18, s15
	s_mul_i32 s25, s18, s17
	s_mul_i32 s26, s19, s15
	s_add_i32 s24, s24, s25
	s_mul_i32 s25, s18, s15
	s_add_i32 s24, s24, s26
	s_sub_i32 s26, s23, s24
	s_sub_u32 s22, s22, s25
	s_cselect_b32 s25, -1, 0
	s_cmp_lg_u32 s25, 0
	s_subb_u32 s26, s26, s19
	s_sub_u32 s27, s22, s18
	s_cselect_b32 s28, -1, 0
	s_cmp_lg_u32 s28, 0
	s_subb_u32 s26, s26, 0
	s_cmp_ge_u32 s26, s19
	s_cselect_b32 s28, -1, 0
	s_cmp_ge_u32 s27, s18
	s_cselect_b32 s27, -1, 0
	s_cmp_eq_u32 s26, s19
	s_cselect_b32 s26, s27, s28
	s_add_u32 s27, s15, 1
	s_addc_u32 s28, s17, 0
	s_add_u32 s29, s15, 2
	s_addc_u32 s30, s17, 0
	s_cmp_lg_u32 s26, 0
	s_cselect_b32 s26, s29, s27
	s_cselect_b32 s27, s30, s28
	s_cmp_lg_u32 s25, 0
	s_subb_u32 s23, s23, s24
	s_cmp_ge_u32 s23, s19
	s_cselect_b32 s24, -1, 0
	s_cmp_ge_u32 s22, s18
	s_cselect_b32 s18, -1, 0
	s_cmp_eq_u32 s23, s19
	s_cselect_b32 s18, s18, s24
	s_cmp_lg_u32 s18, 0
	s_cselect_b32 s19, s27, s17
	s_cselect_b32 s18, s26, s15
	s_xor_b64 s[20:21], s[20:21], 0
	s_xor_b64 s[18:19], s[18:19], s[20:21]
	s_sub_u32 s18, s18, s20
	s_andn2_b32 vcc_lo, exec_lo, s16
	s_cbranch_vccnz .LBB39_6
.LBB39_5:
	v_cvt_f32_u32_e32 v1, s9
	s_sub_i32 s16, 0, s9
	v_rcp_iflag_f32_e32 v1, v1
	v_mul_f32_e32 v1, 0x4f7ffffe, v1
	v_cvt_u32_f32_e32 v1, v1
	s_waitcnt lgkmcnt(0)
	v_readfirstlane_b32 s15, v1
	s_mul_i32 s16, s16, s15
	s_mul_hi_u32 s16, s15, s16
	s_add_i32 s15, s15, s16
	s_mul_hi_u32 s15, s11, s15
	s_mul_i32 s16, s15, s9
	s_sub_i32 s11, s11, s16
	s_add_i32 s16, s15, 1
	s_sub_i32 s17, s11, s9
	s_cmp_ge_u32 s11, s9
	s_cselect_b32 s15, s16, s15
	s_cselect_b32 s11, s17, s11
	s_add_i32 s16, s15, 1
	s_cmp_ge_u32 s11, s9
	s_cselect_b32 s18, s16, s15
.LBB39_6:
	s_cmp_eq_u32 s10, s18
	s_waitcnt lgkmcnt(0)
	s_mul_hi_u32 s11, s10, s12
	s_cselect_b32 s15, -1, 0
	s_add_i32 s11, s11, s10
	s_lshr_b32 s11, s11, s13
	s_mul_i32 s16, s11, s14
	s_cmp_eq_u32 s16, s10
	s_mul_hi_u32 s16, s18, s12
	s_cselect_b32 s17, -1, 0
	s_add_i32 s16, s16, s18
	s_lshr_b32 s16, s16, s13
	s_cmp_eq_u32 s11, s16
	s_mul_i32 s16, s16, s14
	s_cselect_b32 s19, -1, 0
	s_cmp_lg_u32 s16, s18
	s_cselect_b32 s16, -1, 0
	s_or_b32 s15, s15, s17
	s_and_b32 s16, s19, s16
	s_or_b32 s15, s15, s16
	s_and_b32 vcc_lo, exec_lo, s15
	s_cbranch_vccnz .LBB39_24
; %bb.7:
	s_clause 0x1
	s_load_dwordx8 s[20:27], s[4:5], 0x20
	s_load_dword s16, s[4:5], 0x40
	s_waitcnt lgkmcnt(0)
	s_mul_hi_u32 s15, s10, s20
	s_add_i32 s15, s15, s10
	s_lshr_b32 s15, s15, s21
	s_mul_i32 s17, s15, s22
	s_sub_i32 s17, s10, s17
	s_mul_hi_u32 s18, s17, s23
	s_add_i32 s18, s17, s18
	s_lshr_b32 s21, s18, s24
	s_mul_i32 s18, s21, s25
	s_sub_i32 s17, s17, s18
	s_mul_hi_u32 s18, s17, s26
	s_add_i32 s18, s17, s18
	s_lshr_b32 s18, s18, s27
	s_mul_i32 s16, s18, s16
	s_lshl_b32 s22, s18, 1
	s_sub_i32 s16, s17, s16
	s_mul_hi_u32 s17, s16, s12
	s_add_i32 s16, s16, s17
	s_lshr_b32 s20, s16, s13
	s_lshl_b32 s16, s20, 4
	s_add_i32 s16, s16, s7
	s_cmp_lt_i32 s16, s0
	s_cselect_b32 s16, -1, 0
	s_add_i32 s22, s22, s8
	s_cmp_lt_i32 s22, s2
	s_cselect_b32 s17, -1, 0
	s_and_b32 s16, s16, s17
	s_andn2_b32 vcc_lo, exec_lo, s16
	s_cbranch_vccnz .LBB39_24
; %bb.8:
	s_load_dwordx4 s[16:19], s[4:5], 0x0
	s_mov_b32 s4, 0
	s_lshl_b32 s24, s9, 7
	s_mov_b32 s25, s4
	s_lshl_b32 s5, s7, 1
	s_lshl_b64 s[24:25], s[24:25], 2
	s_mul_i32 s21, s21, s2
	s_mul_i32 s0, s15, s0
	s_add_i32 s2, s5, s8
	v_cvt_f32_u32_e32 v3, s9
	v_rcp_iflag_f32_e32 v3, v3
	s_waitcnt lgkmcnt(0)
	s_add_u32 s8, s18, s24
	s_addc_u32 s15, s19, s25
	s_add_i32 s0, s0, s7
	s_add_i32 s5, s22, s21
	s_mul_i32 s0, s0, s1
	s_mul_i32 s1, s1, s20
	s_add_i32 s0, s5, s0
	s_mulk_i32 s1, 0x700
	s_mulk_i32 s0, 0x70
	v_mul_f32_e32 v7, 0x4f7ffffe, v3
	v_add3_u32 v1, s1, s0, v0
	s_lshl_b32 s0, s6, 5
	s_add_i32 s0, s2, s0
	v_ashrrev_i32_e32 v2, 31, v1
	s_ashr_i32 s1, s0, 31
	s_lshl_b64 s[0:1], s[0:1], 3
	v_lshlrev_b64 v[1:2], 2, v[1:2]
	s_add_u32 s0, s18, s0
	s_addc_u32 s1, s19, s1
	s_load_dwordx2 s[0:1], s[0:1], 0x0
	v_add_co_u32 v1, vcc_lo, s16, v1
	v_add_co_ci_u32_e64 v2, null, s17, v2, vcc_lo
	s_add_i32 s17, s6, -1
	v_mad_u64_u32 v[3:4], null, 0x70, s2, v[0:1]
	global_load_dword v5, v[1:2], off
	v_cvt_u32_f32_e32 v0, v7
	s_sub_i32 s16, 0, s9
	s_waitcnt lgkmcnt(0)
	v_mov_b32_e32 v4, s1
	v_mov_b32_e32 v6, s0
.LBB39_9:                               ; =>This Inner Loop Header: Depth=1
	s_mul_hi_i32 s5, s17, s3
	s_mul_i32 s6, s17, s3
	s_cmp_lg_u64 s[4:5], 0
	s_mov_b32 s7, -1
                                        ; implicit-def: $sgpr0_sgpr1
	s_cbranch_scc0 .LBB39_11
; %bb.10:                               ;   in Loop: Header=BB39_9 Depth=1
	s_add_u32 s0, s9, 0
	s_addc_u32 s1, 0, 0
	s_xor_b64 s[0:1], s[0:1], 0
	v_cvt_f32_u32_e32 v7, s0
	v_cvt_f32_u32_e32 v8, s1
	s_sub_u32 s21, 0, s0
	s_subb_u32 s22, 0, s1
	v_fmac_f32_e32 v7, 0x4f800000, v8
	v_rcp_f32_e32 v7, v7
	v_mul_f32_e32 v7, 0x5f7ffffc, v7
	v_mul_f32_e32 v8, 0x2f800000, v7
	v_trunc_f32_e32 v8, v8
	v_fmac_f32_e32 v7, 0xcf800000, v8
	v_cvt_u32_f32_e32 v8, v8
	v_cvt_u32_f32_e32 v7, v7
	v_readfirstlane_b32 s7, v8
	v_readfirstlane_b32 s20, v7
	s_mul_i32 s23, s21, s7
	s_mul_hi_u32 s25, s21, s20
	s_mul_i32 s24, s22, s20
	s_add_i32 s23, s25, s23
	s_mul_i32 s26, s21, s20
	s_add_i32 s23, s23, s24
	s_mul_hi_u32 s25, s20, s26
	s_mul_i32 s28, s20, s23
	s_mul_hi_u32 s27, s7, s26
	s_mul_i32 s24, s7, s26
	s_mul_hi_u32 s26, s20, s23
	s_add_u32 s25, s25, s28
	s_addc_u32 s26, 0, s26
	s_mul_hi_u32 s29, s7, s23
	s_add_u32 s24, s25, s24
	s_mul_i32 s23, s7, s23
	s_addc_u32 s24, s26, s27
	s_addc_u32 s25, s29, 0
	s_add_u32 s23, s24, s23
	s_addc_u32 s24, 0, s25
	s_add_u32 s20, s20, s23
	s_cselect_b32 s23, -1, 0
	s_mul_hi_u32 s25, s21, s20
	s_cmp_lg_u32 s23, 0
	s_mul_i32 s23, s21, s20
	s_addc_u32 s7, s7, s24
	s_mul_i32 s22, s22, s20
	s_mul_i32 s21, s21, s7
	s_mul_hi_u32 s24, s20, s23
	s_add_i32 s21, s25, s21
	s_mul_hi_u32 s25, s7, s23
	s_add_i32 s21, s21, s22
	s_mul_i32 s22, s7, s23
	s_mul_i32 s27, s20, s21
	s_mul_hi_u32 s26, s20, s21
	s_add_u32 s24, s24, s27
	s_addc_u32 s26, 0, s26
	s_mul_hi_u32 s23, s7, s21
	s_add_u32 s22, s24, s22
	s_mul_i32 s21, s7, s21
	s_addc_u32 s22, s26, s25
	s_addc_u32 s23, s23, 0
	s_add_u32 s21, s22, s21
	s_addc_u32 s22, 0, s23
	s_add_u32 s24, s20, s21
	s_cselect_b32 s20, -1, 0
	s_cmp_lg_u32 s20, 0
	s_addc_u32 s7, s7, s22
	s_ashr_i32 s20, s5, 31
	s_add_u32 s22, s6, s20
	s_mov_b32 s21, s20
	s_addc_u32 s23, s5, s20
	s_xor_b64 s[22:23], s[22:23], s[20:21]
	s_mul_i32 s25, s22, s7
	s_mul_hi_u32 s26, s22, s24
	s_mul_hi_u32 s5, s22, s7
	;; [unrolled: 1-line block ×3, first 2 shown]
	s_mul_i32 s24, s23, s24
	s_add_u32 s25, s26, s25
	s_addc_u32 s5, 0, s5
	s_mul_hi_u32 s27, s23, s7
	s_add_u32 s24, s25, s24
	s_mul_i32 s7, s23, s7
	s_addc_u32 s5, s5, s28
	s_addc_u32 s24, s27, 0
	s_add_u32 s5, s5, s7
	s_addc_u32 s7, 0, s24
	s_mul_hi_u32 s24, s0, s5
	s_mul_i32 s25, s0, s7
	s_mul_i32 s26, s1, s5
	s_add_i32 s24, s24, s25
	s_mul_i32 s25, s0, s5
	s_add_i32 s24, s24, s26
	s_sub_i32 s26, s23, s24
	s_sub_u32 s22, s22, s25
	s_cselect_b32 s25, -1, 0
	s_cmp_lg_u32 s25, 0
	s_subb_u32 s26, s26, s1
	s_sub_u32 s27, s22, s0
	s_cselect_b32 s28, -1, 0
	s_cmp_lg_u32 s28, 0
	s_subb_u32 s26, s26, 0
	s_cmp_ge_u32 s26, s1
	s_cselect_b32 s28, -1, 0
	s_cmp_ge_u32 s27, s0
	s_cselect_b32 s27, -1, 0
	s_cmp_eq_u32 s26, s1
	s_cselect_b32 s26, s27, s28
	s_add_u32 s27, s5, 1
	s_addc_u32 s28, s7, 0
	s_add_u32 s29, s5, 2
	s_addc_u32 s30, s7, 0
	s_cmp_lg_u32 s26, 0
	s_cselect_b32 s26, s29, s27
	s_cselect_b32 s27, s30, s28
	s_cmp_lg_u32 s25, 0
	s_subb_u32 s23, s23, s24
	s_cmp_ge_u32 s23, s1
	s_cselect_b32 s24, -1, 0
	s_cmp_ge_u32 s22, s0
	s_cselect_b32 s0, -1, 0
	s_cmp_eq_u32 s23, s1
	s_cselect_b32 s0, s0, s24
	s_cmp_lg_u32 s0, 0
	s_cselect_b32 s1, s27, s7
	s_cselect_b32 s0, s26, s5
	s_xor_b64 s[20:21], s[20:21], 0
	s_mov_b32 s7, 0
	s_xor_b64 s[0:1], s[0:1], s[20:21]
	s_sub_u32 s0, s0, s20
.LBB39_11:                              ;   in Loop: Header=BB39_9 Depth=1
	s_andn2_b32 vcc_lo, exec_lo, s7
	s_cbranch_vccnz .LBB39_13
; %bb.12:                               ;   in Loop: Header=BB39_9 Depth=1
	v_readfirstlane_b32 s0, v0
	s_mul_i32 s1, s16, s0
	s_mul_hi_u32 s1, s0, s1
	s_add_i32 s0, s0, s1
	s_mul_hi_u32 s0, s6, s0
	s_mul_i32 s1, s0, s9
	s_add_i32 s5, s0, 1
	s_sub_i32 s1, s6, s1
	s_sub_i32 s6, s1, s9
	s_cmp_ge_u32 s1, s9
	s_cselect_b32 s0, s5, s0
	s_cselect_b32 s1, s6, s1
	s_add_i32 s5, s0, 1
	s_cmp_ge_u32 s1, s9
	s_cselect_b32 s0, s5, s0
.LBB39_13:                              ;   in Loop: Header=BB39_9 Depth=1
	s_cmp_lg_u32 s10, s0
	s_mov_b32 s6, -1
                                        ; implicit-def: $sgpr5
                                        ; implicit-def: $vgpr8
                                        ; implicit-def: $vgpr7
                                        ; implicit-def: $vgpr9
                                        ; implicit-def: $sgpr1
                                        ; implicit-def: $sgpr20
	s_cbranch_scc0 .LBB39_18
; %bb.14:                               ;   in Loop: Header=BB39_9 Depth=1
	s_add_i32 s1, s17, s9
	s_mov_b32 s7, s4
	s_lshl_b32 s1, s1, 5
	s_mov_b32 s20, s10
	s_add_i32 s6, s1, s2
	s_mul_hi_u32 s1, s0, s12
	s_lshl_b64 s[6:7], s[6:7], 3
	s_add_u32 s6, s18, s6
	s_addc_u32 s7, s19, s7
	s_add_i32 s1, s1, s0
	s_lshr_b32 s1, s1, s13
	s_mul_i32 s5, s1, s14
	s_cmp_eq_u32 s5, s0
	s_cselect_b32 s5, -1, 0
	s_cmp_lt_u32 s1, s11
	s_cselect_b32 s1, -1, 0
	s_or_b32 s1, s1, s5
	s_mov_b32 s5, -1
	s_and_b32 vcc_lo, exec_lo, s1
	s_mov_b32 s1, s17
	s_cbranch_vccnz .LBB39_16
; %bb.15:                               ;   in Loop: Header=BB39_9 Depth=1
	s_add_i32 s1, s17, -1
	s_mov_b32 s5, 0
	s_mov_b32 s20, s0
.LBB39_16:                              ;   in Loop: Header=BB39_9 Depth=1
	v_mad_u64_u32 v[7:8], null, 0xe00, s17, v[3:4]
	s_load_dwordx2 s[6:7], s[6:7], 0x0
	v_ashrrev_i32_e32 v8, 31, v7
	v_lshlrev_b64 v[7:8], 2, v[7:8]
	v_add_co_u32 v7, vcc_lo, s8, v7
	v_add_co_ci_u32_e64 v8, null, s15, v8, vcc_lo
	s_waitcnt lgkmcnt(0)
	v_max_f32_e64 v9, s6, s6
	global_load_dword v8, v[7:8], off
	v_max_f32_e32 v7, v6, v6
	v_max_f32_e32 v7, v7, v9
	v_sub_f32_e32 v9, s6, v7
	v_sub_f32_e32 v10, v6, v7
	v_mul_f32_e32 v11, 0x3fb8aa3b, v9
	v_mul_f32_e32 v12, 0x3fb8aa3b, v10
	v_cmp_ngt_f32_e32 vcc_lo, 0xc2ce8ed0, v9
	v_fma_f32 v13, 0x3fb8aa3b, v9, -v11
	v_rndne_f32_e32 v14, v11
	v_fma_f32 v15, 0x3fb8aa3b, v10, -v12
	v_rndne_f32_e32 v16, v12
	v_fmac_f32_e32 v13, 0x32a5705f, v9
	v_sub_f32_e32 v11, v11, v14
	v_fmac_f32_e32 v15, 0x32a5705f, v10
	v_sub_f32_e32 v12, v12, v16
	v_add_f32_e32 v11, v11, v13
	v_cvt_i32_f32_e32 v13, v14
	v_add_f32_e32 v12, v12, v15
	v_cvt_i32_f32_e32 v14, v16
	v_exp_f32_e32 v11, v11
	v_exp_f32_e32 v12, v12
	v_ldexp_f32 v11, v11, v13
	v_ldexp_f32 v12, v12, v14
	v_cndmask_b32_e32 v11, 0, v11, vcc_lo
	v_cmp_ngt_f32_e32 vcc_lo, 0xc2ce8ed0, v10
	v_cndmask_b32_e32 v12, 0, v12, vcc_lo
	v_cmp_nlt_f32_e32 vcc_lo, 0x42b17218, v9
	v_cndmask_b32_e32 v11, 0x7f800000, v11, vcc_lo
	v_cmp_nlt_f32_e32 vcc_lo, 0x42b17218, v10
	v_cndmask_b32_e32 v12, 0x7f800000, v12, vcc_lo
	v_cmp_le_f32_e32 vcc_lo, 0xc1a00000, v9
	v_cndmask_b32_e32 v9, 0, v11, vcc_lo
	v_cmp_le_f32_e32 vcc_lo, 0xc1a00000, v10
	v_cndmask_b32_e32 v10, 0, v12, vcc_lo
	s_waitcnt vmcnt(0)
	v_mul_f32_e32 v8, v8, v9
	v_mul_f32_e32 v9, s7, v9
	v_fmac_f32_e32 v8, v5, v10
	v_fmac_f32_e32 v9, v4, v10
	s_cbranch_execz .LBB39_19
.LBB39_17:                              ;   in Loop: Header=BB39_9 Depth=1
	s_andn2_b32 vcc_lo, exec_lo, s5
	s_cbranch_vccnz .LBB39_20
	s_branch .LBB39_23
.LBB39_18:                              ;   in Loop: Header=BB39_9 Depth=1
	s_andn2_b32 vcc_lo, exec_lo, s6
	s_cbranch_vccnz .LBB39_17
.LBB39_19:                              ;   in Loop: Header=BB39_9 Depth=1
	v_mov_b32_e32 v9, v4
	v_mov_b32_e32 v7, v6
	s_waitcnt vmcnt(0)
	v_mov_b32_e32 v8, v5
	s_add_i32 s1, s17, -1
	s_mov_b32 s20, s10
	s_cbranch_execz .LBB39_23
.LBB39_20:                              ;   in Loop: Header=BB39_9 Depth=1
	v_mov_b32_e32 v4, v9
	v_mov_b32_e32 v6, v7
	s_waitcnt vmcnt(0)
	v_mov_b32_e32 v5, v8
	s_mov_b32 s10, s20
	s_mov_b32 s17, s1
	s_branch .LBB39_9
.LBB39_21:
                                        ; implicit-def: $sgpr10_sgpr11
	s_load_dwordx4 s[12:15], s[4:5], 0x44
	s_branch .LBB39_2
.LBB39_22:
                                        ; implicit-def: $sgpr18_sgpr19
	s_branch .LBB39_5
.LBB39_23:
	v_div_scale_f32 v0, null, v9, v9, v8
	v_rcp_f32_e32 v3, v0
	v_fma_f32 v4, -v0, v3, 1.0
	v_fmac_f32_e32 v3, v4, v3
	v_div_scale_f32 v4, vcc_lo, v8, v9, v8
	s_waitcnt vmcnt(0)
	v_mul_f32_e32 v5, v4, v3
	v_fma_f32 v6, -v0, v5, v4
	v_fmac_f32_e32 v5, v6, v3
	v_fma_f32 v0, -v0, v5, v4
	v_div_fmas_f32 v0, v0, v3, v5
	v_div_fixup_f32 v0, v0, v9, v8
	global_store_dword v[1:2], v0, off
.LBB39_24:
	s_endpgm
	.section	.rodata,"a",@progbits
	.p2align	6, 0x0
	.amdhsa_kernel _ZL33flash_attn_stream_k_fixup_generalILi112ELi16ELi2EEvPfPK15HIP_vector_typeIfLj2EEiiiiS1_IjLj3EES5_S5_S5_
		.amdhsa_group_segment_fixed_size 0
		.amdhsa_private_segment_fixed_size 0
		.amdhsa_kernarg_size 336
		.amdhsa_user_sgpr_count 6
		.amdhsa_user_sgpr_private_segment_buffer 1
		.amdhsa_user_sgpr_dispatch_ptr 0
		.amdhsa_user_sgpr_queue_ptr 0
		.amdhsa_user_sgpr_kernarg_segment_ptr 1
		.amdhsa_user_sgpr_dispatch_id 0
		.amdhsa_user_sgpr_flat_scratch_init 0
		.amdhsa_user_sgpr_private_segment_size 0
		.amdhsa_wavefront_size32 1
		.amdhsa_uses_dynamic_stack 0
		.amdhsa_system_sgpr_private_segment_wavefront_offset 0
		.amdhsa_system_sgpr_workgroup_id_x 1
		.amdhsa_system_sgpr_workgroup_id_y 1
		.amdhsa_system_sgpr_workgroup_id_z 1
		.amdhsa_system_sgpr_workgroup_info 0
		.amdhsa_system_vgpr_workitem_id 0
		.amdhsa_next_free_vgpr 17
		.amdhsa_next_free_sgpr 31
		.amdhsa_reserve_vcc 1
		.amdhsa_reserve_flat_scratch 0
		.amdhsa_float_round_mode_32 0
		.amdhsa_float_round_mode_16_64 0
		.amdhsa_float_denorm_mode_32 3
		.amdhsa_float_denorm_mode_16_64 3
		.amdhsa_dx10_clamp 1
		.amdhsa_ieee_mode 1
		.amdhsa_fp16_overflow 0
		.amdhsa_workgroup_processor_mode 1
		.amdhsa_memory_ordered 1
		.amdhsa_forward_progress 1
		.amdhsa_shared_vgpr_count 0
		.amdhsa_exception_fp_ieee_invalid_op 0
		.amdhsa_exception_fp_denorm_src 0
		.amdhsa_exception_fp_ieee_div_zero 0
		.amdhsa_exception_fp_ieee_overflow 0
		.amdhsa_exception_fp_ieee_underflow 0
		.amdhsa_exception_fp_ieee_inexact 0
		.amdhsa_exception_int_div_zero 0
	.end_amdhsa_kernel
	.section	.text._ZL33flash_attn_stream_k_fixup_generalILi112ELi16ELi2EEvPfPK15HIP_vector_typeIfLj2EEiiiiS1_IjLj3EES5_S5_S5_,"axG",@progbits,_ZL33flash_attn_stream_k_fixup_generalILi112ELi16ELi2EEvPfPK15HIP_vector_typeIfLj2EEiiiiS1_IjLj3EES5_S5_S5_,comdat
.Lfunc_end39:
	.size	_ZL33flash_attn_stream_k_fixup_generalILi112ELi16ELi2EEvPfPK15HIP_vector_typeIfLj2EEiiiiS1_IjLj3EES5_S5_S5_, .Lfunc_end39-_ZL33flash_attn_stream_k_fixup_generalILi112ELi16ELi2EEvPfPK15HIP_vector_typeIfLj2EEiiiiS1_IjLj3EES5_S5_S5_
                                        ; -- End function
	.set _ZL33flash_attn_stream_k_fixup_generalILi112ELi16ELi2EEvPfPK15HIP_vector_typeIfLj2EEiiiiS1_IjLj3EES5_S5_S5_.num_vgpr, 17
	.set _ZL33flash_attn_stream_k_fixup_generalILi112ELi16ELi2EEvPfPK15HIP_vector_typeIfLj2EEiiiiS1_IjLj3EES5_S5_S5_.num_agpr, 0
	.set _ZL33flash_attn_stream_k_fixup_generalILi112ELi16ELi2EEvPfPK15HIP_vector_typeIfLj2EEiiiiS1_IjLj3EES5_S5_S5_.numbered_sgpr, 31
	.set _ZL33flash_attn_stream_k_fixup_generalILi112ELi16ELi2EEvPfPK15HIP_vector_typeIfLj2EEiiiiS1_IjLj3EES5_S5_S5_.num_named_barrier, 0
	.set _ZL33flash_attn_stream_k_fixup_generalILi112ELi16ELi2EEvPfPK15HIP_vector_typeIfLj2EEiiiiS1_IjLj3EES5_S5_S5_.private_seg_size, 0
	.set _ZL33flash_attn_stream_k_fixup_generalILi112ELi16ELi2EEvPfPK15HIP_vector_typeIfLj2EEiiiiS1_IjLj3EES5_S5_S5_.uses_vcc, 1
	.set _ZL33flash_attn_stream_k_fixup_generalILi112ELi16ELi2EEvPfPK15HIP_vector_typeIfLj2EEiiiiS1_IjLj3EES5_S5_S5_.uses_flat_scratch, 0
	.set _ZL33flash_attn_stream_k_fixup_generalILi112ELi16ELi2EEvPfPK15HIP_vector_typeIfLj2EEiiiiS1_IjLj3EES5_S5_S5_.has_dyn_sized_stack, 0
	.set _ZL33flash_attn_stream_k_fixup_generalILi112ELi16ELi2EEvPfPK15HIP_vector_typeIfLj2EEiiiiS1_IjLj3EES5_S5_S5_.has_recursion, 0
	.set _ZL33flash_attn_stream_k_fixup_generalILi112ELi16ELi2EEvPfPK15HIP_vector_typeIfLj2EEiiiiS1_IjLj3EES5_S5_S5_.has_indirect_call, 0
	.section	.AMDGPU.csdata,"",@progbits
; Kernel info:
; codeLenInByte = 2948
; TotalNumSgprs: 33
; NumVgprs: 17
; ScratchSize: 0
; MemoryBound: 0
; FloatMode: 240
; IeeeMode: 1
; LDSByteSize: 0 bytes/workgroup (compile time only)
; SGPRBlocks: 0
; VGPRBlocks: 2
; NumSGPRsForWavesPerEU: 33
; NumVGPRsForWavesPerEU: 17
; Occupancy: 16
; WaveLimiterHint : 0
; COMPUTE_PGM_RSRC2:SCRATCH_EN: 0
; COMPUTE_PGM_RSRC2:USER_SGPR: 6
; COMPUTE_PGM_RSRC2:TRAP_HANDLER: 0
; COMPUTE_PGM_RSRC2:TGID_X_EN: 1
; COMPUTE_PGM_RSRC2:TGID_Y_EN: 1
; COMPUTE_PGM_RSRC2:TGID_Z_EN: 1
; COMPUTE_PGM_RSRC2:TIDIG_COMP_CNT: 0
	.section	.text._ZL15flash_attn_tileILi112ELi112ELi8ELi2ELb0EEvPKcS1_S1_S1_S1_PKiPfP15HIP_vector_typeIfLj2EEffffjfiS5_IjLj3EEiiiiiiiiiiiliiliiiiil,"axG",@progbits,_ZL15flash_attn_tileILi112ELi112ELi8ELi2ELb0EEvPKcS1_S1_S1_S1_PKiPfP15HIP_vector_typeIfLj2EEffffjfiS5_IjLj3EEiiiiiiiiiiiliiliiiiil,comdat
	.globl	_ZL15flash_attn_tileILi112ELi112ELi8ELi2ELb0EEvPKcS1_S1_S1_S1_PKiPfP15HIP_vector_typeIfLj2EEffffjfiS5_IjLj3EEiiiiiiiiiiiliiliiiiil ; -- Begin function _ZL15flash_attn_tileILi112ELi112ELi8ELi2ELb0EEvPKcS1_S1_S1_S1_PKiPfP15HIP_vector_typeIfLj2EEffffjfiS5_IjLj3EEiiiiiiiiiiiliiliiiiil
	.p2align	8
	.type	_ZL15flash_attn_tileILi112ELi112ELi8ELi2ELb0EEvPKcS1_S1_S1_S1_PKiPfP15HIP_vector_typeIfLj2EEffffjfiS5_IjLj3EEiiiiiiiiiiiliiliiiiil,@function
_ZL15flash_attn_tileILi112ELi112ELi8ELi2ELb0EEvPKcS1_S1_S1_S1_PKiPfP15HIP_vector_typeIfLj2EEffffjfiS5_IjLj3EEiiiiiiiiiiiliiliiiiil: ; @_ZL15flash_attn_tileILi112ELi112ELi8ELi2ELb0EEvPKcS1_S1_S1_S1_PKiPfP15HIP_vector_typeIfLj2EEffffjfiS5_IjLj3EEiiiiiiiiiiiliiliiiiil
; %bb.0:
	s_clause 0x1
	s_load_dwordx4 s[24:27], s[4:5], 0x5c
	s_load_dwordx2 s[36:37], s[4:5], 0x80
	s_mov_b32 s34, s7
	s_mov_b64 s[38:39], 0
	s_waitcnt lgkmcnt(0)
	s_lshr_b32 s0, s27, 31
	s_add_i32 s0, s27, s0
	s_ashr_i32 s0, s0, 1
	v_cvt_f32_u32_e32 v2, s0
	s_sub_i32 s2, 0, s0
	v_rcp_iflag_f32_e32 v2, v2
	v_mul_f32_e32 v2, 0x4f7ffffe, v2
	v_cvt_u32_f32_e32 v2, v2
	v_readfirstlane_b32 s1, v2
	s_mul_i32 s2, s2, s1
	s_mul_hi_u32 s2, s1, s2
	s_add_i32 s1, s1, s2
	s_mul_hi_u32 s1, s8, s1
	s_mul_i32 s2, s1, s0
	s_add_i32 s3, s1, 1
	s_sub_i32 s2, s8, s2
	s_sub_i32 s7, s2, s0
	s_cmp_ge_u32 s2, s0
	s_cselect_b32 s1, s3, s1
	s_cselect_b32 s2, s7, s2
	s_add_i32 s3, s1, 1
	s_cmp_ge_u32 s2, s0
	s_cselect_b32 s33, s3, s1
	s_abs_i32 s0, s37
	s_abs_i32 s3, s27
	v_cvt_f32_u32_e32 v2, s0
	s_sub_i32 s2, 0, s0
	s_lshl_b32 s28, s8, 1
	s_mul_i32 s29, s33, s27
	v_rcp_iflag_f32_e32 v2, v2
	v_mul_f32_e32 v2, 0x4f7ffffe, v2
	v_cvt_u32_f32_e32 v2, v2
	v_readfirstlane_b32 s1, v2
	s_mul_i32 s2, s2, s1
	s_mul_hi_u32 s2, s1, s2
	s_add_i32 s1, s1, s2
	s_xor_b32 s2, s27, s37
	s_mul_hi_u32 s1, s3, s1
	s_ashr_i32 s2, s2, 31
	s_mul_i32 s7, s1, s0
	s_sub_i32 s3, s3, s7
	s_add_i32 s7, s1, 1
	s_sub_i32 s8, s3, s0
	s_cmp_ge_u32 s3, s0
	s_cselect_b32 s1, s7, s1
	s_cselect_b32 s3, s8, s3
	s_add_i32 s7, s1, 1
	s_cmp_ge_u32 s3, s0
	s_cselect_b32 s0, s7, s1
	s_xor_b32 s0, s0, s2
	s_sub_i32 s3, s0, s2
	s_clause 0x1
	s_load_dwordx16 s[8:23], s[4:5], 0x0
	s_load_dwordx2 s[0:1], s[4:5], 0xb8
	s_abs_i32 s2, s3
	v_cvt_f32_u32_e32 v2, s2
	v_rcp_iflag_f32_e32 v2, v2
	v_mul_f32_e32 v2, 0x4f7ffffe, v2
	s_waitcnt lgkmcnt(0)
	s_cmp_eq_u64 s[14:15], 0
	v_cvt_u32_f32_e32 v2, v2
	v_readfirstlane_b32 s7, v2
	s_cbranch_scc1 .LBB40_2
; %bb.1:
	s_abs_i32 s0, s0
	s_abs_i32 s35, s33
	v_cvt_f32_u32_e32 v2, s0
	s_sub_i32 s31, 0, s0
	v_rcp_iflag_f32_e32 v2, v2
	v_mul_f32_e32 v2, 0x4f7ffffe, v2
	v_cvt_u32_f32_e32 v2, v2
	v_readfirstlane_b32 s30, v2
	s_mul_i32 s31, s31, s30
	s_mul_hi_u32 s31, s30, s31
	s_add_i32 s30, s30, s31
	s_mul_hi_u32 s37, s35, s30
	s_load_dwordx2 s[30:31], s[4:5], 0xc8
	s_mul_i32 s37, s37, s0
	s_sub_i32 s35, s35, s37
	s_ashr_i32 s37, s33, 31
	s_sub_i32 s38, s35, s0
	s_cmp_ge_u32 s35, s0
	s_cselect_b32 s35, s38, s35
	s_sub_i32 s38, s35, s0
	s_cmp_ge_u32 s35, s0
	s_cselect_b32 s0, s38, s35
	s_xor_b32 s0, s0, s37
	s_sub_i32 s0, s0, s37
	s_ashr_i32 s35, s0, 31
	s_waitcnt lgkmcnt(0)
	s_mul_hi_u32 s37, s30, s0
	s_mul_i32 s35, s30, s35
	s_mul_i32 s31, s31, s0
	s_add_i32 s35, s37, s35
	s_mul_i32 s0, s30, s0
	s_add_i32 s35, s35, s31
	s_add_u32 s38, s14, s0
	s_addc_u32 s39, s15, s35
.LBB40_2:
	v_lshl_add_u32 v50, s6, 3, v1
	v_cmp_gt_u32_e64 s0, 28, v0
	v_lshlrev_b32_e32 v49, 2, v0
	v_lshlrev_b32_e32 v66, 3, v0
	s_sub_i32 s14, s28, s29
	v_mul_hi_u32 v2, s24, v50
	v_add_nc_u32_e32 v2, v50, v2
	v_lshrrev_b32_e32 v2, s25, v2
	v_mul_lo_u32 v2, v2, s26
	v_sub_nc_u32_e32 v2, v50, v2
	s_and_saveexec_b32 s15, s0
	s_cbranch_execz .LBB40_4
; %bb.3:
	s_load_dwordx4 s[28:31], s[4:5], 0x70
	s_waitcnt lgkmcnt(0)
	s_mul_i32 s25, s33, s30
	s_mul_i32 s30, s14, s29
	s_ashr_i32 s31, s25, 31
	s_add_u32 s8, s8, s25
	s_addc_u32 s9, s9, s31
	s_ashr_i32 s25, s30, 31
	s_add_u32 s30, s8, s30
	s_mov_b32 s24, s28
	s_addc_u32 s31, s9, s25
	s_ashr_i32 s25, s28, 31
	s_lshr_b64 s[8:9], s[24:25], 2
	s_and_b32 s9, s29, -4
	v_mad_u64_u32 v[3:4], null, s8, v2, 0
	s_lshr_b32 s8, s25, 2
	v_mad_u64_u32 v[4:5], null, s8, v2, v[4:5]
	v_lshlrev_b32_e32 v5, 2, v49
	s_ashr_i32 s8, s29, 31
	v_lshlrev_b64 v[3:4], 2, v[3:4]
	v_add_co_u32 v3, vcc_lo, s30, v3
	v_add_co_ci_u32_e64 v4, null, s31, v4, vcc_lo
	v_add_co_u32 v7, vcc_lo, v3, v5
	v_add_co_ci_u32_e64 v8, null, 0, v4, vcc_lo
	global_load_dwordx4 v[3:6], v[7:8], off
	v_add_co_u32 v7, vcc_lo, v7, s9
	v_add_co_ci_u32_e64 v8, null, s8, v8, vcc_lo
	s_load_dword s8, s[4:5], 0x40
	global_load_dwordx4 v[7:10], v[7:8], off
	s_waitcnt vmcnt(1) lgkmcnt(0)
	v_fma_mixlo_f16 v4, s8, v4, 0
	v_fma_mixlo_f16 v3, s8, v3, 0
	;; [unrolled: 1-line block ×4, first 2 shown]
	v_lshlrev_b32_e32 v4, 16, v4
	v_and_b32_e32 v3, 0xffff, v3
	v_and_b32_e32 v5, 0xffff, v5
	s_waitcnt vmcnt(0)
	v_fma_mixlo_f16 v8, s8, v8, 0
	v_fma_mixlo_f16 v7, s8, v7, 0
	;; [unrolled: 1-line block ×4, first 2 shown]
	v_lshlrev_b32_e32 v6, 16, v6
	v_lshlrev_b32_e32 v8, 16, v8
	v_and_b32_e32 v7, 0xffff, v7
	v_or_b32_e32 v3, v4, v3
	v_lshlrev_b32_e32 v10, 16, v10
	v_and_b32_e32 v9, 0xffff, v9
	v_or3_b32 v4, v6, v5, 0
	v_or_b32_e32 v7, v8, v7
	v_mad_u32_u24 v8, 0x1c0, v1, v66
	v_or3_b32 v3, 0, 0, v3
	v_or3_b32 v6, v10, v9, 0
	;; [unrolled: 1-line block ×3, first 2 shown]
	v_add_nc_u32_e32 v7, 0x1000, v8
	ds_write2_b64 v7, v[3:4], v[5:6] offset0:8 offset1:36
.LBB40_4:
	s_or_b32 exec_lo, exec_lo, s15
	s_cmp_eq_u64 s[18:19], 0
	s_waitcnt lgkmcnt(0)
	s_barrier
	buffer_gl0_inv
	s_cbranch_scc1 .LBB40_6
; %bb.5:
	s_load_dword s8, s[4:5], 0xd0
	s_mov_b32 s9, 0
	s_waitcnt lgkmcnt(0)
	s_mul_i32 s8, s8, s33
	s_add_i32 s8, s8, s6
	s_lshl_b64 s[8:9], s[8:9], 2
	s_add_u32 s8, s18, s8
	s_addc_u32 s9, s19, s9
	s_load_dword s36, s[8:9], 0x0
.LBB40_6:
	v_mbcnt_lo_u32_b32 v67, -1, 0
	s_lshl_b32 s15, s34, 5
	s_waitcnt lgkmcnt(0)
	s_cmp_lt_i32 s15, s36
	s_cbranch_scc1 .LBB40_9
; %bb.7:
	v_mbcnt_lo_u32_b32 v3, -1, 0
	v_mov_b32_e32 v69, 32
	v_xor_b32_e32 v88, 16, v3
	v_xor_b32_e32 v89, 8, v3
	;; [unrolled: 1-line block ×5, first 2 shown]
	s_cbranch_execz .LBB40_10
; %bb.8:
	v_mov_b32_e32 v77, 0
	v_mov_b32_e32 v93, 0
	;; [unrolled: 1-line block ×8, first 2 shown]
	s_branch .LBB40_38
.LBB40_9:
                                        ; implicit-def: $vgpr3
                                        ; implicit-def: $vgpr69
                                        ; implicit-def: $vgpr88
                                        ; implicit-def: $vgpr89
                                        ; implicit-def: $vgpr90
                                        ; implicit-def: $vgpr91
                                        ; implicit-def: $vgpr92
.LBB40_10:
	s_clause 0x1
	s_load_dwordx4 s[28:31], s[4:5], 0x98
	s_load_dwordx2 s[8:9], s[4:5], 0x8c
	s_sub_i32 s6, 0, s2
	s_abs_i32 s35, s14
	s_mul_i32 s6, s6, s7
	s_ashr_i32 s37, s14, 31
	s_mul_hi_u32 s6, s7, s6
	s_ashr_i32 s3, s3, 31
	s_add_i32 s7, s7, s6
	s_ashr_i32 s6, s1, 1
	s_mul_hi_u32 s1, s35, s7
	s_ashr_i32 s7, s33, 31
	s_load_dwordx2 s[18:19], s[4:5], 0xa8
	s_mul_i32 s40, s1, s2
	v_lshrrev_b32_e32 v3, 1, v0
	v_lshrrev_b32_e32 v4, 2, v0
	v_and_b32_e32 v15, 4, v49
	v_mad_u64_u32 v[51:52], null, v2, s6, v[0:1]
	v_lshl_add_u32 v9, v1, 4, v3
	s_waitcnt lgkmcnt(0)
	s_ashr_i32 s24, s30, 2
	s_ashr_i32 s25, s8, 2
	s_mul_hi_u32 s8, s28, s33
	s_mul_i32 s30, s28, s7
	s_mul_i32 s29, s29, s33
	s_add_i32 s8, s8, s30
	s_mul_i32 s28, s28, s33
	s_add_i32 s8, s8, s29
	s_add_u32 s10, s10, s28
	s_addc_u32 s8, s11, s8
	s_sub_i32 s11, s35, s40
	s_xor_b32 s3, s37, s3
	s_add_i32 s28, s1, 1
	s_sub_i32 s29, s11, s2
	s_cmp_ge_u32 s11, s2
	s_mul_i32 s7, s18, s7
	s_cselect_b32 s1, s28, s1
	s_cselect_b32 s11, s29, s11
	s_add_i32 s28, s1, 1
	s_cmp_ge_u32 s11, s2
	s_mul_hi_u32 s2, s18, s33
	s_cselect_b32 s1, s28, s1
	s_mul_i32 s11, s18, s33
	s_xor_b32 s1, s1, s3
	v_lshrrev_b32_e32 v2, 3, v0
	s_sub_i32 s1, s1, s3
	s_mul_i32 s3, s19, s33
	s_mul_i32 s9, s1, s9
	;; [unrolled: 1-line block ×3, first 2 shown]
	s_ashr_i32 s18, s9, 31
	s_add_u32 s28, s10, s9
	s_addc_u32 s29, s8, s18
	s_add_i32 s2, s2, s7
	v_lshl_add_u32 v5, v1, 5, v0
	s_add_i32 s2, s2, s3
	s_add_u32 s3, s12, s11
	s_addc_u32 s8, s13, s2
	s_ashr_i32 s9, s1, 31
	s_add_u32 s13, s3, s1
	s_movk_i32 s3, 0x1c0
	v_lshl_add_u32 v10, v1, 3, v4
	v_lshlrev_b32_e32 v6, 7, v9
	v_lshlrev_b32_e32 v11, 2, v15
	v_mad_u32_u24 v75, v1, s3, 0x1040
	v_mul_u32_u24_e32 v13, 0xe0, v9
	v_lshl_add_u32 v76, v1, 7, 0x1e40
	v_lshl_add_u32 v1, v1, 2, v2
	v_and_b32_e32 v16, 12, v49
	v_cmp_gt_u32_e32 vcc_lo, 32, v5
	v_cmp_gt_u32_e64 s1, 32, v9
	v_mul_lo_u32 v3, s25, v5
	v_mul_lo_u32 v5, s25, v9
	;; [unrolled: 1-line block ×3, first 2 shown]
	v_or3_b32 v73, v6, v11, 64
	v_cmp_gt_u32_e64 s3, 16, v9
	v_or_b32_e32 v2, v13, v11
	v_mul_lo_u32 v9, s24, v9
	v_mul_lo_u32 v11, s24, v10
	;; [unrolled: 1-line block ×3, first 2 shown]
	v_lshlrev_b32_e32 v12, 2, v16
	v_mul_u32_u24_e32 v14, 0xe0, v10
	v_and_b32_e32 v78, 28, v49
	v_cmp_gt_u32_e64 s2, 32, v10
	v_ashrrev_i32_e32 v4, 31, v3
	v_ashrrev_i32_e32 v6, 31, v5
	v_lshl_or_b32 v74, v10, 7, v12
	v_ashrrev_i32_e32 v8, 31, v7
	v_cmp_gt_u32_e64 s6, 16, v10
	v_ashrrev_i32_e32 v10, 31, v9
	v_add3_u32 v81, v14, v12, 0x80
	v_ashrrev_i32_e32 v12, 31, v11
	v_ashrrev_i32_e32 v14, 31, v13
	v_lshlrev_b32_e32 v71, 7, v0
	v_lshlrev_b32_e32 v17, 2, v78
	v_lshlrev_b64 v[52:53], 2, v[3:4]
	v_lshlrev_b64 v[54:55], 2, v[5:6]
	;; [unrolled: 1-line block ×6, first 2 shown]
	v_or_b32_e32 v72, 0x60, v71
	v_mov_b32_e32 v68, 0
	v_cmp_gt_u32_e64 s7, 16, v1
	v_add_nc_u32_e32 v79, 0xc0, v2
	v_mad_u32_u24 v82, 0xe0, v1, v17
	v_mov_b32_e32 v1, 0xfeffffff
	v_mov_b32_e32 v69, 32
	v_lshlrev_b32_e32 v83, 2, v15
	v_lshlrev_b32_e32 v84, 2, v16
	v_mov_b32_e32 v85, 0x10001
	v_mov_b32_e32 v70, 0
	;; [unrolled: 1-line block ×7, first 2 shown]
	s_addc_u32 s30, s8, s9
	s_add_u32 s18, s4, 0xd0
	s_addc_u32 s19, s5, 0
.LBB40_11:                              ; =>This Inner Loop Header: Depth=1
	s_mul_hi_i32 s9, s15, s25
	s_mul_i32 s8, s15, s25
	s_lshl_b64 s[10:11], s[8:9], 2
	s_add_u32 s9, s28, s10
	s_addc_u32 s10, s29, s11
	s_and_saveexec_b32 s11, vcc_lo
	s_cbranch_execnz .LBB40_29
; %bb.12:                               ;   in Loop: Header=BB40_11 Depth=1
	s_or_b32 exec_lo, exec_lo, s11
	s_and_saveexec_b32 s11, s1
	s_cbranch_execnz .LBB40_30
.LBB40_13:                              ;   in Loop: Header=BB40_11 Depth=1
	s_or_b32 exec_lo, exec_lo, s11
	s_and_saveexec_b32 s11, s2
	s_cbranch_execz .LBB40_15
.LBB40_14:                              ;   in Loop: Header=BB40_11 Depth=1
	v_add_co_u32 v3, s8, s9, v56
	v_add_co_ci_u32_e64 v4, null, s10, v57, s8
	v_add_co_u32 v3, s8, v3, v84
	v_add_co_ci_u32_e64 v4, null, 0, v4, s8
	global_load_dwordx4 v[3:6], v[3:4], off
	s_waitcnt vmcnt(0)
	ds_write_b128 v74, v[3:6]
.LBB40_15:                              ;   in Loop: Header=BB40_11 Depth=1
	s_or_b32 exec_lo, exec_lo, s11
	s_waitcnt lgkmcnt(0)
	s_barrier
	buffer_gl0_inv
	ds_read_b128 v[5:8], v71
	ds_read_b128 v[9:12], v75
	ds_read_b128 v[13:16], v75 offset:224
	v_mov_b32_e32 v4, 0
	v_mov_b32_e32 v3, 0
	s_waitcnt lgkmcnt(1)
	;;#ASMSTART
	v_dot2_f32_f16 v4, v5, v9, v4
	;;#ASMEND
	;;#ASMSTART
	v_dot2_f32_f16 v4, v6, v10, v4
	;;#ASMEND
	;;#ASMSTART
	v_dot2_f32_f16 v4, v7, v11, v4
	;;#ASMEND
	;;#ASMSTART
	v_dot2_f32_f16 v4, v8, v12, v4
	;;#ASMEND
	s_waitcnt lgkmcnt(0)
	;;#ASMSTART
	v_dot2_f32_f16 v3, v5, v13, v3
	;;#ASMEND
	;;#ASMSTART
	v_dot2_f32_f16 v3, v6, v14, v3
	;;#ASMEND
	;;#ASMSTART
	v_dot2_f32_f16 v3, v7, v15, v3
	;;#ASMEND
	;;#ASMSTART
	v_dot2_f32_f16 v3, v8, v16, v3
	;;#ASMEND
	ds_read_b128 v[5:8], v71 offset:16
	ds_read_b128 v[9:12], v75 offset:16
	ds_read_b128 v[13:16], v75 offset:240
	s_waitcnt lgkmcnt(1)
	;;#ASMSTART
	v_dot2_f32_f16 v4, v5, v9, v4
	;;#ASMEND
	;;#ASMSTART
	v_dot2_f32_f16 v4, v6, v10, v4
	;;#ASMEND
	;;#ASMSTART
	v_dot2_f32_f16 v4, v7, v11, v4
	;;#ASMEND
	;;#ASMSTART
	v_dot2_f32_f16 v4, v8, v12, v4
	;;#ASMEND
	s_waitcnt lgkmcnt(0)
	;;#ASMSTART
	v_dot2_f32_f16 v3, v5, v13, v3
	;;#ASMEND
	;;#ASMSTART
	v_dot2_f32_f16 v3, v6, v14, v3
	;;#ASMEND
	;;#ASMSTART
	v_dot2_f32_f16 v3, v7, v15, v3
	;;#ASMEND
	;;#ASMSTART
	v_dot2_f32_f16 v3, v8, v16, v3
	;;#ASMEND
	ds_read_b128 v[5:8], v71 offset:32
	ds_read_b128 v[9:12], v75 offset:32
	ds_read_b128 v[13:16], v75 offset:256
	;; [unrolled: 29-line block ×6, first 2 shown]
	s_waitcnt lgkmcnt(1)
	;;#ASMSTART
	v_dot2_f32_f16 v4, v5, v9, v4
	;;#ASMEND
	;;#ASMSTART
	v_dot2_f32_f16 v4, v6, v10, v4
	;;#ASMEND
	;; [unrolled: 3-line block ×4, first 2 shown]
	s_waitcnt lgkmcnt(0)
	;;#ASMSTART
	v_dot2_f32_f16 v3, v5, v13, v3
	;;#ASMEND
	;;#ASMSTART
	v_dot2_f32_f16 v3, v6, v14, v3
	;;#ASMEND
	;; [unrolled: 3-line block ×4, first 2 shown]
	s_barrier
	buffer_gl0_inv
	s_and_saveexec_b32 s11, vcc_lo
	s_cbranch_execnz .LBB40_31
; %bb.16:                               ;   in Loop: Header=BB40_11 Depth=1
	s_or_b32 exec_lo, exec_lo, s11
	s_and_saveexec_b32 s11, s1
	s_cbranch_execnz .LBB40_32
.LBB40_17:                              ;   in Loop: Header=BB40_11 Depth=1
	s_or_b32 exec_lo, exec_lo, s11
	s_and_saveexec_b32 s11, s2
	s_cbranch_execz .LBB40_19
.LBB40_18:                              ;   in Loop: Header=BB40_11 Depth=1
	v_add_co_u32 v5, s8, s9, v56
	v_add_co_ci_u32_e64 v6, null, s10, v57, s8
	v_add_co_u32 v5, s8, v5, v84
	v_add_co_ci_u32_e64 v6, null, 0, v6, s8
	global_load_dwordx4 v[5:8], v[5:6], off offset:112
	s_waitcnt vmcnt(0)
	ds_write_b128 v74, v[5:8]
.LBB40_19:                              ;   in Loop: Header=BB40_11 Depth=1
	s_or_b32 exec_lo, exec_lo, s11
	s_waitcnt lgkmcnt(0)
	s_barrier
	buffer_gl0_inv
	ds_read_b128 v[5:8], v71
	ds_read_b128 v[9:12], v75 offset:112
	ds_read_b128 v[13:16], v75 offset:336
	v_add_nc_u32_e32 v17, s15, v51
	v_xor_b32_e32 v88, 16, v67
	v_xor_b32_e32 v89, 8, v67
	;; [unrolled: 1-line block ×4, first 2 shown]
	v_ashrrev_i32_e32 v18, 31, v17
	v_xor_b32_e32 v92, 1, v67
	s_mul_hi_i32 s41, s15, s24
	s_mul_i32 s40, s15, s24
	s_waitcnt lgkmcnt(1)
	;;#ASMSTART
	v_dot2_f32_f16 v4, v5, v9, v4
	;;#ASMEND
	;;#ASMSTART
	v_dot2_f32_f16 v4, v6, v10, v4
	;;#ASMEND
	;; [unrolled: 3-line block ×4, first 2 shown]
	s_waitcnt lgkmcnt(0)
	;;#ASMSTART
	v_dot2_f32_f16 v3, v5, v13, v3
	;;#ASMEND
	;;#ASMSTART
	v_dot2_f32_f16 v3, v6, v14, v3
	;;#ASMEND
	;; [unrolled: 3-line block ×4, first 2 shown]
	ds_read_b128 v[5:8], v71 offset:16
	ds_read_b128 v[9:12], v75 offset:128
	;; [unrolled: 1-line block ×3, first 2 shown]
	v_lshlrev_b64 v[17:18], 1, v[17:18]
	s_lshl_b64 s[40:41], s[40:41], 2
	s_waitcnt lgkmcnt(1)
	;;#ASMSTART
	v_dot2_f32_f16 v4, v5, v9, v4
	;;#ASMEND
	;;#ASMSTART
	v_dot2_f32_f16 v4, v6, v10, v4
	;;#ASMEND
	;; [unrolled: 3-line block ×4, first 2 shown]
	s_waitcnt lgkmcnt(0)
	;;#ASMSTART
	v_dot2_f32_f16 v3, v5, v13, v3
	;;#ASMEND
	;;#ASMSTART
	v_dot2_f32_f16 v3, v6, v14, v3
	;;#ASMEND
	;; [unrolled: 3-line block ×4, first 2 shown]
	ds_read_b128 v[5:8], v71 offset:32
	ds_read_b128 v[9:12], v75 offset:144
	;; [unrolled: 1-line block ×3, first 2 shown]
	v_add_co_u32 v17, s8, s38, v17
	v_add_co_ci_u32_e64 v18, null, s39, v18, s8
	v_cmp_gt_i32_e64 s8, 32, v88
	s_add_u32 s31, s13, s40
	s_addc_u32 s35, s30, s41
	s_waitcnt lgkmcnt(1)
	;;#ASMSTART
	v_dot2_f32_f16 v4, v5, v9, v4
	;;#ASMEND
	;;#ASMSTART
	v_dot2_f32_f16 v4, v6, v10, v4
	;;#ASMEND
	;;#ASMSTART
	v_dot2_f32_f16 v4, v7, v11, v4
	;;#ASMEND
	;;#ASMSTART
	v_dot2_f32_f16 v4, v8, v12, v4
	;;#ASMEND
	s_waitcnt lgkmcnt(0)
	;;#ASMSTART
	v_dot2_f32_f16 v3, v5, v13, v3
	;;#ASMEND
	;;#ASMSTART
	v_dot2_f32_f16 v3, v6, v14, v3
	;;#ASMEND
	;;#ASMSTART
	v_dot2_f32_f16 v3, v7, v15, v3
	;;#ASMEND
	;;#ASMSTART
	v_dot2_f32_f16 v3, v8, v16, v3
	;;#ASMEND
	ds_read_b128 v[5:8], v71 offset:48
	ds_read_b128 v[9:12], v75 offset:160
	ds_read_b128 v[13:16], v75 offset:384
	s_waitcnt lgkmcnt(1)
	;;#ASMSTART
	v_dot2_f32_f16 v4, v5, v9, v4
	;;#ASMEND
	;;#ASMSTART
	v_dot2_f32_f16 v4, v6, v10, v4
	;;#ASMEND
	;;#ASMSTART
	v_dot2_f32_f16 v4, v7, v11, v4
	;;#ASMEND
	;;#ASMSTART
	v_dot2_f32_f16 v4, v8, v12, v4
	;;#ASMEND
	s_waitcnt lgkmcnt(0)
	;;#ASMSTART
	v_dot2_f32_f16 v3, v5, v13, v3
	;;#ASMEND
	;;#ASMSTART
	v_dot2_f32_f16 v3, v6, v14, v3
	;;#ASMEND
	;;#ASMSTART
	v_dot2_f32_f16 v3, v7, v15, v3
	;;#ASMEND
	;;#ASMSTART
	v_dot2_f32_f16 v3, v8, v16, v3
	;;#ASMEND
	ds_read_b128 v[5:8], v71 offset:64
	ds_read_b128 v[9:12], v75 offset:176
	ds_read_b128 v[13:16], v75 offset:400
	;; [unrolled: 29-line block ×4, first 2 shown]
	s_waitcnt lgkmcnt(1)
	;;#ASMSTART
	v_dot2_f32_f16 v4, v5, v9, v4
	;;#ASMEND
	;;#ASMSTART
	v_dot2_f32_f16 v4, v6, v10, v4
	;;#ASMEND
	;; [unrolled: 3-line block ×4, first 2 shown]
	s_waitcnt lgkmcnt(0)
	;;#ASMSTART
	v_dot2_f32_f16 v3, v5, v13, v3
	;;#ASMEND
	;;#ASMSTART
	v_dot2_f32_f16 v3, v6, v14, v3
	;;#ASMEND
	;; [unrolled: 3-line block ×4, first 2 shown]
	global_load_ushort v5, v[17:18], off
	v_max_f32_e32 v6, v1, v1
	v_max_f32_e32 v8, v2, v2
	s_waitcnt vmcnt(0)
	s_barrier
	buffer_gl0_inv
	v_cvt_f32_f16_e32 v5, v5
	v_add_f32_e32 v4, v4, v5
	v_add_f32_e32 v3, v3, v5
	v_cndmask_b32_e64 v5, v67, v88, s8
	v_cmp_gt_i32_e64 s8, 32, v89
	v_add_f32_e32 v7, 0x40051340, v4
	v_add_f32_e32 v9, 0x40051340, v3
	v_lshlrev_b32_e32 v5, 2, v5
	v_max_f32_e32 v6, v6, v7
	v_max_f32_e32 v7, v8, v9
	v_cndmask_b32_e64 v9, v67, v89, s8
	v_cmp_gt_i32_e64 s8, 32, v90
	ds_bpermute_b32 v8, v5, v6
	ds_bpermute_b32 v5, v5, v7
	v_lshlrev_b32_e32 v9, 2, v9
	s_waitcnt lgkmcnt(1)
	v_max_f32_e32 v8, v8, v8
	s_waitcnt lgkmcnt(0)
	v_max_f32_e32 v5, v5, v5
	v_max_f32_e32 v6, v6, v8
	;; [unrolled: 1-line block ×3, first 2 shown]
	ds_bpermute_b32 v7, v9, v6
	ds_bpermute_b32 v8, v9, v5
	v_cndmask_b32_e64 v9, v67, v90, s8
	v_cmp_gt_i32_e64 s8, 32, v91
	v_lshlrev_b32_e32 v9, 2, v9
	s_waitcnt lgkmcnt(1)
	v_max_f32_e32 v7, v7, v7
	s_waitcnt lgkmcnt(0)
	v_max_f32_e32 v8, v8, v8
	v_max_f32_e32 v6, v6, v7
	;; [unrolled: 1-line block ×3, first 2 shown]
	ds_bpermute_b32 v7, v9, v6
	ds_bpermute_b32 v8, v9, v5
	v_cndmask_b32_e64 v9, v67, v91, s8
	v_cmp_gt_i32_e64 s8, 32, v92
	v_lshlrev_b32_e32 v9, 2, v9
	s_waitcnt lgkmcnt(1)
	v_max_f32_e32 v7, v7, v7
	s_waitcnt lgkmcnt(0)
	v_max_f32_e32 v8, v8, v8
	v_max_f32_e32 v6, v6, v7
	;; [unrolled: 1-line block ×3, first 2 shown]
	ds_bpermute_b32 v7, v9, v6
	ds_bpermute_b32 v8, v9, v5
	v_cndmask_b32_e64 v9, v67, v92, s8
	v_lshlrev_b32_e32 v9, 2, v9
	s_waitcnt lgkmcnt(1)
	v_max_f32_e32 v7, v7, v7
	s_waitcnt lgkmcnt(0)
	v_max_f32_e32 v8, v8, v8
	v_max_f32_e32 v6, v6, v7
	;; [unrolled: 1-line block ×3, first 2 shown]
	ds_bpermute_b32 v7, v9, v6
	ds_bpermute_b32 v8, v9, v5
	s_waitcnt lgkmcnt(1)
	v_max_f32_e32 v7, v7, v7
	s_waitcnt lgkmcnt(0)
	v_max_f32_e32 v8, v8, v8
	v_max_f32_e32 v64, v6, v7
	v_max_f32_e32 v65, v5, v8
	v_sub_f32_e32 v4, v4, v64
	v_sub_f32_e32 v3, v3, v65
	;; [unrolled: 1-line block ×4, first 2 shown]
	v_mul_f32_e32 v5, 0x3fb8aa3b, v4
	v_mul_f32_e32 v6, 0x3fb8aa3b, v3
	v_cmp_ngt_f32_e64 s8, 0xc2ce8ed0, v4
	v_cmp_ngt_f32_e64 s10, 0xc2ce8ed0, v96
	;; [unrolled: 1-line block ×3, first 2 shown]
	v_fma_f32 v7, 0x3fb8aa3b, v4, -v5
	v_rndne_f32_e32 v8, v5
	v_fma_f32 v9, 0x3fb8aa3b, v3, -v6
	v_rndne_f32_e32 v10, v6
	v_cmp_nlt_f32_e64 s9, 0x42b17218, v97
	v_fmac_f32_e32 v7, 0x32a5705f, v4
	v_sub_f32_e32 v5, v5, v8
	v_fmac_f32_e32 v9, 0x32a5705f, v3
	v_sub_f32_e32 v6, v6, v10
	v_add_f32_e32 v5, v5, v7
	v_cvt_i32_f32_e32 v7, v8
	v_add_f32_e32 v6, v6, v9
	v_cvt_i32_f32_e32 v8, v10
	v_exp_f32_e32 v5, v5
	v_exp_f32_e32 v6, v6
	v_ldexp_f32 v5, v5, v7
	v_ldexp_f32 v6, v6, v8
	v_cndmask_b32_e64 v1, 0, v5, s8
	v_cmp_ngt_f32_e64 s8, 0xc2ce8ed0, v3
	v_cndmask_b32_e64 v5, 0, v6, s8
	v_cmp_nlt_f32_e64 s8, 0x42b17218, v4
	v_cndmask_b32_e64 v94, 0x7f800000, v1, s8
	v_cmp_nlt_f32_e64 s8, 0x42b17218, v3
	v_add_nc_u32_e32 v3, v76, v49
	v_cvt_f16_f32_e32 v1, v94
	v_cndmask_b32_e64 v93, 0x7f800000, v5, s8
	v_cmp_nlt_f32_e64 s8, 0x42b17218, v96
	v_cvt_f16_f32_e32 v2, v93
	v_pack_b32_f16 v1, v1, v2
	ds_write_b32 v3, v1
	s_and_saveexec_b32 s37, s3
	s_cbranch_execnz .LBB40_33
; %bb.20:                               ;   in Loop: Header=BB40_11 Depth=1
	s_or_b32 exec_lo, exec_lo, s37
	s_and_saveexec_b32 s37, s6
	s_cbranch_execnz .LBB40_34
.LBB40_21:                              ;   in Loop: Header=BB40_11 Depth=1
	s_or_b32 exec_lo, exec_lo, s37
	v_lshlrev_b32_e32 v98, 2, v78
	s_and_saveexec_b32 s37, s7
	s_cbranch_execz .LBB40_23
.LBB40_22:                              ;   in Loop: Header=BB40_11 Depth=1
	v_add_co_u32 v1, s12, s31, v62
	v_add_co_ci_u32_e64 v2, null, s35, v63, s12
	v_add_co_u32 v1, s12, v1, v98
	v_add_co_ci_u32_e64 v2, null, 0, v2, s12
	global_load_dwordx4 v[1:4], v[1:2], off
	s_waitcnt vmcnt(0)
	ds_write_b128 v82, v[1:4]
.LBB40_23:                              ;   in Loop: Header=BB40_11 Depth=1
	s_or_b32 exec_lo, exec_lo, s37
	v_add_nc_u32_e32 v95, 0x800, v66
	s_waitcnt lgkmcnt(0)
	s_barrier
	buffer_gl0_inv
	ds_read2_b64 v[29:32], v66 offset1:28
	ds_read_b128 v[45:48], v76
	ds_read_b128 v[41:44], v76 offset:16
	ds_read_b128 v[37:40], v76 offset:32
	;; [unrolled: 1-line block ×3, first 2 shown]
	ds_read2_b64 v[33:36], v66 offset0:56 offset1:84
	ds_read2_b64 v[21:24], v66 offset0:112 offset1:140
	;; [unrolled: 1-line block ×7, first 2 shown]
	s_or_b32 s12, s15, 16
	s_waitcnt lgkmcnt(0)
	s_mul_hi_i32 s41, s12, s24
	s_mul_i32 s40, s12, s24
	s_barrier
	s_lshl_b64 s[40:41], s[40:41], 2
	buffer_gl0_inv
	s_add_u32 s31, s13, s40
	s_addc_u32 s35, s30, s41
	s_and_saveexec_b32 s37, s3
	s_cbranch_execnz .LBB40_35
; %bb.24:                               ;   in Loop: Header=BB40_11 Depth=1
	s_or_b32 exec_lo, exec_lo, s37
	s_and_saveexec_b32 s37, s6
	s_cbranch_execnz .LBB40_36
.LBB40_25:                              ;   in Loop: Header=BB40_11 Depth=1
	s_or_b32 exec_lo, exec_lo, s37
	s_and_saveexec_b32 s37, s7
	s_cbranch_execz .LBB40_27
.LBB40_26:                              ;   in Loop: Header=BB40_11 Depth=1
	v_add_co_u32 v99, s12, s31, v62
	v_add_co_ci_u32_e64 v100, null, s35, v63, s12
	v_add_co_u32 v98, s12, v99, v98
	v_add_co_ci_u32_e64 v99, null, 0, v100, s12
	global_load_dwordx4 v[98:101], v[98:99], off
	s_waitcnt vmcnt(0)
	ds_write_b128 v82, v[98:101]
.LBB40_27:                              ;   in Loop: Header=BB40_11 Depth=1
	s_or_b32 exec_lo, exec_lo, s37
	v_mul_f32_e32 v98, 0x3fb8aa3b, v96
	v_mul_f32_e32 v99, 0x3fb8aa3b, v97
	v_mul_u32_u24_sdwa v100, v45, v85 dst_sel:DWORD dst_unused:UNUSED_PAD src0_sel:WORD_0 src1_sel:DWORD
	v_mul_u32_u24_sdwa v45, v45, v85 dst_sel:DWORD dst_unused:UNUSED_PAD src0_sel:WORD_1 src1_sel:DWORD
	v_mul_u32_u24_sdwa v112, v25, v85 dst_sel:DWORD dst_unused:UNUSED_PAD src0_sel:WORD_0 src1_sel:DWORD
	v_fma_f32 v101, 0x3fb8aa3b, v96, -v98
	v_rndne_f32_e32 v102, v98
	v_fma_f32 v103, 0x3fb8aa3b, v97, -v99
	v_rndne_f32_e32 v104, v99
	v_mul_u32_u24_sdwa v113, v25, v85 dst_sel:DWORD dst_unused:UNUSED_PAD src0_sel:WORD_1 src1_sel:DWORD
	v_fmac_f32_e32 v101, 0x32a5705f, v96
	v_sub_f32_e32 v96, v98, v102
	v_fmac_f32_e32 v103, 0x32a5705f, v97
	v_sub_f32_e32 v97, v99, v104
	v_cvt_i32_f32_e32 v102, v102
	v_cvt_i32_f32_e32 v104, v104
	v_add_f32_e32 v96, v96, v101
	v_mul_u32_u24_sdwa v98, v46, v85 dst_sel:DWORD dst_unused:UNUSED_PAD src0_sel:WORD_0 src1_sel:DWORD
	v_add_f32_e32 v97, v97, v103
	v_mul_u32_u24_sdwa v46, v46, v85 dst_sel:DWORD dst_unused:UNUSED_PAD src0_sel:WORD_1 src1_sel:DWORD
	v_mul_u32_u24_sdwa v99, v47, v85 dst_sel:DWORD dst_unused:UNUSED_PAD src0_sel:WORD_0 src1_sel:DWORD
	v_exp_f32_e32 v96, v96
	v_mul_u32_u24_sdwa v47, v47, v85 dst_sel:DWORD dst_unused:UNUSED_PAD src0_sel:WORD_1 src1_sel:DWORD
	v_exp_f32_e32 v97, v97
	v_mul_u32_u24_sdwa v114, v26, v85 dst_sel:DWORD dst_unused:UNUSED_PAD src0_sel:WORD_0 src1_sel:DWORD
	v_mul_u32_u24_sdwa v101, v48, v85 dst_sel:DWORD dst_unused:UNUSED_PAD src0_sel:WORD_0 src1_sel:DWORD
	v_mul_u32_u24_sdwa v48, v48, v85 dst_sel:DWORD dst_unused:UNUSED_PAD src0_sel:WORD_1 src1_sel:DWORD
	v_mul_u32_u24_sdwa v103, v41, v85 dst_sel:DWORD dst_unused:UNUSED_PAD src0_sel:WORD_0 src1_sel:DWORD
	v_mul_u32_u24_sdwa v41, v41, v85 dst_sel:DWORD dst_unused:UNUSED_PAD src0_sel:WORD_1 src1_sel:DWORD
	v_mul_u32_u24_sdwa v105, v42, v85 dst_sel:DWORD dst_unused:UNUSED_PAD src0_sel:WORD_0 src1_sel:DWORD
	v_mul_u32_u24_sdwa v42, v42, v85 dst_sel:DWORD dst_unused:UNUSED_PAD src0_sel:WORD_1 src1_sel:DWORD
	v_ldexp_f32 v96, v96, v102
	v_mul_u32_u24_sdwa v106, v43, v85 dst_sel:DWORD dst_unused:UNUSED_PAD src0_sel:WORD_0 src1_sel:DWORD
	v_ldexp_f32 v97, v97, v104
	v_mul_u32_u24_sdwa v43, v43, v85 dst_sel:DWORD dst_unused:UNUSED_PAD src0_sel:WORD_1 src1_sel:DWORD
	v_mul_u32_u24_sdwa v102, v44, v85 dst_sel:DWORD dst_unused:UNUSED_PAD src0_sel:WORD_0 src1_sel:DWORD
	v_cndmask_b32_e64 v96, 0, v96, s10
	v_mul_u32_u24_sdwa v44, v44, v85 dst_sel:DWORD dst_unused:UNUSED_PAD src0_sel:WORD_1 src1_sel:DWORD
	v_cndmask_b32_e64 v97, 0, v97, s11
	v_mul_u32_u24_sdwa v104, v37, v85 dst_sel:DWORD dst_unused:UNUSED_PAD src0_sel:WORD_0 src1_sel:DWORD
	v_mul_u32_u24_sdwa v37, v37, v85 dst_sel:DWORD dst_unused:UNUSED_PAD src0_sel:WORD_1 src1_sel:DWORD
	v_cndmask_b32_e64 v96, 0x7f800000, v96, s8
	v_mul_u32_u24_sdwa v107, v38, v85 dst_sel:DWORD dst_unused:UNUSED_PAD src0_sel:WORD_0 src1_sel:DWORD
	v_cndmask_b32_e64 v97, 0x7f800000, v97, s9
	v_mul_u32_u24_sdwa v38, v38, v85 dst_sel:DWORD dst_unused:UNUSED_PAD src0_sel:WORD_1 src1_sel:DWORD
	v_mul_u32_u24_sdwa v108, v39, v85 dst_sel:DWORD dst_unused:UNUSED_PAD src0_sel:WORD_0 src1_sel:DWORD
	v_cvt_f16_f32_e32 v110, v96
	v_mul_u32_u24_sdwa v39, v39, v85 dst_sel:DWORD dst_unused:UNUSED_PAD src0_sel:WORD_1 src1_sel:DWORD
	v_cvt_f16_f32_e32 v111, v97
	v_mul_u32_u24_sdwa v109, v40, v85 dst_sel:DWORD dst_unused:UNUSED_PAD src0_sel:WORD_0 src1_sel:DWORD
	v_mul_u32_u24_sdwa v40, v40, v85 dst_sel:DWORD dst_unused:UNUSED_PAD src0_sel:WORD_1 src1_sel:DWORD
	v_mul_u32_u24_sdwa v25, v110, v85 dst_sel:DWORD dst_unused:UNUSED_PAD src0_sel:WORD_0 src1_sel:DWORD
	s_waitcnt lgkmcnt(0)
	v_mul_u32_u24_sdwa v110, v111, v85 dst_sel:DWORD dst_unused:UNUSED_PAD src0_sel:WORD_0 src1_sel:DWORD
	v_pk_mul_f16 v111, v29, v100
	v_pk_mul_f16 v29, v29, v45
	v_pk_mul_f16 v80, v80, v25
	s_barrier
	v_pk_mul_f16 v68, v68, v110
	v_pk_fma_f16 v25, v77, v25, v111
	v_pk_fma_f16 v29, v70, v110, v29
	v_mul_u32_u24_sdwa v70, v26, v85 dst_sel:DWORD dst_unused:UNUSED_PAD src0_sel:WORD_1 src1_sel:DWORD
	v_pk_fma_f16 v26, v30, v100, v80
	v_pk_fma_f16 v30, v30, v45, v68
	;; [unrolled: 1-line block ×4, first 2 shown]
	v_mul_u32_u24_sdwa v31, v27, v85 dst_sel:DWORD dst_unused:UNUSED_PAD src0_sel:WORD_0 src1_sel:DWORD
	v_pk_fma_f16 v26, v32, v98, v26
	v_pk_fma_f16 v30, v32, v46, v30
	;; [unrolled: 1-line block ×4, first 2 shown]
	v_mul_u32_u24_sdwa v32, v27, v85 dst_sel:DWORD dst_unused:UNUSED_PAD src0_sel:WORD_1 src1_sel:DWORD
	v_pk_fma_f16 v26, v34, v99, v26
	v_pk_fma_f16 v27, v34, v47, v30
	;; [unrolled: 1-line block ×4, first 2 shown]
	buffer_gl0_inv
	v_pk_fma_f16 v26, v36, v101, v26
	v_pk_fma_f16 v27, v36, v48, v27
	;; [unrolled: 1-line block ×4, first 2 shown]
	v_mul_u32_u24_sdwa v30, v28, v85 dst_sel:DWORD dst_unused:UNUSED_PAD src0_sel:WORD_0 src1_sel:DWORD
	v_pk_fma_f16 v26, v22, v103, v26
	v_pk_fma_f16 v22, v22, v41, v27
	;; [unrolled: 1-line block ×4, first 2 shown]
	v_mul_u32_u24_sdwa v29, v28, v85 dst_sel:DWORD dst_unused:UNUSED_PAD src0_sel:WORD_1 src1_sel:DWORD
	v_pk_fma_f16 v23, v24, v105, v26
	v_pk_fma_f16 v22, v24, v42, v22
	;; [unrolled: 1-line block ×4, first 2 shown]
	v_fmac_f32_e32 v94, v87, v96
	v_pk_fma_f16 v21, v18, v106, v23
	v_pk_fma_f16 v18, v18, v43, v22
	;; [unrolled: 1-line block ×4, first 2 shown]
	v_fmac_f32_e32 v93, v86, v97
	v_pk_fma_f16 v21, v20, v102, v21
	v_pk_fma_f16 v23, v20, v44, v18
	;; [unrolled: 1-line block ×4, first 2 shown]
	ds_read_b128 v[17:20], v76 offset:64
	v_pk_fma_f16 v25, v14, v104, v21
	v_pk_fma_f16 v14, v14, v37, v23
	;; [unrolled: 1-line block ×4, first 2 shown]
	ds_read2_b64 v[21:24], v66 offset1:28
	v_pk_fma_f16 v25, v16, v107, v25
	v_pk_fma_f16 v27, v16, v38, v14
	;; [unrolled: 1-line block ×4, first 2 shown]
	ds_read_b128 v[13:16], v76 offset:80
	v_pk_fma_f16 v33, v10, v108, v25
	v_pk_fma_f16 v10, v10, v39, v27
	v_pk_fma_f16 v34, v11, v109, v26
	v_pk_fma_f16 v9, v11, v40, v9
	ds_read2_b64 v[25:28], v66 offset0:56 offset1:84
	v_pk_fma_f16 v11, v12, v109, v33
	v_pk_fma_f16 v10, v12, v40, v10
	;; [unrolled: 1-line block ×4, first 2 shown]
	s_waitcnt lgkmcnt(3)
	v_mul_u32_u24_sdwa v9, v17, v85 dst_sel:DWORD dst_unused:UNUSED_PAD src0_sel:WORD_0 src1_sel:DWORD
	v_pk_fma_f16 v11, v6, v112, v11
	v_pk_fma_f16 v6, v6, v113, v10
	;; [unrolled: 1-line block ×4, first 2 shown]
	v_mul_u32_u24_sdwa v7, v17, v85 dst_sel:DWORD dst_unused:UNUSED_PAD src0_sel:WORD_1 src1_sel:DWORD
	v_pk_fma_f16 v11, v8, v114, v11
	v_pk_fma_f16 v6, v8, v70, v6
	;; [unrolled: 1-line block ×4, first 2 shown]
	v_mul_u32_u24_sdwa v5, v18, v85 dst_sel:DWORD dst_unused:UNUSED_PAD src0_sel:WORD_0 src1_sel:DWORD
	v_pk_fma_f16 v10, v2, v31, v11
	v_pk_fma_f16 v2, v2, v32, v6
	;; [unrolled: 1-line block ×4, first 2 shown]
	v_mul_u32_u24_sdwa v8, v18, v85 dst_sel:DWORD dst_unused:UNUSED_PAD src0_sel:WORD_1 src1_sel:DWORD
	v_pk_fma_f16 v3, v4, v30, v10
	v_pk_fma_f16 v2, v4, v29, v2
	s_waitcnt lgkmcnt(2)
	v_pk_fma_f16 v4, v21, v9, v6
	v_pk_fma_f16 v1, v21, v7, v1
	v_mul_u32_u24_sdwa v11, v19, v85 dst_sel:DWORD dst_unused:UNUSED_PAD src0_sel:WORD_0 src1_sel:DWORD
	v_pk_fma_f16 v6, v22, v9, v3
	v_pk_fma_f16 v7, v22, v7, v2
	;; [unrolled: 1-line block ×4, first 2 shown]
	ds_read2_b64 v[1:4], v66 offset0:112 offset1:140
	v_mul_u32_u24_sdwa v12, v19, v85 dst_sel:DWORD dst_unused:UNUSED_PAD src0_sel:WORD_1 src1_sel:DWORD
	v_pk_fma_f16 v5, v24, v5, v6
	v_pk_fma_f16 v6, v24, v8, v7
	s_waitcnt lgkmcnt(1)
	v_pk_fma_f16 v7, v25, v11, v9
	v_mul_u32_u24_sdwa v9, v20, v85 dst_sel:DWORD dst_unused:UNUSED_PAD src0_sel:WORD_0 src1_sel:DWORD
	v_pk_fma_f16 v8, v25, v12, v10
	v_mul_u32_u24_sdwa v10, v20, v85 dst_sel:DWORD dst_unused:UNUSED_PAD src0_sel:WORD_1 src1_sel:DWORD
	v_pk_fma_f16 v11, v26, v11, v5
	v_pk_fma_f16 v12, v26, v12, v6
	;; [unrolled: 1-line block ×3, first 2 shown]
	v_mul_u32_u24_sdwa v19, v13, v85 dst_sel:DWORD dst_unused:UNUSED_PAD src0_sel:WORD_0 src1_sel:DWORD
	v_pk_fma_f16 v18, v27, v10, v8
	ds_read2_b64 v[5:8], v66 offset0:168 offset1:196
	v_mul_u32_u24_sdwa v13, v13, v85 dst_sel:DWORD dst_unused:UNUSED_PAD src0_sel:WORD_1 src1_sel:DWORD
	v_pk_fma_f16 v20, v28, v9, v11
	v_pk_fma_f16 v21, v28, v10, v12
	v_mul_u32_u24_sdwa v22, v14, v85 dst_sel:DWORD dst_unused:UNUSED_PAD src0_sel:WORD_0 src1_sel:DWORD
	ds_read_b128 v[9:12], v76 offset:96
	v_mul_u32_u24_sdwa v14, v14, v85 dst_sel:DWORD dst_unused:UNUSED_PAD src0_sel:WORD_1 src1_sel:DWORD
	s_waitcnt lgkmcnt(2)
	v_pk_fma_f16 v17, v1, v19, v17
	v_pk_fma_f16 v1, v1, v13, v18
	;; [unrolled: 1-line block ×4, first 2 shown]
	v_mul_u32_u24_sdwa v21, v15, v85 dst_sel:DWORD dst_unused:UNUSED_PAD src0_sel:WORD_0 src1_sel:DWORD
	v_pk_fma_f16 v13, v3, v22, v17
	ds_read2_b64 v[17:20], v66 offset0:224 offset1:252
	v_pk_fma_f16 v1, v3, v14, v1
	v_mul_u32_u24_sdwa v15, v15, v85 dst_sel:DWORD dst_unused:UNUSED_PAD src0_sel:WORD_1 src1_sel:DWORD
	v_pk_fma_f16 v22, v4, v22, v23
	v_pk_fma_f16 v14, v4, v14, v2
	v_mul_u32_u24_sdwa v23, v16, v85 dst_sel:DWORD dst_unused:UNUSED_PAD src0_sel:WORD_0 src1_sel:DWORD
	v_mul_u32_u24_sdwa v24, v16, v85 dst_sel:DWORD dst_unused:UNUSED_PAD src0_sel:WORD_1 src1_sel:DWORD
	s_waitcnt lgkmcnt(2)
	v_pk_fma_f16 v13, v5, v21, v13
	v_pk_fma_f16 v5, v5, v15, v1
	;; [unrolled: 1-line block ×4, first 2 shown]
	ds_read_b128 v[1:4], v76 offset:112
	v_pk_fma_f16 v22, v7, v23, v13
	ds_read2_b64 v[13:16], v95 offset0:24 offset1:52
	v_pk_fma_f16 v5, v7, v24, v5
	s_waitcnt lgkmcnt(3)
	v_mul_u32_u24_sdwa v7, v9, v85 dst_sel:DWORD dst_unused:UNUSED_PAD src0_sel:WORD_0 src1_sel:DWORD
	v_mul_u32_u24_sdwa v9, v9, v85 dst_sel:DWORD dst_unused:UNUSED_PAD src0_sel:WORD_1 src1_sel:DWORD
	v_pk_fma_f16 v21, v8, v23, v21
	v_pk_fma_f16 v6, v8, v24, v6
	s_waitcnt lgkmcnt(2)
	v_pk_fma_f16 v8, v17, v7, v22
	v_pk_fma_f16 v5, v17, v9, v5
	v_mul_u32_u24_sdwa v17, v10, v85 dst_sel:DWORD dst_unused:UNUSED_PAD src0_sel:WORD_0 src1_sel:DWORD
	v_mul_u32_u24_sdwa v10, v10, v85 dst_sel:DWORD dst_unused:UNUSED_PAD src0_sel:WORD_1 src1_sel:DWORD
	v_pk_fma_f16 v21, v18, v7, v21
	v_pk_fma_f16 v9, v18, v9, v6
	v_mul_u32_u24_sdwa v22, v11, v85 dst_sel:DWORD dst_unused:UNUSED_PAD src0_sel:WORD_0 src1_sel:DWORD
	v_pk_fma_f16 v18, v19, v17, v8
	v_pk_fma_f16 v19, v19, v10, v5
	ds_read2_b64 v[5:8], v95 offset0:80 offset1:108
	v_mul_u32_u24_sdwa v11, v11, v85 dst_sel:DWORD dst_unused:UNUSED_PAD src0_sel:WORD_1 src1_sel:DWORD
	v_pk_fma_f16 v17, v20, v17, v21
	v_pk_fma_f16 v9, v20, v10, v9
	s_waitcnt lgkmcnt(1)
	v_pk_fma_f16 v10, v13, v22, v18
	v_mul_u32_u24_sdwa v18, v12, v85 dst_sel:DWORD dst_unused:UNUSED_PAD src0_sel:WORD_0 src1_sel:DWORD
	v_pk_fma_f16 v13, v13, v11, v19
	v_mul_u32_u24_sdwa v19, v12, v85 dst_sel:DWORD dst_unused:UNUSED_PAD src0_sel:WORD_1 src1_sel:DWORD
	v_pk_fma_f16 v17, v14, v22, v17
	v_pk_fma_f16 v14, v14, v11, v9
	;; [unrolled: 1-line block ×3, first 2 shown]
	ds_read2_b64 v[9:12], v95 offset0:136 offset1:164
	s_waitcnt lgkmcnt(0)
	s_barrier
	buffer_gl0_inv
	s_load_dword s8, s[18:19], 0x4
	v_pk_fma_f16 v13, v15, v19, v13
	v_mul_u32_u24_sdwa v15, v1, v85 dst_sel:DWORD dst_unused:UNUSED_PAD src0_sel:WORD_0 src1_sel:DWORD
	v_mul_u32_u24_sdwa v1, v1, v85 dst_sel:DWORD dst_unused:UNUSED_PAD src0_sel:WORD_1 src1_sel:DWORD
	v_pk_fma_f16 v17, v16, v18, v17
	v_pk_fma_f16 v14, v16, v19, v14
	;; [unrolled: 1-line block ×4, first 2 shown]
	v_mul_u32_u24_sdwa v13, v2, v85 dst_sel:DWORD dst_unused:UNUSED_PAD src0_sel:WORD_0 src1_sel:DWORD
	v_mul_u32_u24_sdwa v2, v2, v85 dst_sel:DWORD dst_unused:UNUSED_PAD src0_sel:WORD_1 src1_sel:DWORD
	v_pk_fma_f16 v15, v6, v15, v17
	v_pk_fma_f16 v1, v6, v1, v14
	;; [unrolled: 1-line block ×4, first 2 shown]
	v_mul_u32_u24_sdwa v7, v3, v85 dst_sel:DWORD dst_unused:UNUSED_PAD src0_sel:WORD_0 src1_sel:DWORD
	v_mul_u32_u24_sdwa v3, v3, v85 dst_sel:DWORD dst_unused:UNUSED_PAD src0_sel:WORD_1 src1_sel:DWORD
	v_pk_fma_f16 v13, v8, v13, v15
	v_pk_fma_f16 v1, v8, v2, v1
	s_waitcnt lgkmcnt(0)
	s_lshl_b32 s8, s8, 5
	v_pk_fma_f16 v2, v9, v7, v6
	v_pk_fma_f16 v5, v9, v3, v5
	v_mul_u32_u24_sdwa v6, v4, v85 dst_sel:DWORD dst_unused:UNUSED_PAD src0_sel:WORD_0 src1_sel:DWORD
	v_mul_u32_u24_sdwa v4, v4, v85 dst_sel:DWORD dst_unused:UNUSED_PAD src0_sel:WORD_1 src1_sel:DWORD
	v_pk_fma_f16 v7, v10, v7, v13
	v_pk_fma_f16 v1, v10, v3, v1
	s_add_i32 s15, s8, s15
	v_pk_fma_f16 v77, v11, v6, v2
	v_pk_fma_f16 v70, v11, v4, v5
	;; [unrolled: 1-line block ×4, first 2 shown]
	s_cmp_ge_i32 s15, s36
	s_cbranch_scc1 .LBB40_37
; %bb.28:                               ;   in Loop: Header=BB40_11 Depth=1
	v_mov_b32_e32 v1, v64
	v_mov_b32_e32 v2, v65
	;; [unrolled: 1-line block ×4, first 2 shown]
	s_branch .LBB40_11
.LBB40_29:                              ;   in Loop: Header=BB40_11 Depth=1
	v_add_co_u32 v3, s8, s9, v52
	v_add_co_ci_u32_e64 v4, null, s10, v53, s8
	global_load_dwordx4 v[3:6], v[3:4], off offset:96
	s_waitcnt vmcnt(0)
	ds_write_b128 v72, v[3:6]
	s_or_b32 exec_lo, exec_lo, s11
	s_and_saveexec_b32 s11, s1
	s_cbranch_execz .LBB40_13
.LBB40_30:                              ;   in Loop: Header=BB40_11 Depth=1
	v_add_co_u32 v3, s8, s9, v54
	v_add_co_ci_u32_e64 v4, null, s10, v55, s8
	v_add_co_u32 v3, s8, v3, v83
	v_add_co_ci_u32_e64 v4, null, 0, v4, s8
	global_load_dwordx4 v[3:6], v[3:4], off offset:64
	s_waitcnt vmcnt(0)
	ds_write_b128 v73, v[3:6]
	s_or_b32 exec_lo, exec_lo, s11
	s_and_saveexec_b32 s11, s2
	s_cbranch_execnz .LBB40_14
	s_branch .LBB40_15
.LBB40_31:                              ;   in Loop: Header=BB40_11 Depth=1
	v_add_co_u32 v5, s8, s9, v52
	v_add_co_ci_u32_e64 v6, null, s10, v53, s8
	global_load_dwordx4 v[5:8], v[5:6], off offset:208
	s_waitcnt vmcnt(0)
	ds_write_b128 v72, v[5:8]
	s_or_b32 exec_lo, exec_lo, s11
	s_and_saveexec_b32 s11, s1
	s_cbranch_execz .LBB40_17
.LBB40_32:                              ;   in Loop: Header=BB40_11 Depth=1
	v_add_co_u32 v5, s8, s9, v54
	v_add_co_ci_u32_e64 v6, null, s10, v55, s8
	v_add_co_u32 v5, s8, v5, v83
	v_add_co_ci_u32_e64 v6, null, 0, v6, s8
	global_load_dwordx4 v[5:8], v[5:6], off offset:176
	s_waitcnt vmcnt(0)
	ds_write_b128 v73, v[5:8]
	s_or_b32 exec_lo, exec_lo, s11
	s_and_saveexec_b32 s11, s2
	s_cbranch_execnz .LBB40_18
	s_branch .LBB40_19
.LBB40_33:                              ;   in Loop: Header=BB40_11 Depth=1
	v_add_co_u32 v1, s12, s31, v58
	v_add_co_ci_u32_e64 v2, null, s35, v59, s12
	v_add_co_u32 v1, s12, v1, v83
	v_add_co_ci_u32_e64 v2, null, 0, v2, s12
	global_load_dwordx4 v[1:4], v[1:2], off offset:192
	s_waitcnt vmcnt(0)
	ds_write_b128 v79, v[1:4]
	s_or_b32 exec_lo, exec_lo, s37
	s_and_saveexec_b32 s37, s6
	s_cbranch_execz .LBB40_21
.LBB40_34:                              ;   in Loop: Header=BB40_11 Depth=1
	v_add_co_u32 v1, s12, s31, v60
	v_add_co_ci_u32_e64 v2, null, s35, v61, s12
	v_add_co_u32 v1, s12, v1, v84
	v_add_co_ci_u32_e64 v2, null, 0, v2, s12
	global_load_dwordx4 v[1:4], v[1:2], off offset:128
	s_waitcnt vmcnt(0)
	ds_write_b128 v81, v[1:4]
	s_or_b32 exec_lo, exec_lo, s37
	v_lshlrev_b32_e32 v98, 2, v78
	s_and_saveexec_b32 s37, s7
	s_cbranch_execnz .LBB40_22
	s_branch .LBB40_23
.LBB40_35:                              ;   in Loop: Header=BB40_11 Depth=1
	v_add_co_u32 v99, s12, s31, v58
	v_add_co_ci_u32_e64 v100, null, s35, v59, s12
	v_add_co_u32 v99, s12, v99, v83
	v_add_co_ci_u32_e64 v100, null, 0, v100, s12
	global_load_dwordx4 v[99:102], v[99:100], off offset:192
	s_waitcnt vmcnt(0)
	ds_write_b128 v79, v[99:102]
	s_or_b32 exec_lo, exec_lo, s37
	s_and_saveexec_b32 s37, s6
	s_cbranch_execz .LBB40_25
.LBB40_36:                              ;   in Loop: Header=BB40_11 Depth=1
	v_add_co_u32 v99, s12, s31, v60
	v_add_co_ci_u32_e64 v100, null, s35, v61, s12
	v_add_co_u32 v99, s12, v99, v84
	v_add_co_ci_u32_e64 v100, null, 0, v100, s12
	global_load_dwordx4 v[99:102], v[99:100], off offset:128
	s_waitcnt vmcnt(0)
	ds_write_b128 v81, v[99:102]
	s_or_b32 exec_lo, exec_lo, s37
	s_and_saveexec_b32 s37, s7
	s_cbranch_execnz .LBB40_26
	s_branch .LBB40_27
.LBB40_37:
	v_mov_b32_e32 v3, v67
.LBB40_38:
	v_cmp_lt_i32_e32 vcc_lo, v88, v69
	s_cmp_lg_u64 s[16:17], 0
	s_cselect_b32 s1, -1, 0
	s_cmp_eq_u32 s34, 0
	v_cndmask_b32_e32 v1, v3, v88, vcc_lo
	v_cmp_lt_i32_e32 vcc_lo, v89, v69
	s_cselect_b32 s2, -1, 0
	s_and_b32 s1, s2, s1
	v_lshlrev_b32_e32 v1, 2, v1
	v_cndmask_b32_e32 v4, v3, v89, vcc_lo
	v_cmp_lt_i32_e32 vcc_lo, v90, v69
	ds_bpermute_b32 v2, v1, v94
	ds_bpermute_b32 v1, v1, v93
	v_lshlrev_b32_e32 v4, 2, v4
	v_cndmask_b32_e32 v6, v3, v90, vcc_lo
	v_cmp_lt_i32_e32 vcc_lo, v91, v69
	v_lshlrev_b32_e32 v6, 2, v6
	s_waitcnt lgkmcnt(1)
	v_add_f32_e32 v2, v94, v2
	s_waitcnt lgkmcnt(0)
	v_add_f32_e32 v1, v93, v1
	ds_bpermute_b32 v5, v4, v2
	ds_bpermute_b32 v4, v4, v1
	s_waitcnt lgkmcnt(1)
	v_add_f32_e32 v2, v2, v5
	s_waitcnt lgkmcnt(0)
	v_add_f32_e32 v1, v1, v4
	ds_bpermute_b32 v4, v6, v2
	ds_bpermute_b32 v5, v6, v1
	v_cndmask_b32_e32 v6, v3, v91, vcc_lo
	v_cmp_lt_i32_e32 vcc_lo, v92, v69
	v_lshlrev_b32_e32 v6, 2, v6
	v_cndmask_b32_e32 v3, v3, v92, vcc_lo
	s_and_b32 vcc_lo, exec_lo, s1
	v_lshlrev_b32_e32 v3, 2, v3
	s_waitcnt lgkmcnt(1)
	v_add_f32_e32 v2, v2, v4
	s_waitcnt lgkmcnt(0)
	v_add_f32_e32 v1, v1, v5
	ds_bpermute_b32 v4, v6, v2
	ds_bpermute_b32 v5, v6, v1
	s_waitcnt lgkmcnt(1)
	v_add_f32_e32 v2, v2, v4
	s_waitcnt lgkmcnt(0)
	v_add_f32_e32 v4, v1, v5
	ds_bpermute_b32 v1, v3, v2
	ds_bpermute_b32 v3, v3, v4
	s_waitcnt lgkmcnt(1)
	v_add_f32_e32 v1, v2, v1
	s_waitcnt lgkmcnt(0)
	v_add_f32_e32 v2, v4, v3
	s_cbranch_vccz .LBB40_41
; %bb.39:
	s_ashr_i32 s15, s14, 31
	v_mov_b32_e32 v3, 0
	s_lshl_b64 s[2:3], s[14:15], 2
	v_max_f32_e32 v5, v64, v64
	s_add_u32 s2, s16, s2
	s_addc_u32 s3, s17, s3
	v_max_f32_e32 v7, v65, v65
	global_load_dwordx2 v[3:4], v3, s[2:3]
	s_waitcnt vmcnt(0)
	v_max_f32_e32 v6, v3, v3
	v_max_f32_e32 v8, v4, v4
	v_max_f32_e32 v5, v5, v6
	v_max_f32_e32 v6, v7, v8
	v_sub_f32_e32 v7, v64, v5
	v_sub_f32_e32 v8, v65, v6
	;; [unrolled: 1-line block ×4, first 2 shown]
	v_mov_b32_e32 v65, v6
	v_mul_f32_e32 v9, 0x3fb8aa3b, v7
	v_mul_f32_e32 v11, 0x3fb8aa3b, v8
	;; [unrolled: 1-line block ×4, first 2 shown]
	v_cmp_ngt_f32_e32 vcc_lo, 0xc2ce8ed0, v7
	v_fma_f32 v13, 0x3fb8aa3b, v7, -v9
	v_rndne_f32_e32 v14, v9
	v_fma_f32 v17, 0x3fb8aa3b, v8, -v11
	v_rndne_f32_e32 v18, v11
	v_fma_f32 v15, 0x3fb8aa3b, v3, -v10
	v_fmac_f32_e32 v13, 0x32a5705f, v7
	v_sub_f32_e32 v9, v9, v14
	v_rndne_f32_e32 v16, v10
	v_fmac_f32_e32 v17, 0x32a5705f, v8
	v_sub_f32_e32 v11, v11, v18
	v_fmac_f32_e32 v15, 0x32a5705f, v3
	v_add_f32_e32 v9, v9, v13
	v_sub_f32_e32 v10, v10, v16
	v_cvt_i32_f32_e32 v13, v14
	v_add_f32_e32 v11, v11, v17
	v_fma_f32 v19, 0x3fb8aa3b, v4, -v12
	v_exp_f32_e32 v9, v9
	v_add_f32_e32 v10, v10, v15
	v_rndne_f32_e32 v20, v12
	v_exp_f32_e32 v11, v11
	v_cvt_i32_f32_e32 v15, v18
	v_fmac_f32_e32 v19, 0x32a5705f, v4
	v_exp_f32_e32 v10, v10
	v_sub_f32_e32 v12, v12, v20
	v_cvt_i32_f32_e32 v14, v16
	v_cvt_i32_f32_e32 v16, v20
	v_ldexp_f32 v9, v9, v13
	v_mov_b32_e32 v17, 0x10001
	v_add_f32_e32 v12, v12, v19
	v_ldexp_f32 v11, v11, v15
	v_mov_b32_e32 v64, v5
	v_cndmask_b32_e32 v9, 0, v9, vcc_lo
	v_cmp_ngt_f32_e32 vcc_lo, 0xc2ce8ed0, v8
	v_ldexp_f32 v10, v10, v14
	v_exp_f32_e32 v12, v12
	v_cndmask_b32_e32 v11, 0, v11, vcc_lo
	v_cmp_ngt_f32_e32 vcc_lo, 0xc2ce8ed0, v3
	v_cndmask_b32_e32 v10, 0, v10, vcc_lo
	v_cmp_nlt_f32_e32 vcc_lo, 0x42b17218, v7
	v_ldexp_f32 v12, v12, v16
	v_cndmask_b32_e32 v7, 0x7f800000, v9, vcc_lo
	v_cmp_nlt_f32_e32 vcc_lo, 0x42b17218, v8
	v_cndmask_b32_e32 v8, 0x7f800000, v11, vcc_lo
	v_cmp_ngt_f32_e32 vcc_lo, 0xc2ce8ed0, v4
	v_cvt_f16_f32_e32 v11, v8
	v_cndmask_b32_e32 v9, 0, v12, vcc_lo
	v_cmp_nlt_f32_e32 vcc_lo, 0x42b17218, v3
	v_mul_u32_u24_sdwa v5, v11, v17 dst_sel:DWORD dst_unused:UNUSED_PAD src0_sel:WORD_0 src1_sel:DWORD
	v_cndmask_b32_e32 v3, 0x7f800000, v10, vcc_lo
	v_cmp_nlt_f32_e32 vcc_lo, 0x42b17218, v4
	v_cvt_f16_f32_e32 v10, v7
	v_pk_mul_f16 v70, v70, v5
	v_pk_mul_f16 v68, v68, v5
	v_fmac_f32_e32 v3, v1, v7
	v_cndmask_b32_e32 v4, 0x7f800000, v9, vcc_lo
	v_mul_u32_u24_sdwa v7, v10, v17 dst_sel:DWORD dst_unused:UNUSED_PAD src0_sel:WORD_0 src1_sel:DWORD
	v_mov_b32_e32 v1, v3
	v_fmac_f32_e32 v4, v2, v8
	v_pk_mul_f16 v77, v77, v7
	v_pk_mul_f16 v80, v80, v7
	v_mov_b32_e32 v2, v4
	s_mov_b32 s1, exec_lo
	v_cmpx_gt_i32_e64 s26, v50
	s_cbranch_execnz .LBB40_42
.LBB40_40:
	s_endpgm
.LBB40_41:
	v_mov_b32_e32 v4, v2
	v_mov_b32_e32 v3, v1
	s_mov_b32 s1, exec_lo
	v_cmpx_gt_i32_e64 s26, v50
	s_cbranch_execz .LBB40_40
.LBB40_42:
	s_load_dword s1, s[4:5], 0xd4
	v_mov_b32_e32 v7, 1.0
	s_waitcnt lgkmcnt(0)
	s_cmp_lg_u32 s1, 1
	s_cselect_b32 s3, -1, 0
	s_cmp_eq_u32 s1, 1
	s_cselect_b32 s2, -1, 0
	s_and_b32 vcc_lo, exec_lo, s3
	s_cbranch_vccnz .LBB40_44
; %bb.43:
	v_div_scale_f32 v5, null, v1, v1, 1.0
	v_rcp_f32_e32 v6, v5
	v_fma_f32 v7, -v5, v6, 1.0
	v_fmac_f32_e32 v6, v7, v6
	v_div_scale_f32 v7, vcc_lo, 1.0, v1, 1.0
	v_mul_f32_e32 v8, v7, v6
	v_fma_f32 v9, -v5, v8, v7
	v_fmac_f32_e32 v8, v9, v6
	v_fma_f32 v5, -v5, v8, v7
	v_div_fmas_f32 v5, v5, v6, v8
	v_div_fixup_f32 v7, v5, v1, 1.0
.LBB40_44:
	v_mad_u64_u32 v[5:6], null, s33, s26, v[50:51]
	v_mad_u64_u32 v[5:6], null, v5, s27, s[14:15]
	v_mad_u64_u32 v[5:6], null, s1, v5, s[34:35]
	s_and_saveexec_b32 s4, s0
	s_cbranch_execz .LBB40_46
; %bb.45:
	v_mad_u64_u32 v[8:9], null, 0x70, v5, v[49:50]
	v_mov_b32_e32 v9, 0
	v_cvt_f32_f16_sdwa v1, v80 dst_sel:DWORD dst_unused:UNUSED_PAD src0_sel:WORD_1
	v_cvt_f32_f16_e32 v6, v80
	v_cvt_f32_f16_sdwa v13, v77 dst_sel:DWORD dst_unused:UNUSED_PAD src0_sel:WORD_1
	v_cvt_f32_f16_e32 v14, v77
	v_mul_f32_e32 v10, v7, v1
	v_lshlrev_b64 v[11:12], 2, v[8:9]
	v_mul_f32_e32 v9, v7, v6
	v_mul_f32_e32 v8, v7, v13
	;; [unrolled: 1-line block ×3, first 2 shown]
	v_add_co_u32 v11, vcc_lo, s20, v11
	v_add_co_ci_u32_e64 v12, null, s21, v12, vcc_lo
	global_store_dwordx4 v[11:12], v[7:10], off
.LBB40_46:
	s_or_b32 exec_lo, exec_lo, s4
	v_cmp_eq_u32_e32 vcc_lo, 0, v0
	s_and_b32 s3, vcc_lo, s3
	s_and_saveexec_b32 s4, s3
	s_cbranch_execnz .LBB40_50
; %bb.47:
	s_or_b32 exec_lo, exec_lo, s4
	v_mov_b32_e32 v1, 1.0
	s_andn2_b32 vcc_lo, exec_lo, s2
	s_cbranch_vccz .LBB40_51
.LBB40_48:
	v_add_nc_u32_e32 v0, s1, v5
	s_and_saveexec_b32 s1, s0
	s_cbranch_execnz .LBB40_52
.LBB40_49:
	s_or_b32 exec_lo, exec_lo, s1
	s_and_b32 exec_lo, exec_lo, s3
	s_cbranch_execz .LBB40_40
	s_branch .LBB40_53
.LBB40_50:
	v_ashrrev_i32_e32 v6, 31, v5
	v_mov_b32_e32 v7, v3
	v_lshlrev_b64 v[0:1], 3, v[5:6]
	v_mov_b32_e32 v6, v64
	v_add_co_u32 v0, vcc_lo, s22, v0
	v_add_co_ci_u32_e64 v1, null, s23, v1, vcc_lo
	global_store_dwordx2 v[0:1], v[6:7], off
	s_or_b32 exec_lo, exec_lo, s4
	v_mov_b32_e32 v1, 1.0
	s_andn2_b32 vcc_lo, exec_lo, s2
	s_cbranch_vccnz .LBB40_48
.LBB40_51:
	v_div_scale_f32 v0, null, v2, v2, 1.0
	v_rcp_f32_e32 v1, v0
	v_fma_f32 v3, -v0, v1, 1.0
	v_fmac_f32_e32 v1, v3, v1
	v_div_scale_f32 v3, vcc_lo, 1.0, v2, 1.0
	v_mul_f32_e32 v6, v3, v1
	v_fma_f32 v7, -v0, v6, v3
	v_fmac_f32_e32 v6, v7, v1
	v_fma_f32 v0, -v0, v6, v3
	v_div_fmas_f32 v0, v0, v1, v6
	v_div_fixup_f32 v1, v0, v2, 1.0
	v_add_nc_u32_e32 v0, s1, v5
	s_and_saveexec_b32 s1, s0
	s_cbranch_execz .LBB40_49
.LBB40_52:
	v_mad_u64_u32 v[2:3], null, 0x70, v0, v[49:50]
	v_mov_b32_e32 v3, 0
	v_cvt_f32_f16_sdwa v5, v68 dst_sel:DWORD dst_unused:UNUSED_PAD src0_sel:WORD_1
	v_cvt_f32_f16_e32 v6, v68
	v_cvt_f32_f16_sdwa v9, v70 dst_sel:DWORD dst_unused:UNUSED_PAD src0_sel:WORD_1
	v_cvt_f32_f16_e32 v10, v70
	v_mul_f32_e32 v8, v1, v5
	v_lshlrev_b64 v[2:3], 2, v[2:3]
	v_mul_f32_e32 v7, v1, v6
	v_mul_f32_e32 v6, v1, v9
	;; [unrolled: 1-line block ×3, first 2 shown]
	v_add_co_u32 v2, vcc_lo, s20, v2
	v_add_co_ci_u32_e64 v3, null, s21, v3, vcc_lo
	global_store_dwordx4 v[2:3], v[5:8], off
	s_or_b32 exec_lo, exec_lo, s1
	s_and_b32 exec_lo, exec_lo, s3
	s_cbranch_execz .LBB40_40
.LBB40_53:
	v_ashrrev_i32_e32 v1, 31, v0
	v_mov_b32_e32 v3, v65
	v_lshlrev_b64 v[0:1], 3, v[0:1]
	v_add_co_u32 v0, vcc_lo, s22, v0
	v_add_co_ci_u32_e64 v1, null, s23, v1, vcc_lo
	global_store_dwordx2 v[0:1], v[3:4], off
	s_endpgm
	.section	.rodata,"a",@progbits
	.p2align	6, 0x0
	.amdhsa_kernel _ZL15flash_attn_tileILi112ELi112ELi8ELi2ELb0EEvPKcS1_S1_S1_S1_PKiPfP15HIP_vector_typeIfLj2EEffffjfiS5_IjLj3EEiiiiiiiiiiiliiliiiiil
		.amdhsa_group_segment_fixed_size 8768
		.amdhsa_private_segment_fixed_size 0
		.amdhsa_kernarg_size 464
		.amdhsa_user_sgpr_count 6
		.amdhsa_user_sgpr_private_segment_buffer 1
		.amdhsa_user_sgpr_dispatch_ptr 0
		.amdhsa_user_sgpr_queue_ptr 0
		.amdhsa_user_sgpr_kernarg_segment_ptr 1
		.amdhsa_user_sgpr_dispatch_id 0
		.amdhsa_user_sgpr_flat_scratch_init 0
		.amdhsa_user_sgpr_private_segment_size 0
		.amdhsa_wavefront_size32 1
		.amdhsa_uses_dynamic_stack 0
		.amdhsa_system_sgpr_private_segment_wavefront_offset 0
		.amdhsa_system_sgpr_workgroup_id_x 1
		.amdhsa_system_sgpr_workgroup_id_y 1
		.amdhsa_system_sgpr_workgroup_id_z 1
		.amdhsa_system_sgpr_workgroup_info 0
		.amdhsa_system_vgpr_workitem_id 1
		.amdhsa_next_free_vgpr 115
		.amdhsa_next_free_sgpr 42
		.amdhsa_reserve_vcc 1
		.amdhsa_reserve_flat_scratch 0
		.amdhsa_float_round_mode_32 0
		.amdhsa_float_round_mode_16_64 0
		.amdhsa_float_denorm_mode_32 3
		.amdhsa_float_denorm_mode_16_64 3
		.amdhsa_dx10_clamp 1
		.amdhsa_ieee_mode 1
		.amdhsa_fp16_overflow 0
		.amdhsa_workgroup_processor_mode 1
		.amdhsa_memory_ordered 1
		.amdhsa_forward_progress 1
		.amdhsa_shared_vgpr_count 0
		.amdhsa_exception_fp_ieee_invalid_op 0
		.amdhsa_exception_fp_denorm_src 0
		.amdhsa_exception_fp_ieee_div_zero 0
		.amdhsa_exception_fp_ieee_overflow 0
		.amdhsa_exception_fp_ieee_underflow 0
		.amdhsa_exception_fp_ieee_inexact 0
		.amdhsa_exception_int_div_zero 0
	.end_amdhsa_kernel
	.section	.text._ZL15flash_attn_tileILi112ELi112ELi8ELi2ELb0EEvPKcS1_S1_S1_S1_PKiPfP15HIP_vector_typeIfLj2EEffffjfiS5_IjLj3EEiiiiiiiiiiiliiliiiiil,"axG",@progbits,_ZL15flash_attn_tileILi112ELi112ELi8ELi2ELb0EEvPKcS1_S1_S1_S1_PKiPfP15HIP_vector_typeIfLj2EEffffjfiS5_IjLj3EEiiiiiiiiiiiliiliiiiil,comdat
.Lfunc_end40:
	.size	_ZL15flash_attn_tileILi112ELi112ELi8ELi2ELb0EEvPKcS1_S1_S1_S1_PKiPfP15HIP_vector_typeIfLj2EEffffjfiS5_IjLj3EEiiiiiiiiiiiliiliiiiil, .Lfunc_end40-_ZL15flash_attn_tileILi112ELi112ELi8ELi2ELb0EEvPKcS1_S1_S1_S1_PKiPfP15HIP_vector_typeIfLj2EEffffjfiS5_IjLj3EEiiiiiiiiiiiliiliiiiil
                                        ; -- End function
	.set _ZL15flash_attn_tileILi112ELi112ELi8ELi2ELb0EEvPKcS1_S1_S1_S1_PKiPfP15HIP_vector_typeIfLj2EEffffjfiS5_IjLj3EEiiiiiiiiiiiliiliiiiil.num_vgpr, 115
	.set _ZL15flash_attn_tileILi112ELi112ELi8ELi2ELb0EEvPKcS1_S1_S1_S1_PKiPfP15HIP_vector_typeIfLj2EEffffjfiS5_IjLj3EEiiiiiiiiiiiliiliiiiil.num_agpr, 0
	.set _ZL15flash_attn_tileILi112ELi112ELi8ELi2ELb0EEvPKcS1_S1_S1_S1_PKiPfP15HIP_vector_typeIfLj2EEffffjfiS5_IjLj3EEiiiiiiiiiiiliiliiiiil.numbered_sgpr, 42
	.set _ZL15flash_attn_tileILi112ELi112ELi8ELi2ELb0EEvPKcS1_S1_S1_S1_PKiPfP15HIP_vector_typeIfLj2EEffffjfiS5_IjLj3EEiiiiiiiiiiiliiliiiiil.num_named_barrier, 0
	.set _ZL15flash_attn_tileILi112ELi112ELi8ELi2ELb0EEvPKcS1_S1_S1_S1_PKiPfP15HIP_vector_typeIfLj2EEffffjfiS5_IjLj3EEiiiiiiiiiiiliiliiiiil.private_seg_size, 0
	.set _ZL15flash_attn_tileILi112ELi112ELi8ELi2ELb0EEvPKcS1_S1_S1_S1_PKiPfP15HIP_vector_typeIfLj2EEffffjfiS5_IjLj3EEiiiiiiiiiiiliiliiiiil.uses_vcc, 1
	.set _ZL15flash_attn_tileILi112ELi112ELi8ELi2ELb0EEvPKcS1_S1_S1_S1_PKiPfP15HIP_vector_typeIfLj2EEffffjfiS5_IjLj3EEiiiiiiiiiiiliiliiiiil.uses_flat_scratch, 0
	.set _ZL15flash_attn_tileILi112ELi112ELi8ELi2ELb0EEvPKcS1_S1_S1_S1_PKiPfP15HIP_vector_typeIfLj2EEffffjfiS5_IjLj3EEiiiiiiiiiiiliiliiiiil.has_dyn_sized_stack, 0
	.set _ZL15flash_attn_tileILi112ELi112ELi8ELi2ELb0EEvPKcS1_S1_S1_S1_PKiPfP15HIP_vector_typeIfLj2EEffffjfiS5_IjLj3EEiiiiiiiiiiiliiliiiiil.has_recursion, 0
	.set _ZL15flash_attn_tileILi112ELi112ELi8ELi2ELb0EEvPKcS1_S1_S1_S1_PKiPfP15HIP_vector_typeIfLj2EEffffjfiS5_IjLj3EEiiiiiiiiiiiliiliiiiil.has_indirect_call, 0
	.section	.AMDGPU.csdata,"",@progbits
; Kernel info:
; codeLenInByte = 9540
; TotalNumSgprs: 44
; NumVgprs: 115
; ScratchSize: 0
; MemoryBound: 0
; FloatMode: 240
; IeeeMode: 1
; LDSByteSize: 8768 bytes/workgroup (compile time only)
; SGPRBlocks: 0
; VGPRBlocks: 14
; NumSGPRsForWavesPerEU: 44
; NumVGPRsForWavesPerEU: 115
; Occupancy: 8
; WaveLimiterHint : 1
; COMPUTE_PGM_RSRC2:SCRATCH_EN: 0
; COMPUTE_PGM_RSRC2:USER_SGPR: 6
; COMPUTE_PGM_RSRC2:TRAP_HANDLER: 0
; COMPUTE_PGM_RSRC2:TGID_X_EN: 1
; COMPUTE_PGM_RSRC2:TGID_Y_EN: 1
; COMPUTE_PGM_RSRC2:TGID_Z_EN: 1
; COMPUTE_PGM_RSRC2:TIDIG_COMP_CNT: 1
	.section	.text._ZL33flash_attn_stream_k_fixup_uniformILi112ELi8ELi2EEvPfPK15HIP_vector_typeIfLj2EEiiiiiiS1_IjLj3EES5_S5_,"axG",@progbits,_ZL33flash_attn_stream_k_fixup_uniformILi112ELi8ELi2EEvPfPK15HIP_vector_typeIfLj2EEiiiiiiS1_IjLj3EES5_S5_,comdat
	.globl	_ZL33flash_attn_stream_k_fixup_uniformILi112ELi8ELi2EEvPfPK15HIP_vector_typeIfLj2EEiiiiiiS1_IjLj3EES5_S5_ ; -- Begin function _ZL33flash_attn_stream_k_fixup_uniformILi112ELi8ELi2EEvPfPK15HIP_vector_typeIfLj2EEiiiiiiS1_IjLj3EES5_S5_
	.p2align	8
	.type	_ZL33flash_attn_stream_k_fixup_uniformILi112ELi8ELi2EEvPfPK15HIP_vector_typeIfLj2EEiiiiiiS1_IjLj3EES5_S5_,@function
_ZL33flash_attn_stream_k_fixup_uniformILi112ELi8ELi2EEvPfPK15HIP_vector_typeIfLj2EEiiiiiiS1_IjLj3EES5_S5_: ; @_ZL33flash_attn_stream_k_fixup_uniformILi112ELi8ELi2EEvPfPK15HIP_vector_typeIfLj2EEiiiiiiS1_IjLj3EES5_S5_
; %bb.0:
	s_clause 0x2
	s_load_dwordx8 s[12:19], s[4:5], 0x1c
	s_load_dwordx4 s[20:23], s[4:5], 0x3c
	s_load_dwordx2 s[10:11], s[4:5], 0x10
	s_waitcnt lgkmcnt(0)
	s_mul_hi_u32 s0, s15, s6
	s_add_i32 s0, s6, s0
	s_lshr_b32 s0, s0, s16
	s_mul_i32 s1, s0, s17
	s_sub_i32 s1, s6, s1
	s_mul_hi_u32 s2, s1, s18
	s_add_i32 s2, s1, s2
	s_lshr_b32 s9, s2, s19
	s_mul_i32 s2, s9, s20
	s_sub_i32 s1, s1, s2
	s_mul_hi_u32 s2, s1, s21
	s_add_i32 s2, s1, s2
	s_lshr_b32 s2, s2, s22
	s_mul_i32 s3, s2, s23
	s_lshl_b32 s16, s2, 1
	s_sub_i32 s15, s1, s3
	s_lshl_b32 s1, s15, 3
	s_add_i32 s1, s1, s7
	s_cmp_lt_i32 s1, s10
	s_cselect_b32 s1, -1, 0
	s_add_i32 s16, s16, s8
	s_cmp_lt_i32 s16, s13
	s_cselect_b32 s2, -1, 0
	s_and_b32 s1, s1, s2
	s_andn2_b32 vcc_lo, exec_lo, s1
	s_cbranch_vccnz .LBB41_6
; %bb.1:
	s_mul_i32 s10, s0, s10
	s_load_dwordx4 s[0:3], s[4:5], 0x0
	s_add_i32 s4, s10, s7
	s_mul_i32 s9, s9, s13
	s_mul_i32 s4, s4, s11
	s_add_i32 s5, s16, s9
	s_mul_i32 s9, s11, s15
	s_add_i32 s4, s5, s4
	s_mulk_i32 s9, 0x380
	s_mulk_i32 s4, 0x70
	s_lshl_b32 s10, s7, 1
	v_add3_u32 v1, s4, s9, v0
	s_mul_i32 s4, s14, s6
	s_add_i32 s11, s4, s14
	v_ashrrev_i32_e32 v2, 31, v1
	v_lshlrev_b64 v[1:2], 2, v[1:2]
	s_waitcnt lgkmcnt(0)
	v_add_co_u32 v1, vcc_lo, s0, v1
	v_add_co_ci_u32_e64 v2, null, s1, v2, vcc_lo
	s_add_i32 s0, s10, s8
	s_lshl_b32 s1, s11, 4
	global_load_dword v5, v[1:2], off
	s_add_i32 s0, s0, s1
	s_add_i32 s0, s0, -16
	s_ashr_i32 s1, s0, 31
	s_lshl_b64 s[0:1], s[0:1], 3
	s_add_u32 s0, s2, s0
	s_addc_u32 s1, s3, s1
	s_add_i32 s5, s11, -2
	s_load_dword s13, s[0:1], 0x4
	s_cmp_lt_i32 s5, s4
	s_cbranch_scc1 .LBB41_4
; %bb.2:
	s_load_dword s15, s[0:1], 0x0
	s_lshl_b32 s16, s12, 6
	s_mulk_i32 s7, 0xe0
	s_ashr_i32 s17, s16, 31
	s_waitcnt lgkmcnt(0)
	v_mov_b32_e32 v6, s13
	s_lshl_b64 s[0:1], s[16:17], 2
	s_add_u32 s5, s2, s0
	s_addc_u32 s9, s3, s1
	s_add_i32 s6, s6, 1
	s_mul_i32 s0, s14, s6
	s_mul_i32 s6, s8, 0x70
	s_lshl_b32 s1, s0, 4
	s_mulk_i32 s0, 0x700
	s_add_i32 s6, s6, s7
	s_add_i32 s1, s8, s1
	s_lshl_b32 s7, s12, 4
	s_add_i32 s6, s6, s0
	s_add_i32 s0, s1, s7
	v_add3_u32 v3, s6, v0, 0xfffff200
	v_mov_b32_e32 v0, s15
	s_add_i32 s0, s0, s10
	s_add_i32 s6, s11, -1
	s_sub_i32 s0, s0, 32
.LBB41_3:                               ; =>This Inner Loop Header: Depth=1
	v_ashrrev_i32_e32 v4, 31, v3
	s_ashr_i32 s1, s0, 31
	s_lshl_b64 s[10:11], s[0:1], 3
	s_add_u32 s10, s2, s10
	v_lshlrev_b64 v[7:8], 2, v[3:4]
	s_addc_u32 s11, s3, s11
	v_add_nc_u32_e32 v3, 0xfffff900, v3
	s_add_i32 s6, s6, -1
	s_add_i32 s0, s0, -16
	s_cmp_le_i32 s6, s4
	v_add_co_u32 v7, vcc_lo, s5, v7
	v_add_co_ci_u32_e64 v8, null, s9, v8, vcc_lo
	s_load_dwordx2 s[10:11], s[10:11], 0x0
	global_load_dword v4, v[7:8], off
	v_max_f32_e32 v7, v0, v0
	s_waitcnt lgkmcnt(0)
	v_max_f32_e64 v8, s10, s10
	v_max_f32_e32 v7, v7, v8
	v_sub_f32_e32 v8, s10, v7
	v_sub_f32_e32 v0, v0, v7
	v_mul_f32_e32 v9, 0x3fb8aa3b, v8
	v_mul_f32_e32 v12, 0x3fb8aa3b, v0
	v_cmp_ngt_f32_e32 vcc_lo, 0xc2ce8ed0, v8
	v_fma_f32 v10, 0x3fb8aa3b, v8, -v9
	v_rndne_f32_e32 v11, v9
	v_fma_f32 v13, 0x3fb8aa3b, v0, -v12
	v_rndne_f32_e32 v14, v12
	v_fmac_f32_e32 v10, 0x32a5705f, v8
	v_sub_f32_e32 v9, v9, v11
	v_fmac_f32_e32 v13, 0x32a5705f, v0
	v_cvt_i32_f32_e32 v11, v11
	v_add_f32_e32 v9, v9, v10
	v_sub_f32_e32 v10, v12, v14
	v_exp_f32_e32 v9, v9
	v_add_f32_e32 v10, v10, v13
	v_exp_f32_e32 v10, v10
	v_ldexp_f32 v9, v9, v11
	v_cvt_i32_f32_e32 v11, v14
	v_cndmask_b32_e32 v9, 0, v9, vcc_lo
	v_cmp_nlt_f32_e32 vcc_lo, 0x42b17218, v8
	v_ldexp_f32 v10, v10, v11
	v_mov_b32_e32 v11, v6
	v_cndmask_b32_e32 v9, 0x7f800000, v9, vcc_lo
	v_cmp_ngt_f32_e32 vcc_lo, 0xc2ce8ed0, v0
	v_cndmask_b32_e32 v10, 0, v10, vcc_lo
	v_cmp_le_f32_e32 vcc_lo, 0xc1a00000, v8
	v_cndmask_b32_e32 v8, 0, v9, vcc_lo
	v_cmp_nlt_f32_e32 vcc_lo, 0x42b17218, v0
	s_waitcnt vmcnt(1)
	v_mov_b32_e32 v9, v5
	v_cndmask_b32_e32 v5, 0x7f800000, v10, vcc_lo
	v_mul_f32_e32 v10, s11, v8
	v_cmp_le_f32_e32 vcc_lo, 0xc1a00000, v0
	v_mov_b32_e32 v0, v7
	v_mov_b32_e32 v6, v10
	v_cndmask_b32_e32 v12, 0, v5, vcc_lo
	v_fmac_f32_e32 v6, v11, v12
	s_waitcnt vmcnt(0)
	v_mul_f32_e32 v5, v4, v8
	v_fmac_f32_e32 v5, v9, v12
	s_cbranch_scc0 .LBB41_3
	s_branch .LBB41_5
.LBB41_4:
	s_waitcnt lgkmcnt(0)
	v_mov_b32_e32 v6, s13
.LBB41_5:
	s_waitcnt vmcnt(0)
	v_div_scale_f32 v0, null, v6, v6, v5
	v_rcp_f32_e32 v3, v0
	v_fma_f32 v4, -v0, v3, 1.0
	v_fmac_f32_e32 v3, v4, v3
	v_div_scale_f32 v4, vcc_lo, v5, v6, v5
	v_mul_f32_e32 v7, v4, v3
	v_fma_f32 v8, -v0, v7, v4
	v_fmac_f32_e32 v7, v8, v3
	v_fma_f32 v0, -v0, v7, v4
	v_div_fmas_f32 v0, v0, v3, v7
	v_div_fixup_f32 v0, v0, v6, v5
	global_store_dword v[1:2], v0, off
.LBB41_6:
	s_endpgm
	.section	.rodata,"a",@progbits
	.p2align	6, 0x0
	.amdhsa_kernel _ZL33flash_attn_stream_k_fixup_uniformILi112ELi8ELi2EEvPfPK15HIP_vector_typeIfLj2EEiiiiiiS1_IjLj3EES5_S5_
		.amdhsa_group_segment_fixed_size 0
		.amdhsa_private_segment_fixed_size 0
		.amdhsa_kernarg_size 76
		.amdhsa_user_sgpr_count 6
		.amdhsa_user_sgpr_private_segment_buffer 1
		.amdhsa_user_sgpr_dispatch_ptr 0
		.amdhsa_user_sgpr_queue_ptr 0
		.amdhsa_user_sgpr_kernarg_segment_ptr 1
		.amdhsa_user_sgpr_dispatch_id 0
		.amdhsa_user_sgpr_flat_scratch_init 0
		.amdhsa_user_sgpr_private_segment_size 0
		.amdhsa_wavefront_size32 1
		.amdhsa_uses_dynamic_stack 0
		.amdhsa_system_sgpr_private_segment_wavefront_offset 0
		.amdhsa_system_sgpr_workgroup_id_x 1
		.amdhsa_system_sgpr_workgroup_id_y 1
		.amdhsa_system_sgpr_workgroup_id_z 1
		.amdhsa_system_sgpr_workgroup_info 0
		.amdhsa_system_vgpr_workitem_id 0
		.amdhsa_next_free_vgpr 15
		.amdhsa_next_free_sgpr 24
		.amdhsa_reserve_vcc 1
		.amdhsa_reserve_flat_scratch 0
		.amdhsa_float_round_mode_32 0
		.amdhsa_float_round_mode_16_64 0
		.amdhsa_float_denorm_mode_32 3
		.amdhsa_float_denorm_mode_16_64 3
		.amdhsa_dx10_clamp 1
		.amdhsa_ieee_mode 1
		.amdhsa_fp16_overflow 0
		.amdhsa_workgroup_processor_mode 1
		.amdhsa_memory_ordered 1
		.amdhsa_forward_progress 1
		.amdhsa_shared_vgpr_count 0
		.amdhsa_exception_fp_ieee_invalid_op 0
		.amdhsa_exception_fp_denorm_src 0
		.amdhsa_exception_fp_ieee_div_zero 0
		.amdhsa_exception_fp_ieee_overflow 0
		.amdhsa_exception_fp_ieee_underflow 0
		.amdhsa_exception_fp_ieee_inexact 0
		.amdhsa_exception_int_div_zero 0
	.end_amdhsa_kernel
	.section	.text._ZL33flash_attn_stream_k_fixup_uniformILi112ELi8ELi2EEvPfPK15HIP_vector_typeIfLj2EEiiiiiiS1_IjLj3EES5_S5_,"axG",@progbits,_ZL33flash_attn_stream_k_fixup_uniformILi112ELi8ELi2EEvPfPK15HIP_vector_typeIfLj2EEiiiiiiS1_IjLj3EES5_S5_,comdat
.Lfunc_end41:
	.size	_ZL33flash_attn_stream_k_fixup_uniformILi112ELi8ELi2EEvPfPK15HIP_vector_typeIfLj2EEiiiiiiS1_IjLj3EES5_S5_, .Lfunc_end41-_ZL33flash_attn_stream_k_fixup_uniformILi112ELi8ELi2EEvPfPK15HIP_vector_typeIfLj2EEiiiiiiS1_IjLj3EES5_S5_
                                        ; -- End function
	.set _ZL33flash_attn_stream_k_fixup_uniformILi112ELi8ELi2EEvPfPK15HIP_vector_typeIfLj2EEiiiiiiS1_IjLj3EES5_S5_.num_vgpr, 15
	.set _ZL33flash_attn_stream_k_fixup_uniformILi112ELi8ELi2EEvPfPK15HIP_vector_typeIfLj2EEiiiiiiS1_IjLj3EES5_S5_.num_agpr, 0
	.set _ZL33flash_attn_stream_k_fixup_uniformILi112ELi8ELi2EEvPfPK15HIP_vector_typeIfLj2EEiiiiiiS1_IjLj3EES5_S5_.numbered_sgpr, 24
	.set _ZL33flash_attn_stream_k_fixup_uniformILi112ELi8ELi2EEvPfPK15HIP_vector_typeIfLj2EEiiiiiiS1_IjLj3EES5_S5_.num_named_barrier, 0
	.set _ZL33flash_attn_stream_k_fixup_uniformILi112ELi8ELi2EEvPfPK15HIP_vector_typeIfLj2EEiiiiiiS1_IjLj3EES5_S5_.private_seg_size, 0
	.set _ZL33flash_attn_stream_k_fixup_uniformILi112ELi8ELi2EEvPfPK15HIP_vector_typeIfLj2EEiiiiiiS1_IjLj3EES5_S5_.uses_vcc, 1
	.set _ZL33flash_attn_stream_k_fixup_uniformILi112ELi8ELi2EEvPfPK15HIP_vector_typeIfLj2EEiiiiiiS1_IjLj3EES5_S5_.uses_flat_scratch, 0
	.set _ZL33flash_attn_stream_k_fixup_uniformILi112ELi8ELi2EEvPfPK15HIP_vector_typeIfLj2EEiiiiiiS1_IjLj3EES5_S5_.has_dyn_sized_stack, 0
	.set _ZL33flash_attn_stream_k_fixup_uniformILi112ELi8ELi2EEvPfPK15HIP_vector_typeIfLj2EEiiiiiiS1_IjLj3EES5_S5_.has_recursion, 0
	.set _ZL33flash_attn_stream_k_fixup_uniformILi112ELi8ELi2EEvPfPK15HIP_vector_typeIfLj2EEiiiiiiS1_IjLj3EES5_S5_.has_indirect_call, 0
	.section	.AMDGPU.csdata,"",@progbits
; Kernel info:
; codeLenInByte = 848
; TotalNumSgprs: 26
; NumVgprs: 15
; ScratchSize: 0
; MemoryBound: 0
; FloatMode: 240
; IeeeMode: 1
; LDSByteSize: 0 bytes/workgroup (compile time only)
; SGPRBlocks: 0
; VGPRBlocks: 1
; NumSGPRsForWavesPerEU: 26
; NumVGPRsForWavesPerEU: 15
; Occupancy: 16
; WaveLimiterHint : 0
; COMPUTE_PGM_RSRC2:SCRATCH_EN: 0
; COMPUTE_PGM_RSRC2:USER_SGPR: 6
; COMPUTE_PGM_RSRC2:TRAP_HANDLER: 0
; COMPUTE_PGM_RSRC2:TGID_X_EN: 1
; COMPUTE_PGM_RSRC2:TGID_Y_EN: 1
; COMPUTE_PGM_RSRC2:TGID_Z_EN: 1
; COMPUTE_PGM_RSRC2:TIDIG_COMP_CNT: 0
	.section	.text._ZL33flash_attn_stream_k_fixup_generalILi112ELi8ELi2EEvPfPK15HIP_vector_typeIfLj2EEiiiiS1_IjLj3EES5_S5_S5_,"axG",@progbits,_ZL33flash_attn_stream_k_fixup_generalILi112ELi8ELi2EEvPfPK15HIP_vector_typeIfLj2EEiiiiS1_IjLj3EES5_S5_S5_,comdat
	.globl	_ZL33flash_attn_stream_k_fixup_generalILi112ELi8ELi2EEvPfPK15HIP_vector_typeIfLj2EEiiiiS1_IjLj3EES5_S5_S5_ ; -- Begin function _ZL33flash_attn_stream_k_fixup_generalILi112ELi8ELi2EEvPfPK15HIP_vector_typeIfLj2EEiiiiS1_IjLj3EES5_S5_S5_
	.p2align	8
	.type	_ZL33flash_attn_stream_k_fixup_generalILi112ELi8ELi2EEvPfPK15HIP_vector_typeIfLj2EEiiiiS1_IjLj3EES5_S5_S5_,@function
_ZL33flash_attn_stream_k_fixup_generalILi112ELi8ELi2EEvPfPK15HIP_vector_typeIfLj2EEiiiiS1_IjLj3EES5_S5_S5_: ; @_ZL33flash_attn_stream_k_fixup_generalILi112ELi8ELi2EEvPfPK15HIP_vector_typeIfLj2EEiiiiS1_IjLj3EES5_S5_S5_
; %bb.0:
	s_clause 0x1
	s_load_dwordx4 s[0:3], s[4:5], 0x10
	s_load_dword s9, s[4:5], 0x50
	s_mov_b32 s16, 0
	s_waitcnt lgkmcnt(0)
	s_mul_hi_i32 s17, s3, s6
	s_mul_i32 s18, s3, s6
	s_cmp_lg_u64 s[16:17], 0
	s_cbranch_scc0 .LBB42_21
; %bb.1:
	s_add_u32 s10, s9, 0
	s_addc_u32 s11, 0, 0
	s_xor_b64 s[10:11], s[10:11], 0
	v_cvt_f32_u32_e32 v1, s10
	v_cvt_f32_u32_e32 v2, s11
	s_sub_u32 s14, 0, s10
	s_subb_u32 s15, 0, s11
	v_fmamk_f32 v1, v2, 0x4f800000, v1
	v_rcp_f32_e32 v1, v1
	v_mul_f32_e32 v1, 0x5f7ffffc, v1
	v_mul_f32_e32 v2, 0x2f800000, v1
	v_trunc_f32_e32 v2, v2
	v_fmamk_f32 v1, v2, 0xcf800000, v1
	v_cvt_u32_f32_e32 v2, v2
	v_cvt_u32_f32_e32 v1, v1
	v_readfirstlane_b32 s12, v2
	v_readfirstlane_b32 s13, v1
	s_mul_i32 s19, s14, s12
	s_mul_hi_u32 s21, s14, s13
	s_mul_i32 s20, s15, s13
	s_add_i32 s19, s21, s19
	s_mul_i32 s22, s14, s13
	s_add_i32 s19, s19, s20
	s_mul_hi_u32 s21, s13, s22
	s_mul_i32 s24, s13, s19
	s_mul_hi_u32 s23, s12, s22
	s_mul_i32 s20, s12, s22
	s_mul_hi_u32 s22, s13, s19
	s_add_u32 s21, s21, s24
	s_addc_u32 s22, 0, s22
	s_mul_hi_u32 s25, s12, s19
	s_add_u32 s20, s21, s20
	s_mul_i32 s19, s12, s19
	s_addc_u32 s20, s22, s23
	s_addc_u32 s21, s25, 0
	s_add_u32 s19, s20, s19
	s_addc_u32 s20, 0, s21
	s_add_u32 s13, s13, s19
	s_cselect_b32 s19, -1, 0
	s_mul_hi_u32 s21, s14, s13
	s_cmp_lg_u32 s19, 0
	s_mul_i32 s19, s14, s13
	s_addc_u32 s12, s12, s20
	s_mul_i32 s15, s15, s13
	s_mul_i32 s14, s14, s12
	s_mul_hi_u32 s20, s13, s19
	s_add_i32 s14, s21, s14
	s_mul_hi_u32 s21, s12, s19
	s_add_i32 s14, s14, s15
	s_mul_i32 s15, s12, s19
	s_mul_i32 s23, s13, s14
	s_mul_hi_u32 s22, s13, s14
	s_add_u32 s20, s20, s23
	s_addc_u32 s22, 0, s22
	s_mul_hi_u32 s19, s12, s14
	s_add_u32 s15, s20, s15
	s_mul_i32 s14, s12, s14
	s_addc_u32 s15, s22, s21
	s_addc_u32 s19, s19, 0
	s_add_u32 s14, s15, s14
	s_addc_u32 s15, 0, s19
	s_add_u32 s19, s13, s14
	s_cselect_b32 s13, -1, 0
	s_cmp_lg_u32 s13, 0
	s_addc_u32 s20, s12, s15
	s_ashr_i32 s12, s17, 31
	s_add_u32 s14, s18, s12
	s_mov_b32 s13, s12
	s_addc_u32 s15, s17, s12
	s_xor_b64 s[14:15], s[14:15], s[12:13]
	s_mul_i32 s21, s14, s20
	s_mul_hi_u32 s22, s14, s19
	s_mul_hi_u32 s17, s14, s20
	;; [unrolled: 1-line block ×3, first 2 shown]
	s_mul_i32 s19, s15, s19
	s_add_u32 s21, s22, s21
	s_addc_u32 s17, 0, s17
	s_mul_hi_u32 s23, s15, s20
	s_add_u32 s19, s21, s19
	s_mul_i32 s20, s15, s20
	s_addc_u32 s17, s17, s24
	s_addc_u32 s19, s23, 0
	s_add_u32 s17, s17, s20
	s_addc_u32 s19, 0, s19
	s_mul_hi_u32 s20, s10, s17
	s_mul_i32 s21, s10, s19
	s_mul_i32 s22, s11, s17
	s_add_i32 s20, s20, s21
	s_mul_i32 s21, s10, s17
	s_add_i32 s20, s20, s22
	s_sub_i32 s22, s15, s20
	s_sub_u32 s14, s14, s21
	s_cselect_b32 s21, -1, 0
	s_cmp_lg_u32 s21, 0
	s_subb_u32 s22, s22, s11
	s_sub_u32 s23, s14, s10
	s_cselect_b32 s24, -1, 0
	s_cmp_lg_u32 s24, 0
	s_subb_u32 s22, s22, 0
	s_cmp_ge_u32 s22, s11
	s_cselect_b32 s24, -1, 0
	s_cmp_ge_u32 s23, s10
	s_cselect_b32 s23, -1, 0
	s_cmp_eq_u32 s22, s11
	s_cselect_b32 s22, s23, s24
	s_add_u32 s23, s17, 1
	s_addc_u32 s24, s19, 0
	s_add_u32 s25, s17, 2
	s_addc_u32 s26, s19, 0
	s_cmp_lg_u32 s22, 0
	s_cselect_b32 s22, s25, s23
	s_cselect_b32 s23, s26, s24
	s_cmp_lg_u32 s21, 0
	s_subb_u32 s15, s15, s20
	s_cmp_ge_u32 s15, s11
	s_cselect_b32 s20, -1, 0
	s_cmp_ge_u32 s14, s10
	s_cselect_b32 s10, -1, 0
	s_cmp_eq_u32 s15, s11
	s_cselect_b32 s10, s10, s20
	s_cmp_lg_u32 s10, 0
	s_cselect_b32 s11, s23, s19
	s_cselect_b32 s10, s22, s17
	s_xor_b64 s[12:13], s[12:13], 0
	s_xor_b64 s[10:11], s[10:11], s[12:13]
	s_sub_u32 s10, s10, s12
	s_load_dwordx4 s[12:15], s[4:5], 0x44
	s_andn2_b32 vcc_lo, exec_lo, s16
	s_cbranch_vccnz .LBB42_3
.LBB42_2:
	v_cvt_f32_u32_e32 v1, s9
	s_sub_i32 s11, 0, s9
	v_rcp_iflag_f32_e32 v1, v1
	v_mul_f32_e32 v1, 0x4f7ffffe, v1
	v_cvt_u32_f32_e32 v1, v1
	v_readfirstlane_b32 s10, v1
	s_mul_i32 s11, s11, s10
	s_mul_hi_u32 s11, s10, s11
	s_add_i32 s10, s10, s11
	s_mul_hi_u32 s10, s18, s10
	s_mul_i32 s11, s10, s9
	s_waitcnt lgkmcnt(0)
	s_add_i32 s15, s10, 1
	s_sub_i32 s11, s18, s11
	s_sub_i32 s16, s11, s9
	s_cmp_ge_u32 s11, s9
	s_cselect_b32 s10, s15, s10
	s_cselect_b32 s11, s16, s11
	s_add_i32 s15, s10, 1
	s_cmp_ge_u32 s11, s9
	s_cselect_b32 s10, s15, s10
.LBB42_3:
	s_add_i32 s11, s6, 1
	s_mov_b32 s16, 0
	s_mul_hi_i32 s17, s3, s11
	s_mul_i32 s11, s3, s11
	s_cmp_lg_u64 s[16:17], 0
	s_cbranch_scc0 .LBB42_22
; %bb.4:
	s_add_u32 s18, s9, 0
	s_addc_u32 s19, 0, 0
	s_xor_b64 s[18:19], s[18:19], 0
	v_cvt_f32_u32_e32 v1, s18
	v_cvt_f32_u32_e32 v2, s19
	s_sub_u32 s21, 0, s18
	s_subb_u32 s22, 0, s19
	v_fmamk_f32 v1, v2, 0x4f800000, v1
	v_rcp_f32_e32 v1, v1
	v_mul_f32_e32 v1, 0x5f7ffffc, v1
	v_mul_f32_e32 v2, 0x2f800000, v1
	v_trunc_f32_e32 v2, v2
	v_fmamk_f32 v1, v2, 0xcf800000, v1
	v_cvt_u32_f32_e32 v2, v2
	v_cvt_u32_f32_e32 v1, v1
	s_waitcnt lgkmcnt(0)
	v_readfirstlane_b32 s15, v2
	v_readfirstlane_b32 s20, v1
	s_mul_i32 s23, s21, s15
	s_mul_hi_u32 s25, s21, s20
	s_mul_i32 s24, s22, s20
	s_add_i32 s23, s25, s23
	s_mul_i32 s26, s21, s20
	s_add_i32 s23, s23, s24
	s_mul_hi_u32 s25, s20, s26
	s_mul_i32 s28, s20, s23
	s_mul_hi_u32 s27, s15, s26
	s_mul_i32 s24, s15, s26
	s_mul_hi_u32 s26, s20, s23
	s_add_u32 s25, s25, s28
	s_addc_u32 s26, 0, s26
	s_mul_hi_u32 s29, s15, s23
	s_add_u32 s24, s25, s24
	s_mul_i32 s23, s15, s23
	s_addc_u32 s24, s26, s27
	s_addc_u32 s25, s29, 0
	s_add_u32 s23, s24, s23
	s_addc_u32 s24, 0, s25
	s_add_u32 s20, s20, s23
	s_cselect_b32 s23, -1, 0
	s_mul_hi_u32 s25, s21, s20
	s_cmp_lg_u32 s23, 0
	s_mul_i32 s23, s21, s20
	s_addc_u32 s15, s15, s24
	s_mul_i32 s22, s22, s20
	s_mul_i32 s21, s21, s15
	s_mul_hi_u32 s24, s20, s23
	s_add_i32 s21, s25, s21
	s_mul_hi_u32 s25, s15, s23
	s_add_i32 s21, s21, s22
	s_mul_i32 s22, s15, s23
	s_mul_i32 s27, s20, s21
	s_mul_hi_u32 s26, s20, s21
	s_add_u32 s24, s24, s27
	s_addc_u32 s26, 0, s26
	s_mul_hi_u32 s23, s15, s21
	s_add_u32 s22, s24, s22
	s_mul_i32 s21, s15, s21
	s_addc_u32 s22, s26, s25
	s_addc_u32 s23, s23, 0
	s_add_u32 s21, s22, s21
	s_addc_u32 s22, 0, s23
	s_add_u32 s24, s20, s21
	s_cselect_b32 s20, -1, 0
	s_cmp_lg_u32 s20, 0
	s_addc_u32 s15, s15, s22
	s_ashr_i32 s20, s17, 31
	s_add_u32 s22, s11, s20
	s_mov_b32 s21, s20
	s_addc_u32 s23, s17, s20
	s_xor_b64 s[22:23], s[22:23], s[20:21]
	s_mul_i32 s25, s22, s15
	s_mul_hi_u32 s26, s22, s24
	s_mul_hi_u32 s17, s22, s15
	;; [unrolled: 1-line block ×3, first 2 shown]
	s_mul_i32 s24, s23, s24
	s_add_u32 s25, s26, s25
	s_addc_u32 s17, 0, s17
	s_mul_hi_u32 s27, s23, s15
	s_add_u32 s24, s25, s24
	s_mul_i32 s15, s23, s15
	s_addc_u32 s17, s17, s28
	s_addc_u32 s24, s27, 0
	s_add_u32 s15, s17, s15
	s_addc_u32 s17, 0, s24
	s_mul_hi_u32 s24, s18, s15
	s_mul_i32 s25, s18, s17
	s_mul_i32 s26, s19, s15
	s_add_i32 s24, s24, s25
	s_mul_i32 s25, s18, s15
	s_add_i32 s24, s24, s26
	s_sub_i32 s26, s23, s24
	s_sub_u32 s22, s22, s25
	s_cselect_b32 s25, -1, 0
	s_cmp_lg_u32 s25, 0
	s_subb_u32 s26, s26, s19
	s_sub_u32 s27, s22, s18
	s_cselect_b32 s28, -1, 0
	s_cmp_lg_u32 s28, 0
	s_subb_u32 s26, s26, 0
	s_cmp_ge_u32 s26, s19
	s_cselect_b32 s28, -1, 0
	s_cmp_ge_u32 s27, s18
	s_cselect_b32 s27, -1, 0
	s_cmp_eq_u32 s26, s19
	s_cselect_b32 s26, s27, s28
	s_add_u32 s27, s15, 1
	s_addc_u32 s28, s17, 0
	s_add_u32 s29, s15, 2
	s_addc_u32 s30, s17, 0
	s_cmp_lg_u32 s26, 0
	s_cselect_b32 s26, s29, s27
	s_cselect_b32 s27, s30, s28
	s_cmp_lg_u32 s25, 0
	s_subb_u32 s23, s23, s24
	s_cmp_ge_u32 s23, s19
	s_cselect_b32 s24, -1, 0
	s_cmp_ge_u32 s22, s18
	s_cselect_b32 s18, -1, 0
	s_cmp_eq_u32 s23, s19
	s_cselect_b32 s18, s18, s24
	s_cmp_lg_u32 s18, 0
	s_cselect_b32 s19, s27, s17
	s_cselect_b32 s18, s26, s15
	s_xor_b64 s[20:21], s[20:21], 0
	s_xor_b64 s[18:19], s[18:19], s[20:21]
	s_sub_u32 s18, s18, s20
	s_andn2_b32 vcc_lo, exec_lo, s16
	s_cbranch_vccnz .LBB42_6
.LBB42_5:
	v_cvt_f32_u32_e32 v1, s9
	s_sub_i32 s16, 0, s9
	v_rcp_iflag_f32_e32 v1, v1
	v_mul_f32_e32 v1, 0x4f7ffffe, v1
	v_cvt_u32_f32_e32 v1, v1
	s_waitcnt lgkmcnt(0)
	v_readfirstlane_b32 s15, v1
	s_mul_i32 s16, s16, s15
	s_mul_hi_u32 s16, s15, s16
	s_add_i32 s15, s15, s16
	s_mul_hi_u32 s15, s11, s15
	s_mul_i32 s16, s15, s9
	s_sub_i32 s11, s11, s16
	s_add_i32 s16, s15, 1
	s_sub_i32 s17, s11, s9
	s_cmp_ge_u32 s11, s9
	s_cselect_b32 s15, s16, s15
	s_cselect_b32 s11, s17, s11
	s_add_i32 s16, s15, 1
	s_cmp_ge_u32 s11, s9
	s_cselect_b32 s18, s16, s15
.LBB42_6:
	s_cmp_eq_u32 s10, s18
	s_waitcnt lgkmcnt(0)
	s_mul_hi_u32 s11, s10, s12
	s_cselect_b32 s15, -1, 0
	s_add_i32 s11, s11, s10
	s_lshr_b32 s11, s11, s13
	s_mul_i32 s16, s11, s14
	s_cmp_eq_u32 s16, s10
	s_mul_hi_u32 s16, s18, s12
	s_cselect_b32 s17, -1, 0
	s_add_i32 s16, s16, s18
	s_lshr_b32 s16, s16, s13
	s_cmp_eq_u32 s11, s16
	s_mul_i32 s16, s16, s14
	s_cselect_b32 s19, -1, 0
	s_cmp_lg_u32 s16, s18
	s_cselect_b32 s16, -1, 0
	s_or_b32 s15, s15, s17
	s_and_b32 s16, s19, s16
	s_or_b32 s15, s15, s16
	s_and_b32 vcc_lo, exec_lo, s15
	s_cbranch_vccnz .LBB42_24
; %bb.7:
	s_clause 0x1
	s_load_dwordx8 s[20:27], s[4:5], 0x20
	s_load_dword s16, s[4:5], 0x40
	s_waitcnt lgkmcnt(0)
	s_mul_hi_u32 s15, s10, s20
	s_add_i32 s15, s15, s10
	s_lshr_b32 s15, s15, s21
	s_mul_i32 s17, s15, s22
	s_sub_i32 s17, s10, s17
	s_mul_hi_u32 s18, s17, s23
	s_add_i32 s18, s17, s18
	s_lshr_b32 s21, s18, s24
	s_mul_i32 s18, s21, s25
	s_sub_i32 s17, s17, s18
	s_mul_hi_u32 s18, s17, s26
	s_add_i32 s18, s17, s18
	s_lshr_b32 s18, s18, s27
	s_mul_i32 s16, s18, s16
	s_lshl_b32 s22, s18, 1
	s_sub_i32 s16, s17, s16
	s_mul_hi_u32 s17, s16, s12
	s_add_i32 s16, s16, s17
	s_lshr_b32 s20, s16, s13
	s_lshl_b32 s16, s20, 3
	s_add_i32 s16, s16, s7
	s_cmp_lt_i32 s16, s0
	s_cselect_b32 s16, -1, 0
	s_add_i32 s22, s22, s8
	s_cmp_lt_i32 s22, s2
	s_cselect_b32 s17, -1, 0
	s_and_b32 s16, s16, s17
	s_andn2_b32 vcc_lo, exec_lo, s16
	s_cbranch_vccnz .LBB42_24
; %bb.8:
	s_load_dwordx4 s[16:19], s[4:5], 0x0
	s_mov_b32 s4, 0
	s_lshl_b32 s24, s9, 6
	s_mov_b32 s25, s4
	s_lshl_b32 s5, s7, 1
	s_lshl_b64 s[24:25], s[24:25], 2
	s_mul_i32 s21, s21, s2
	s_mul_i32 s0, s15, s0
	s_add_i32 s2, s5, s8
	v_cvt_f32_u32_e32 v3, s9
	v_rcp_iflag_f32_e32 v3, v3
	s_waitcnt lgkmcnt(0)
	s_add_u32 s8, s18, s24
	s_addc_u32 s15, s19, s25
	s_add_i32 s0, s0, s7
	s_add_i32 s5, s22, s21
	s_mul_i32 s0, s0, s1
	s_mul_i32 s1, s1, s20
	s_add_i32 s0, s5, s0
	s_mulk_i32 s1, 0x380
	s_mulk_i32 s0, 0x70
	v_mul_f32_e32 v7, 0x4f7ffffe, v3
	v_add3_u32 v1, s1, s0, v0
	s_lshl_b32 s0, s6, 4
	s_add_i32 s0, s2, s0
	v_ashrrev_i32_e32 v2, 31, v1
	s_ashr_i32 s1, s0, 31
	s_lshl_b64 s[0:1], s[0:1], 3
	v_lshlrev_b64 v[1:2], 2, v[1:2]
	s_add_u32 s0, s18, s0
	s_addc_u32 s1, s19, s1
	s_load_dwordx2 s[0:1], s[0:1], 0x0
	v_add_co_u32 v1, vcc_lo, s16, v1
	v_add_co_ci_u32_e64 v2, null, s17, v2, vcc_lo
	s_add_i32 s17, s6, -1
	v_mad_u64_u32 v[3:4], null, 0x70, s2, v[0:1]
	global_load_dword v5, v[1:2], off
	v_cvt_u32_f32_e32 v0, v7
	s_sub_i32 s16, 0, s9
	s_waitcnt lgkmcnt(0)
	v_mov_b32_e32 v4, s1
	v_mov_b32_e32 v6, s0
.LBB42_9:                               ; =>This Inner Loop Header: Depth=1
	s_mul_hi_i32 s5, s17, s3
	s_mul_i32 s6, s17, s3
	s_cmp_lg_u64 s[4:5], 0
	s_mov_b32 s7, -1
                                        ; implicit-def: $sgpr0_sgpr1
	s_cbranch_scc0 .LBB42_11
; %bb.10:                               ;   in Loop: Header=BB42_9 Depth=1
	s_add_u32 s0, s9, 0
	s_addc_u32 s1, 0, 0
	s_xor_b64 s[0:1], s[0:1], 0
	v_cvt_f32_u32_e32 v7, s0
	v_cvt_f32_u32_e32 v8, s1
	s_sub_u32 s21, 0, s0
	s_subb_u32 s22, 0, s1
	v_fmac_f32_e32 v7, 0x4f800000, v8
	v_rcp_f32_e32 v7, v7
	v_mul_f32_e32 v7, 0x5f7ffffc, v7
	v_mul_f32_e32 v8, 0x2f800000, v7
	v_trunc_f32_e32 v8, v8
	v_fmac_f32_e32 v7, 0xcf800000, v8
	v_cvt_u32_f32_e32 v8, v8
	v_cvt_u32_f32_e32 v7, v7
	v_readfirstlane_b32 s7, v8
	v_readfirstlane_b32 s20, v7
	s_mul_i32 s23, s21, s7
	s_mul_hi_u32 s25, s21, s20
	s_mul_i32 s24, s22, s20
	s_add_i32 s23, s25, s23
	s_mul_i32 s26, s21, s20
	s_add_i32 s23, s23, s24
	s_mul_hi_u32 s25, s20, s26
	s_mul_i32 s28, s20, s23
	s_mul_hi_u32 s27, s7, s26
	s_mul_i32 s24, s7, s26
	s_mul_hi_u32 s26, s20, s23
	s_add_u32 s25, s25, s28
	s_addc_u32 s26, 0, s26
	s_mul_hi_u32 s29, s7, s23
	s_add_u32 s24, s25, s24
	s_mul_i32 s23, s7, s23
	s_addc_u32 s24, s26, s27
	s_addc_u32 s25, s29, 0
	s_add_u32 s23, s24, s23
	s_addc_u32 s24, 0, s25
	s_add_u32 s20, s20, s23
	s_cselect_b32 s23, -1, 0
	s_mul_hi_u32 s25, s21, s20
	s_cmp_lg_u32 s23, 0
	s_mul_i32 s23, s21, s20
	s_addc_u32 s7, s7, s24
	s_mul_i32 s22, s22, s20
	s_mul_i32 s21, s21, s7
	s_mul_hi_u32 s24, s20, s23
	s_add_i32 s21, s25, s21
	s_mul_hi_u32 s25, s7, s23
	s_add_i32 s21, s21, s22
	s_mul_i32 s22, s7, s23
	s_mul_i32 s27, s20, s21
	s_mul_hi_u32 s26, s20, s21
	s_add_u32 s24, s24, s27
	s_addc_u32 s26, 0, s26
	s_mul_hi_u32 s23, s7, s21
	s_add_u32 s22, s24, s22
	s_mul_i32 s21, s7, s21
	s_addc_u32 s22, s26, s25
	s_addc_u32 s23, s23, 0
	s_add_u32 s21, s22, s21
	s_addc_u32 s22, 0, s23
	s_add_u32 s24, s20, s21
	s_cselect_b32 s20, -1, 0
	s_cmp_lg_u32 s20, 0
	s_addc_u32 s7, s7, s22
	s_ashr_i32 s20, s5, 31
	s_add_u32 s22, s6, s20
	s_mov_b32 s21, s20
	s_addc_u32 s23, s5, s20
	s_xor_b64 s[22:23], s[22:23], s[20:21]
	s_mul_i32 s25, s22, s7
	s_mul_hi_u32 s26, s22, s24
	s_mul_hi_u32 s5, s22, s7
	;; [unrolled: 1-line block ×3, first 2 shown]
	s_mul_i32 s24, s23, s24
	s_add_u32 s25, s26, s25
	s_addc_u32 s5, 0, s5
	s_mul_hi_u32 s27, s23, s7
	s_add_u32 s24, s25, s24
	s_mul_i32 s7, s23, s7
	s_addc_u32 s5, s5, s28
	s_addc_u32 s24, s27, 0
	s_add_u32 s5, s5, s7
	s_addc_u32 s7, 0, s24
	s_mul_hi_u32 s24, s0, s5
	s_mul_i32 s25, s0, s7
	s_mul_i32 s26, s1, s5
	s_add_i32 s24, s24, s25
	s_mul_i32 s25, s0, s5
	s_add_i32 s24, s24, s26
	s_sub_i32 s26, s23, s24
	s_sub_u32 s22, s22, s25
	s_cselect_b32 s25, -1, 0
	s_cmp_lg_u32 s25, 0
	s_subb_u32 s26, s26, s1
	s_sub_u32 s27, s22, s0
	s_cselect_b32 s28, -1, 0
	s_cmp_lg_u32 s28, 0
	s_subb_u32 s26, s26, 0
	s_cmp_ge_u32 s26, s1
	s_cselect_b32 s28, -1, 0
	s_cmp_ge_u32 s27, s0
	s_cselect_b32 s27, -1, 0
	s_cmp_eq_u32 s26, s1
	s_cselect_b32 s26, s27, s28
	s_add_u32 s27, s5, 1
	s_addc_u32 s28, s7, 0
	s_add_u32 s29, s5, 2
	s_addc_u32 s30, s7, 0
	s_cmp_lg_u32 s26, 0
	s_cselect_b32 s26, s29, s27
	s_cselect_b32 s27, s30, s28
	s_cmp_lg_u32 s25, 0
	s_subb_u32 s23, s23, s24
	s_cmp_ge_u32 s23, s1
	s_cselect_b32 s24, -1, 0
	s_cmp_ge_u32 s22, s0
	s_cselect_b32 s0, -1, 0
	s_cmp_eq_u32 s23, s1
	s_cselect_b32 s0, s0, s24
	s_cmp_lg_u32 s0, 0
	s_cselect_b32 s1, s27, s7
	s_cselect_b32 s0, s26, s5
	s_xor_b64 s[20:21], s[20:21], 0
	s_mov_b32 s7, 0
	s_xor_b64 s[0:1], s[0:1], s[20:21]
	s_sub_u32 s0, s0, s20
.LBB42_11:                              ;   in Loop: Header=BB42_9 Depth=1
	s_andn2_b32 vcc_lo, exec_lo, s7
	s_cbranch_vccnz .LBB42_13
; %bb.12:                               ;   in Loop: Header=BB42_9 Depth=1
	v_readfirstlane_b32 s0, v0
	s_mul_i32 s1, s16, s0
	s_mul_hi_u32 s1, s0, s1
	s_add_i32 s0, s0, s1
	s_mul_hi_u32 s0, s6, s0
	s_mul_i32 s1, s0, s9
	s_add_i32 s5, s0, 1
	s_sub_i32 s1, s6, s1
	s_sub_i32 s6, s1, s9
	s_cmp_ge_u32 s1, s9
	s_cselect_b32 s0, s5, s0
	s_cselect_b32 s1, s6, s1
	s_add_i32 s5, s0, 1
	s_cmp_ge_u32 s1, s9
	s_cselect_b32 s0, s5, s0
.LBB42_13:                              ;   in Loop: Header=BB42_9 Depth=1
	s_cmp_lg_u32 s10, s0
	s_mov_b32 s6, -1
                                        ; implicit-def: $sgpr5
                                        ; implicit-def: $vgpr8
                                        ; implicit-def: $vgpr7
                                        ; implicit-def: $vgpr9
                                        ; implicit-def: $sgpr1
                                        ; implicit-def: $sgpr20
	s_cbranch_scc0 .LBB42_18
; %bb.14:                               ;   in Loop: Header=BB42_9 Depth=1
	s_add_i32 s1, s17, s9
	s_mov_b32 s7, s4
	s_lshl_b32 s1, s1, 4
	s_mov_b32 s20, s10
	s_add_i32 s6, s1, s2
	s_mul_hi_u32 s1, s0, s12
	s_lshl_b64 s[6:7], s[6:7], 3
	s_add_u32 s6, s18, s6
	s_addc_u32 s7, s19, s7
	s_add_i32 s1, s1, s0
	s_lshr_b32 s1, s1, s13
	s_mul_i32 s5, s1, s14
	s_cmp_eq_u32 s5, s0
	s_cselect_b32 s5, -1, 0
	s_cmp_lt_u32 s1, s11
	s_cselect_b32 s1, -1, 0
	s_or_b32 s1, s1, s5
	s_mov_b32 s5, -1
	s_and_b32 vcc_lo, exec_lo, s1
	s_mov_b32 s1, s17
	s_cbranch_vccnz .LBB42_16
; %bb.15:                               ;   in Loop: Header=BB42_9 Depth=1
	s_add_i32 s1, s17, -1
	s_mov_b32 s5, 0
	s_mov_b32 s20, s0
.LBB42_16:                              ;   in Loop: Header=BB42_9 Depth=1
	v_mad_u64_u32 v[7:8], null, 0x700, s17, v[3:4]
	s_load_dwordx2 s[6:7], s[6:7], 0x0
	v_ashrrev_i32_e32 v8, 31, v7
	v_lshlrev_b64 v[7:8], 2, v[7:8]
	v_add_co_u32 v7, vcc_lo, s8, v7
	v_add_co_ci_u32_e64 v8, null, s15, v8, vcc_lo
	s_waitcnt lgkmcnt(0)
	v_max_f32_e64 v9, s6, s6
	global_load_dword v8, v[7:8], off
	v_max_f32_e32 v7, v6, v6
	v_max_f32_e32 v7, v7, v9
	v_sub_f32_e32 v9, s6, v7
	v_sub_f32_e32 v10, v6, v7
	v_mul_f32_e32 v11, 0x3fb8aa3b, v9
	v_mul_f32_e32 v12, 0x3fb8aa3b, v10
	v_cmp_ngt_f32_e32 vcc_lo, 0xc2ce8ed0, v9
	v_fma_f32 v13, 0x3fb8aa3b, v9, -v11
	v_rndne_f32_e32 v14, v11
	v_fma_f32 v15, 0x3fb8aa3b, v10, -v12
	v_rndne_f32_e32 v16, v12
	v_fmac_f32_e32 v13, 0x32a5705f, v9
	v_sub_f32_e32 v11, v11, v14
	v_fmac_f32_e32 v15, 0x32a5705f, v10
	v_sub_f32_e32 v12, v12, v16
	v_add_f32_e32 v11, v11, v13
	v_cvt_i32_f32_e32 v13, v14
	v_add_f32_e32 v12, v12, v15
	v_cvt_i32_f32_e32 v14, v16
	v_exp_f32_e32 v11, v11
	v_exp_f32_e32 v12, v12
	v_ldexp_f32 v11, v11, v13
	v_ldexp_f32 v12, v12, v14
	v_cndmask_b32_e32 v11, 0, v11, vcc_lo
	v_cmp_ngt_f32_e32 vcc_lo, 0xc2ce8ed0, v10
	v_cndmask_b32_e32 v12, 0, v12, vcc_lo
	v_cmp_nlt_f32_e32 vcc_lo, 0x42b17218, v9
	v_cndmask_b32_e32 v11, 0x7f800000, v11, vcc_lo
	v_cmp_nlt_f32_e32 vcc_lo, 0x42b17218, v10
	v_cndmask_b32_e32 v12, 0x7f800000, v12, vcc_lo
	v_cmp_le_f32_e32 vcc_lo, 0xc1a00000, v9
	v_cndmask_b32_e32 v9, 0, v11, vcc_lo
	v_cmp_le_f32_e32 vcc_lo, 0xc1a00000, v10
	v_cndmask_b32_e32 v10, 0, v12, vcc_lo
	s_waitcnt vmcnt(0)
	v_mul_f32_e32 v8, v8, v9
	v_mul_f32_e32 v9, s7, v9
	v_fmac_f32_e32 v8, v5, v10
	v_fmac_f32_e32 v9, v4, v10
	s_cbranch_execz .LBB42_19
.LBB42_17:                              ;   in Loop: Header=BB42_9 Depth=1
	s_andn2_b32 vcc_lo, exec_lo, s5
	s_cbranch_vccnz .LBB42_20
	s_branch .LBB42_23
.LBB42_18:                              ;   in Loop: Header=BB42_9 Depth=1
	s_andn2_b32 vcc_lo, exec_lo, s6
	s_cbranch_vccnz .LBB42_17
.LBB42_19:                              ;   in Loop: Header=BB42_9 Depth=1
	v_mov_b32_e32 v9, v4
	v_mov_b32_e32 v7, v6
	s_waitcnt vmcnt(0)
	v_mov_b32_e32 v8, v5
	s_add_i32 s1, s17, -1
	s_mov_b32 s20, s10
	s_cbranch_execz .LBB42_23
.LBB42_20:                              ;   in Loop: Header=BB42_9 Depth=1
	v_mov_b32_e32 v4, v9
	v_mov_b32_e32 v6, v7
	s_waitcnt vmcnt(0)
	v_mov_b32_e32 v5, v8
	s_mov_b32 s10, s20
	s_mov_b32 s17, s1
	s_branch .LBB42_9
.LBB42_21:
                                        ; implicit-def: $sgpr10_sgpr11
	s_load_dwordx4 s[12:15], s[4:5], 0x44
	s_branch .LBB42_2
.LBB42_22:
                                        ; implicit-def: $sgpr18_sgpr19
	s_branch .LBB42_5
.LBB42_23:
	v_div_scale_f32 v0, null, v9, v9, v8
	v_rcp_f32_e32 v3, v0
	v_fma_f32 v4, -v0, v3, 1.0
	v_fmac_f32_e32 v3, v4, v3
	v_div_scale_f32 v4, vcc_lo, v8, v9, v8
	s_waitcnt vmcnt(0)
	v_mul_f32_e32 v5, v4, v3
	v_fma_f32 v6, -v0, v5, v4
	v_fmac_f32_e32 v5, v6, v3
	v_fma_f32 v0, -v0, v5, v4
	v_div_fmas_f32 v0, v0, v3, v5
	v_div_fixup_f32 v0, v0, v9, v8
	global_store_dword v[1:2], v0, off
.LBB42_24:
	s_endpgm
	.section	.rodata,"a",@progbits
	.p2align	6, 0x0
	.amdhsa_kernel _ZL33flash_attn_stream_k_fixup_generalILi112ELi8ELi2EEvPfPK15HIP_vector_typeIfLj2EEiiiiS1_IjLj3EES5_S5_S5_
		.amdhsa_group_segment_fixed_size 0
		.amdhsa_private_segment_fixed_size 0
		.amdhsa_kernarg_size 336
		.amdhsa_user_sgpr_count 6
		.amdhsa_user_sgpr_private_segment_buffer 1
		.amdhsa_user_sgpr_dispatch_ptr 0
		.amdhsa_user_sgpr_queue_ptr 0
		.amdhsa_user_sgpr_kernarg_segment_ptr 1
		.amdhsa_user_sgpr_dispatch_id 0
		.amdhsa_user_sgpr_flat_scratch_init 0
		.amdhsa_user_sgpr_private_segment_size 0
		.amdhsa_wavefront_size32 1
		.amdhsa_uses_dynamic_stack 0
		.amdhsa_system_sgpr_private_segment_wavefront_offset 0
		.amdhsa_system_sgpr_workgroup_id_x 1
		.amdhsa_system_sgpr_workgroup_id_y 1
		.amdhsa_system_sgpr_workgroup_id_z 1
		.amdhsa_system_sgpr_workgroup_info 0
		.amdhsa_system_vgpr_workitem_id 0
		.amdhsa_next_free_vgpr 17
		.amdhsa_next_free_sgpr 31
		.amdhsa_reserve_vcc 1
		.amdhsa_reserve_flat_scratch 0
		.amdhsa_float_round_mode_32 0
		.amdhsa_float_round_mode_16_64 0
		.amdhsa_float_denorm_mode_32 3
		.amdhsa_float_denorm_mode_16_64 3
		.amdhsa_dx10_clamp 1
		.amdhsa_ieee_mode 1
		.amdhsa_fp16_overflow 0
		.amdhsa_workgroup_processor_mode 1
		.amdhsa_memory_ordered 1
		.amdhsa_forward_progress 1
		.amdhsa_shared_vgpr_count 0
		.amdhsa_exception_fp_ieee_invalid_op 0
		.amdhsa_exception_fp_denorm_src 0
		.amdhsa_exception_fp_ieee_div_zero 0
		.amdhsa_exception_fp_ieee_overflow 0
		.amdhsa_exception_fp_ieee_underflow 0
		.amdhsa_exception_fp_ieee_inexact 0
		.amdhsa_exception_int_div_zero 0
	.end_amdhsa_kernel
	.section	.text._ZL33flash_attn_stream_k_fixup_generalILi112ELi8ELi2EEvPfPK15HIP_vector_typeIfLj2EEiiiiS1_IjLj3EES5_S5_S5_,"axG",@progbits,_ZL33flash_attn_stream_k_fixup_generalILi112ELi8ELi2EEvPfPK15HIP_vector_typeIfLj2EEiiiiS1_IjLj3EES5_S5_S5_,comdat
.Lfunc_end42:
	.size	_ZL33flash_attn_stream_k_fixup_generalILi112ELi8ELi2EEvPfPK15HIP_vector_typeIfLj2EEiiiiS1_IjLj3EES5_S5_S5_, .Lfunc_end42-_ZL33flash_attn_stream_k_fixup_generalILi112ELi8ELi2EEvPfPK15HIP_vector_typeIfLj2EEiiiiS1_IjLj3EES5_S5_S5_
                                        ; -- End function
	.set _ZL33flash_attn_stream_k_fixup_generalILi112ELi8ELi2EEvPfPK15HIP_vector_typeIfLj2EEiiiiS1_IjLj3EES5_S5_S5_.num_vgpr, 17
	.set _ZL33flash_attn_stream_k_fixup_generalILi112ELi8ELi2EEvPfPK15HIP_vector_typeIfLj2EEiiiiS1_IjLj3EES5_S5_S5_.num_agpr, 0
	.set _ZL33flash_attn_stream_k_fixup_generalILi112ELi8ELi2EEvPfPK15HIP_vector_typeIfLj2EEiiiiS1_IjLj3EES5_S5_S5_.numbered_sgpr, 31
	.set _ZL33flash_attn_stream_k_fixup_generalILi112ELi8ELi2EEvPfPK15HIP_vector_typeIfLj2EEiiiiS1_IjLj3EES5_S5_S5_.num_named_barrier, 0
	.set _ZL33flash_attn_stream_k_fixup_generalILi112ELi8ELi2EEvPfPK15HIP_vector_typeIfLj2EEiiiiS1_IjLj3EES5_S5_S5_.private_seg_size, 0
	.set _ZL33flash_attn_stream_k_fixup_generalILi112ELi8ELi2EEvPfPK15HIP_vector_typeIfLj2EEiiiiS1_IjLj3EES5_S5_S5_.uses_vcc, 1
	.set _ZL33flash_attn_stream_k_fixup_generalILi112ELi8ELi2EEvPfPK15HIP_vector_typeIfLj2EEiiiiS1_IjLj3EES5_S5_S5_.uses_flat_scratch, 0
	.set _ZL33flash_attn_stream_k_fixup_generalILi112ELi8ELi2EEvPfPK15HIP_vector_typeIfLj2EEiiiiS1_IjLj3EES5_S5_S5_.has_dyn_sized_stack, 0
	.set _ZL33flash_attn_stream_k_fixup_generalILi112ELi8ELi2EEvPfPK15HIP_vector_typeIfLj2EEiiiiS1_IjLj3EES5_S5_S5_.has_recursion, 0
	.set _ZL33flash_attn_stream_k_fixup_generalILi112ELi8ELi2EEvPfPK15HIP_vector_typeIfLj2EEiiiiS1_IjLj3EES5_S5_S5_.has_indirect_call, 0
	.section	.AMDGPU.csdata,"",@progbits
; Kernel info:
; codeLenInByte = 2948
; TotalNumSgprs: 33
; NumVgprs: 17
; ScratchSize: 0
; MemoryBound: 0
; FloatMode: 240
; IeeeMode: 1
; LDSByteSize: 0 bytes/workgroup (compile time only)
; SGPRBlocks: 0
; VGPRBlocks: 2
; NumSGPRsForWavesPerEU: 33
; NumVGPRsForWavesPerEU: 17
; Occupancy: 16
; WaveLimiterHint : 0
; COMPUTE_PGM_RSRC2:SCRATCH_EN: 0
; COMPUTE_PGM_RSRC2:USER_SGPR: 6
; COMPUTE_PGM_RSRC2:TRAP_HANDLER: 0
; COMPUTE_PGM_RSRC2:TGID_X_EN: 1
; COMPUTE_PGM_RSRC2:TGID_Y_EN: 1
; COMPUTE_PGM_RSRC2:TGID_Z_EN: 1
; COMPUTE_PGM_RSRC2:TIDIG_COMP_CNT: 0
	.section	.text._ZL15flash_attn_tileILi112ELi112ELi4ELi2ELb0EEvPKcS1_S1_S1_S1_PKiPfP15HIP_vector_typeIfLj2EEffffjfiS5_IjLj3EEiiiiiiiiiiiliiliiiiil,"axG",@progbits,_ZL15flash_attn_tileILi112ELi112ELi4ELi2ELb0EEvPKcS1_S1_S1_S1_PKiPfP15HIP_vector_typeIfLj2EEffffjfiS5_IjLj3EEiiiiiiiiiiiliiliiiiil,comdat
	.globl	_ZL15flash_attn_tileILi112ELi112ELi4ELi2ELb0EEvPKcS1_S1_S1_S1_PKiPfP15HIP_vector_typeIfLj2EEffffjfiS5_IjLj3EEiiiiiiiiiiiliiliiiiil ; -- Begin function _ZL15flash_attn_tileILi112ELi112ELi4ELi2ELb0EEvPKcS1_S1_S1_S1_PKiPfP15HIP_vector_typeIfLj2EEffffjfiS5_IjLj3EEiiiiiiiiiiiliiliiiiil
	.p2align	8
	.type	_ZL15flash_attn_tileILi112ELi112ELi4ELi2ELb0EEvPKcS1_S1_S1_S1_PKiPfP15HIP_vector_typeIfLj2EEffffjfiS5_IjLj3EEiiiiiiiiiiiliiliiiiil,@function
_ZL15flash_attn_tileILi112ELi112ELi4ELi2ELb0EEvPKcS1_S1_S1_S1_PKiPfP15HIP_vector_typeIfLj2EEffffjfiS5_IjLj3EEiiiiiiiiiiiliiliiiiil: ; @_ZL15flash_attn_tileILi112ELi112ELi4ELi2ELb0EEvPKcS1_S1_S1_S1_PKiPfP15HIP_vector_typeIfLj2EEffffjfiS5_IjLj3EEiiiiiiiiiiiliiliiiiil
; %bb.0:
	s_clause 0x1
	s_load_dwordx4 s[24:27], s[4:5], 0x5c
	s_load_dwordx2 s[36:37], s[4:5], 0x80
	s_mov_b32 s34, s7
	s_mov_b64 s[38:39], 0
	s_waitcnt lgkmcnt(0)
	s_lshr_b32 s0, s27, 31
	s_add_i32 s0, s27, s0
	s_ashr_i32 s0, s0, 1
	v_cvt_f32_u32_e32 v2, s0
	s_sub_i32 s2, 0, s0
	v_rcp_iflag_f32_e32 v2, v2
	v_mul_f32_e32 v2, 0x4f7ffffe, v2
	v_cvt_u32_f32_e32 v2, v2
	v_readfirstlane_b32 s1, v2
	s_mul_i32 s2, s2, s1
	s_mul_hi_u32 s2, s1, s2
	s_add_i32 s1, s1, s2
	s_mul_hi_u32 s1, s8, s1
	s_mul_i32 s2, s1, s0
	s_add_i32 s3, s1, 1
	s_sub_i32 s2, s8, s2
	s_sub_i32 s7, s2, s0
	s_cmp_ge_u32 s2, s0
	s_cselect_b32 s1, s3, s1
	s_cselect_b32 s2, s7, s2
	s_add_i32 s3, s1, 1
	s_cmp_ge_u32 s2, s0
	s_cselect_b32 s33, s3, s1
	s_abs_i32 s0, s37
	s_abs_i32 s3, s27
	v_cvt_f32_u32_e32 v2, s0
	s_sub_i32 s2, 0, s0
	s_xor_b32 s7, s27, s37
	s_ashr_i32 s7, s7, 31
	v_rcp_iflag_f32_e32 v2, v2
	v_mul_f32_e32 v2, 0x4f7ffffe, v2
	v_cvt_u32_f32_e32 v2, v2
	v_readfirstlane_b32 s1, v2
	s_mul_i32 s2, s2, s1
	s_mul_hi_u32 s2, s1, s2
	s_add_i32 s1, s1, s2
	s_lshl_b32 s2, s8, 1
	s_mul_hi_u32 s1, s3, s1
	s_mul_i32 s8, s1, s0
	s_sub_i32 s3, s3, s8
	s_add_i32 s8, s1, 1
	s_sub_i32 s9, s3, s0
	s_cmp_ge_u32 s3, s0
	s_cselect_b32 s1, s8, s1
	s_cselect_b32 s3, s9, s3
	s_add_i32 s8, s1, 1
	s_cmp_ge_u32 s3, s0
	s_mul_i32 s3, s33, s27
	s_cselect_b32 s0, s8, s1
	s_xor_b32 s0, s0, s7
	s_sub_i32 s35, s0, s7
	s_clause 0x1
	s_load_dwordx16 s[8:23], s[4:5], 0x0
	s_load_dwordx2 s[0:1], s[4:5], 0xb8
	s_abs_i32 s7, s35
	v_cvt_f32_u32_e32 v2, s7
	v_rcp_iflag_f32_e32 v2, v2
	v_mul_f32_e32 v2, 0x4f7ffffe, v2
	s_waitcnt lgkmcnt(0)
	s_cmp_eq_u64 s[14:15], 0
	v_cvt_u32_f32_e32 v2, v2
	v_readfirstlane_b32 s37, v2
	s_cbranch_scc1 .LBB43_2
; %bb.1:
	s_abs_i32 s0, s0
	s_abs_i32 s30, s33
	v_cvt_f32_u32_e32 v2, s0
	s_sub_i32 s29, 0, s0
	v_rcp_iflag_f32_e32 v2, v2
	v_mul_f32_e32 v2, 0x4f7ffffe, v2
	v_cvt_u32_f32_e32 v2, v2
	v_readfirstlane_b32 s28, v2
	s_mul_i32 s29, s29, s28
	s_mul_hi_u32 s29, s28, s29
	s_add_i32 s28, s28, s29
	s_mul_hi_u32 s31, s30, s28
	s_load_dwordx2 s[28:29], s[4:5], 0xc8
	s_mul_i32 s31, s31, s0
	s_sub_i32 s30, s30, s31
	s_ashr_i32 s31, s33, 31
	s_sub_i32 s38, s30, s0
	s_cmp_ge_u32 s30, s0
	s_cselect_b32 s30, s38, s30
	s_sub_i32 s38, s30, s0
	s_cmp_ge_u32 s30, s0
	s_cselect_b32 s0, s38, s30
	s_xor_b32 s0, s0, s31
	s_sub_i32 s0, s0, s31
	s_ashr_i32 s30, s0, 31
	s_waitcnt lgkmcnt(0)
	s_mul_hi_u32 s31, s28, s0
	s_mul_i32 s30, s28, s30
	s_mul_i32 s29, s29, s0
	s_add_i32 s30, s31, s30
	s_mul_i32 s0, s28, s0
	s_add_i32 s30, s30, s29
	s_add_u32 s38, s14, s0
	s_addc_u32 s39, s15, s30
.LBB43_2:
	s_movk_i32 s14, 0xe0
	v_cmp_gt_u32_e64 s0, 28, v0
	v_mad_u32_u24 v55, v1, s14, 0x1040
	v_lshlrev_b32_e32 v58, 3, v0
	v_and_b32_e32 v56, 1, v1
	v_lshrrev_b32_e32 v57, 1, v1
	s_sub_i32 s14, s2, s3
	s_lshl_b32 s15, s6, 2
	s_and_saveexec_b32 s2, s0
	s_cbranch_execz .LBB43_4
; %bb.3:
	v_add_nc_u32_e32 v2, s15, v57
	s_load_dwordx4 s[28:31], s[4:5], 0x70
	v_lshlrev_b32_e32 v6, 4, v0
	v_mul_hi_u32 v3, s24, v2
	v_add_nc_u32_e32 v3, v2, v3
	v_lshrrev_b32_e32 v3, s25, v3
	s_waitcnt lgkmcnt(0)
	s_mul_i32 s3, s33, s30
	s_mul_i32 s31, s14, s29
	v_mul_lo_u32 v3, v3, s26
	s_ashr_i32 s40, s3, 31
	s_add_u32 s3, s8, s3
	s_addc_u32 s8, s9, s40
	s_ashr_i32 s9, s31, 31
	s_add_u32 s3, s3, s31
	s_mov_b32 s30, s29
	s_addc_u32 s40, s8, s9
	v_sub_nc_u32_e32 v4, v2, v3
	s_ashr_i32 s31, s29, 31
	s_ashr_i32 s29, s28, 31
	s_lshr_b64 s[8:9], s[28:29], 2
	s_lshr_b32 s28, s29, 2
	v_mad_u64_u32 v[2:3], null, s8, v4, 0
	s_lshr_b64 s[8:9], s[30:31], 2
	s_lshr_b32 s9, s31, 2
	v_mul_lo_u32 v5, s9, v56
	v_mad_u64_u32 v[3:4], null, s28, v4, v[3:4]
	v_mul_lo_u32 v4, s8, v56
	v_lshlrev_b64 v[2:3], 2, v[2:3]
	v_lshlrev_b64 v[4:5], 2, v[4:5]
	v_add_co_u32 v4, vcc_lo, s3, v4
	v_add_co_ci_u32_e64 v5, null, s40, v5, vcc_lo
	s_load_dword s3, s[4:5], 0x40
	v_add_co_u32 v2, vcc_lo, v4, v2
	v_add_co_ci_u32_e64 v3, null, v5, v3, vcc_lo
	v_add_co_u32 v2, vcc_lo, v2, v6
	v_add_co_ci_u32_e64 v3, null, 0, v3, vcc_lo
	v_add_nc_u32_e32 v6, v55, v58
	global_load_dwordx4 v[2:5], v[2:3], off
	s_waitcnt vmcnt(0) lgkmcnt(0)
	v_fma_mixlo_f16 v3, s3, v3, 0
	v_fma_mixlo_f16 v2, s3, v2, 0
	;; [unrolled: 1-line block ×4, first 2 shown]
	v_lshlrev_b32_e32 v3, 16, v3
	v_and_b32_e32 v2, 0xffff, v2
	v_and_b32_e32 v4, 0xffff, v4
	v_lshlrev_b32_e32 v5, 16, v5
	v_or_b32_e32 v2, v3, v2
	v_or3_b32 v3, v5, v4, 0
	v_or3_b32 v2, 0, 0, v2
	ds_write_b64 v6, v[2:3]
.LBB43_4:
	s_or_b32 exec_lo, exec_lo, s2
	s_cmp_eq_u64 s[18:19], 0
	s_waitcnt lgkmcnt(0)
	s_barrier
	buffer_gl0_inv
	s_cbranch_scc1 .LBB43_6
; %bb.5:
	s_load_dword s2, s[4:5], 0xd0
	s_mov_b32 s3, 0
	s_waitcnt lgkmcnt(0)
	s_mul_i32 s2, s2, s33
	s_add_i32 s2, s2, s6
	s_lshl_b64 s[2:3], s[2:3], 2
	s_add_u32 s2, s18, s2
	s_addc_u32 s3, s19, s3
	s_load_dword s36, s[2:3], 0x0
.LBB43_6:
	v_mbcnt_lo_u32_b32 v59, -1, 0
	s_lshl_b32 s18, s34, 5
	s_waitcnt lgkmcnt(0)
	s_cmp_lt_i32 s18, s36
	s_cbranch_scc1 .LBB43_9
; %bb.7:
	v_mbcnt_lo_u32_b32 v2, -1, 0
	v_mov_b32_e32 v60, 32
	v_xor_b32_e32 v63, 16, v2
	v_xor_b32_e32 v62, 8, v2
	;; [unrolled: 1-line block ×5, first 2 shown]
	s_cbranch_execz .LBB43_10
; %bb.8:
	v_mov_b32_e32 v70, 0
	v_mov_b32_e32 v83, 0
	;; [unrolled: 1-line block ×4, first 2 shown]
	s_branch .LBB43_38
.LBB43_9:
                                        ; implicit-def: $vgpr2
                                        ; implicit-def: $vgpr60
                                        ; implicit-def: $vgpr63
                                        ; implicit-def: $vgpr62
                                        ; implicit-def: $vgpr80
                                        ; implicit-def: $vgpr81
                                        ; implicit-def: $vgpr82
.LBB43_10:
	s_clause 0x1
	s_load_dwordx4 s[28:31], s[4:5], 0x98
	s_load_dwordx2 s[2:3], s[4:5], 0x8c
	v_add_nc_u32_e32 v7, s15, v57
	s_sub_i32 s6, 0, s7
	v_lshrrev_b32_e32 v3, 2, v0
	s_mul_i32 s6, s6, s37
	s_abs_i32 s40, s14
	v_mul_hi_u32 v4, s24, v7
	s_mul_hi_u32 s6, s37, s6
	v_lshl_add_u32 v9, v1, 3, v3
	s_add_i32 s37, s37, s6
	s_ashr_i32 s6, s1, 1
	s_mul_hi_u32 s1, s40, s37
	s_ashr_i32 s37, s33, 31
	s_ashr_i32 s41, s14, 31
	v_add_nc_u32_e32 v3, v7, v4
	s_ashr_i32 s35, s35, 31
	s_load_dwordx2 s[8:9], s[4:5], 0xa8
	s_mul_i32 s42, s1, s7
	v_lshrrev_b32_e32 v2, 1, v0
	s_waitcnt lgkmcnt(0)
	s_ashr_i32 s19, s30, 2
	s_ashr_i32 s30, s2, 2
	s_mul_hi_u32 s2, s28, s33
	s_mul_i32 s43, s28, s37
	s_mul_i32 s29, s29, s33
	s_add_i32 s2, s2, s43
	s_mul_i32 s28, s28, s33
	v_lshrrev_b32_e32 v3, s25, v3
	s_add_i32 s2, s2, s29
	s_add_u32 s10, s10, s28
	s_addc_u32 s2, s11, s2
	s_sub_i32 s28, s40, s42
	s_xor_b32 s11, s41, s35
	s_add_i32 s29, s1, 1
	s_sub_i32 s35, s28, s7
	v_mul_lo_u32 v12, v3, s26
	s_cmp_ge_u32 s28, s7
	v_lshlrev_b32_e32 v10, 2, v0
	s_cselect_b32 s1, s29, s1
	s_cselect_b32 s28, s35, s28
	s_add_i32 s29, s1, 1
	s_cmp_ge_u32 s28, s7
	s_mul_hi_u32 s7, s8, s33
	s_cselect_b32 s1, s29, s1
	v_sub_nc_u32_e32 v12, v7, v12
	s_xor_b32 s1, s1, s11
	s_mul_i32 s29, s8, s37
	s_sub_i32 s1, s1, s11
	v_lshl_add_u32 v5, v1, 5, v0
	v_mad_u64_u32 v[41:42], null, v12, s6, v[0:1]
	v_lshrrev_b32_e32 v12, 3, v0
	s_mul_i32 s3, s1, s3
	v_lshl_add_u32 v8, v1, 4, v2
	s_ashr_i32 s28, s3, 31
	v_and_b32_e32 v14, 4, v10
	s_add_u32 s11, s10, s3
	s_mul_i32 s9, s9, s33
	s_addc_u32 s28, s2, s28
	s_add_i32 s2, s7, s29
	v_lshl_add_u32 v68, v1, 6, 0x1740
	v_lshl_add_u32 v1, v1, 2, v12
	s_mul_i32 s8, s8, s33
	s_mul_i32 s1, s1, s31
	s_add_i32 s2, s2, s9
	s_add_u32 s3, s12, s8
	v_cmp_gt_u32_e32 vcc_lo, 32, v5
	v_mul_lo_u32 v2, s30, v5
	v_lshlrev_b32_e32 v5, 7, v8
	v_lshlrev_b32_e32 v11, 2, v14
	v_and_b32_e32 v15, 12, v10
	v_mul_u32_u24_e32 v16, 0xe0, v8
	s_addc_u32 s8, s13, s2
	s_ashr_i32 s9, s1, 31
	s_add_u32 s24, s3, s1
	v_cmp_gt_u32_e64 s1, 32, v8
	v_mul_lo_u32 v4, s30, v8
	v_mul_lo_u32 v6, s30, v9
	v_cmp_gt_u32_e64 s3, 16, v8
	v_mul_lo_u32 v8, s19, v8
	v_and_b32_e32 v71, 28, v10
	v_mul_lo_u32 v10, s19, v9
	v_mul_lo_u32 v12, s19, v1
	v_lshlrev_b32_e32 v13, 2, v15
	v_or3_b32 v66, v5, v11, 64
	v_or_b32_e32 v11, v16, v11
	v_mul_u32_u24_e32 v16, 0xe0, v9
	v_cmp_gt_u32_e64 s2, 32, v9
	v_ashrrev_i32_e32 v3, 31, v2
	v_ashrrev_i32_e32 v5, 31, v4
	v_lshl_or_b32 v67, v9, 7, v13
	v_ashrrev_i32_e32 v7, 31, v6
	v_cmp_gt_u32_e64 s6, 16, v9
	v_add_nc_u32_e32 v72, 0xc0, v11
	v_ashrrev_i32_e32 v9, 31, v8
	v_add3_u32 v73, v16, v13, 0x80
	v_ashrrev_i32_e32 v11, 31, v10
	v_ashrrev_i32_e32 v13, 31, v12
	v_lshlrev_b32_e32 v64, 7, v0
	v_lshlrev_b32_e32 v17, 2, v71
	v_lshlrev_b64 v[42:43], 2, v[2:3]
	v_lshlrev_b64 v[44:45], 2, v[4:5]
	;; [unrolled: 1-line block ×6, first 2 shown]
	v_or_b32_e32 v65, 0x60, v64
	v_mov_b32_e32 v61, 0
	v_lshl_add_u32 v69, v0, 1, v68
	v_cmp_gt_u32_e64 s7, 16, v1
	v_mad_u32_u24 v74, 0xe0, v1, v17
	v_mov_b32_e32 v79, 0xfeffffff
	v_mov_b32_e32 v60, 32
	v_lshlrev_b32_e32 v75, 2, v14
	v_lshlrev_b32_e32 v76, 2, v15
	v_xor_b32_e32 v63, 16, v59
	v_xor_b32_e32 v62, 8, v59
	v_mov_b32_e32 v77, 0x10001
	v_mov_b32_e32 v70, 0
	;; [unrolled: 1-line block ×3, first 2 shown]
	s_addc_u32 s25, s8, s9
	s_add_u32 s12, s4, 0xd0
	s_addc_u32 s13, s5, 0
.LBB43_11:                              ; =>This Inner Loop Header: Depth=1
	s_mul_hi_i32 s9, s18, s30
	s_mul_i32 s8, s18, s30
	s_lshl_b64 s[40:41], s[8:9], 2
	s_add_u32 s9, s11, s40
	s_addc_u32 s10, s28, s41
	s_and_saveexec_b32 s29, vcc_lo
	s_cbranch_execnz .LBB43_29
; %bb.12:                               ;   in Loop: Header=BB43_11 Depth=1
	s_or_b32 exec_lo, exec_lo, s29
	s_and_saveexec_b32 s29, s1
	s_cbranch_execnz .LBB43_30
.LBB43_13:                              ;   in Loop: Header=BB43_11 Depth=1
	s_or_b32 exec_lo, exec_lo, s29
	s_and_saveexec_b32 s29, s2
	s_cbranch_execz .LBB43_15
.LBB43_14:                              ;   in Loop: Header=BB43_11 Depth=1
	v_add_co_u32 v1, s8, s9, v46
	v_add_co_ci_u32_e64 v2, null, s10, v47, s8
	v_add_co_u32 v1, s8, v1, v76
	v_add_co_ci_u32_e64 v2, null, 0, v2, s8
	global_load_dwordx4 v[1:4], v[1:2], off
	s_waitcnt vmcnt(0)
	ds_write_b128 v67, v[1:4]
.LBB43_15:                              ;   in Loop: Header=BB43_11 Depth=1
	s_or_b32 exec_lo, exec_lo, s29
	s_waitcnt lgkmcnt(0)
	s_barrier
	buffer_gl0_inv
	ds_read_b128 v[2:5], v64
	ds_read_b128 v[6:9], v55
	v_mov_b32_e32 v1, 0
	s_waitcnt lgkmcnt(0)
	;;#ASMSTART
	v_dot2_f32_f16 v1, v2, v6, v1
	;;#ASMEND
	;;#ASMSTART
	v_dot2_f32_f16 v1, v3, v7, v1
	;;#ASMEND
	;;#ASMSTART
	v_dot2_f32_f16 v1, v4, v8, v1
	;;#ASMEND
	;;#ASMSTART
	v_dot2_f32_f16 v1, v5, v9, v1
	;;#ASMEND
	ds_read_b128 v[2:5], v64 offset:16
	ds_read_b128 v[6:9], v55 offset:16
	s_waitcnt lgkmcnt(0)
	;;#ASMSTART
	v_dot2_f32_f16 v1, v2, v6, v1
	;;#ASMEND
	;;#ASMSTART
	v_dot2_f32_f16 v1, v3, v7, v1
	;;#ASMEND
	;;#ASMSTART
	v_dot2_f32_f16 v1, v4, v8, v1
	;;#ASMEND
	;;#ASMSTART
	v_dot2_f32_f16 v1, v5, v9, v1
	;;#ASMEND
	ds_read_b128 v[2:5], v64 offset:32
	ds_read_b128 v[6:9], v55 offset:32
	s_waitcnt lgkmcnt(0)
	;;#ASMSTART
	v_dot2_f32_f16 v1, v2, v6, v1
	;;#ASMEND
	;;#ASMSTART
	v_dot2_f32_f16 v1, v3, v7, v1
	;;#ASMEND
	;;#ASMSTART
	v_dot2_f32_f16 v1, v4, v8, v1
	;;#ASMEND
	;;#ASMSTART
	v_dot2_f32_f16 v1, v5, v9, v1
	;;#ASMEND
	ds_read_b128 v[2:5], v64 offset:48
	ds_read_b128 v[6:9], v55 offset:48
	s_waitcnt lgkmcnt(0)
	;;#ASMSTART
	v_dot2_f32_f16 v1, v2, v6, v1
	;;#ASMEND
	;;#ASMSTART
	v_dot2_f32_f16 v1, v3, v7, v1
	;;#ASMEND
	;;#ASMSTART
	v_dot2_f32_f16 v1, v4, v8, v1
	;;#ASMEND
	;;#ASMSTART
	v_dot2_f32_f16 v1, v5, v9, v1
	;;#ASMEND
	ds_read_b128 v[2:5], v64 offset:64
	ds_read_b128 v[6:9], v55 offset:64
	s_waitcnt lgkmcnt(0)
	;;#ASMSTART
	v_dot2_f32_f16 v1, v2, v6, v1
	;;#ASMEND
	;;#ASMSTART
	v_dot2_f32_f16 v1, v3, v7, v1
	;;#ASMEND
	;;#ASMSTART
	v_dot2_f32_f16 v1, v4, v8, v1
	;;#ASMEND
	;;#ASMSTART
	v_dot2_f32_f16 v1, v5, v9, v1
	;;#ASMEND
	ds_read_b128 v[2:5], v64 offset:80
	ds_read_b128 v[6:9], v55 offset:80
	s_waitcnt lgkmcnt(0)
	;;#ASMSTART
	v_dot2_f32_f16 v1, v2, v6, v1
	;;#ASMEND
	;;#ASMSTART
	v_dot2_f32_f16 v1, v3, v7, v1
	;;#ASMEND
	;;#ASMSTART
	v_dot2_f32_f16 v1, v4, v8, v1
	;;#ASMEND
	;;#ASMSTART
	v_dot2_f32_f16 v1, v5, v9, v1
	;;#ASMEND
	ds_read_b128 v[2:5], v64 offset:96
	ds_read_b128 v[6:9], v55 offset:96
	s_waitcnt lgkmcnt(0)
	;;#ASMSTART
	v_dot2_f32_f16 v1, v2, v6, v1
	;;#ASMEND
	;;#ASMSTART
	v_dot2_f32_f16 v1, v3, v7, v1
	;;#ASMEND
	;; [unrolled: 3-line block ×4, first 2 shown]
	s_barrier
	buffer_gl0_inv
	s_and_saveexec_b32 s29, vcc_lo
	s_cbranch_execnz .LBB43_31
; %bb.16:                               ;   in Loop: Header=BB43_11 Depth=1
	s_or_b32 exec_lo, exec_lo, s29
	s_and_saveexec_b32 s29, s1
	s_cbranch_execnz .LBB43_32
.LBB43_17:                              ;   in Loop: Header=BB43_11 Depth=1
	s_or_b32 exec_lo, exec_lo, s29
	s_and_saveexec_b32 s29, s2
	s_cbranch_execz .LBB43_19
.LBB43_18:                              ;   in Loop: Header=BB43_11 Depth=1
	v_add_co_u32 v2, s8, s9, v46
	v_add_co_ci_u32_e64 v3, null, s10, v47, s8
	v_add_co_u32 v2, s8, v2, v76
	v_add_co_ci_u32_e64 v3, null, 0, v3, s8
	global_load_dwordx4 v[2:5], v[2:3], off offset:112
	s_waitcnt vmcnt(0)
	ds_write_b128 v67, v[2:5]
.LBB43_19:                              ;   in Loop: Header=BB43_11 Depth=1
	s_or_b32 exec_lo, exec_lo, s29
	s_waitcnt lgkmcnt(0)
	s_barrier
	buffer_gl0_inv
	ds_read_b128 v[2:5], v64
	ds_read_b128 v[6:9], v55 offset:112
	v_add_nc_u32_e32 v10, s18, v41
	v_xor_b32_e32 v80, 4, v59
	v_xor_b32_e32 v81, 2, v59
	;; [unrolled: 1-line block ×3, first 2 shown]
	s_mul_hi_i32 s9, s18, s19
	v_ashrrev_i32_e32 v11, 31, v10
	s_waitcnt lgkmcnt(0)
	;;#ASMSTART
	v_dot2_f32_f16 v1, v2, v6, v1
	;;#ASMEND
	;;#ASMSTART
	v_dot2_f32_f16 v1, v3, v7, v1
	;;#ASMEND
	;; [unrolled: 3-line block ×4, first 2 shown]
	ds_read_b128 v[2:5], v64 offset:16
	ds_read_b128 v[6:9], v55 offset:128
	v_lshlrev_b64 v[10:11], 1, v[10:11]
	s_waitcnt lgkmcnt(0)
	;;#ASMSTART
	v_dot2_f32_f16 v1, v2, v6, v1
	;;#ASMEND
	;;#ASMSTART
	v_dot2_f32_f16 v1, v3, v7, v1
	;;#ASMEND
	;; [unrolled: 3-line block ×4, first 2 shown]
	ds_read_b128 v[2:5], v64 offset:32
	ds_read_b128 v[6:9], v55 offset:144
	v_add_co_u32 v10, s8, s38, v10
	v_add_co_ci_u32_e64 v11, null, s39, v11, s8
	v_cmp_gt_i32_e64 s8, 32, v63
	s_waitcnt lgkmcnt(0)
	;;#ASMSTART
	v_dot2_f32_f16 v1, v2, v6, v1
	;;#ASMEND
	;;#ASMSTART
	v_dot2_f32_f16 v1, v3, v7, v1
	;;#ASMEND
	;;#ASMSTART
	v_dot2_f32_f16 v1, v4, v8, v1
	;;#ASMEND
	;;#ASMSTART
	v_dot2_f32_f16 v1, v5, v9, v1
	;;#ASMEND
	ds_read_b128 v[2:5], v64 offset:48
	ds_read_b128 v[6:9], v55 offset:160
	s_waitcnt lgkmcnt(0)
	;;#ASMSTART
	v_dot2_f32_f16 v1, v2, v6, v1
	;;#ASMEND
	;;#ASMSTART
	v_dot2_f32_f16 v1, v3, v7, v1
	;;#ASMEND
	;;#ASMSTART
	v_dot2_f32_f16 v1, v4, v8, v1
	;;#ASMEND
	;;#ASMSTART
	v_dot2_f32_f16 v1, v5, v9, v1
	;;#ASMEND
	ds_read_b128 v[2:5], v64 offset:64
	ds_read_b128 v[6:9], v55 offset:176
	;; [unrolled: 15-line block ×4, first 2 shown]
	s_waitcnt lgkmcnt(0)
	;;#ASMSTART
	v_dot2_f32_f16 v1, v2, v6, v1
	;;#ASMEND
	;;#ASMSTART
	v_dot2_f32_f16 v1, v3, v7, v1
	;;#ASMEND
	;; [unrolled: 3-line block ×4, first 2 shown]
	global_load_ushort v2, v[10:11], off
	v_max_f32_e32 v3, v79, v79
	s_waitcnt vmcnt(0)
	s_barrier
	buffer_gl0_inv
	v_cvt_f32_f16_e32 v2, v2
	v_add_f32_e32 v1, v1, v2
	v_cndmask_b32_e64 v2, v59, v63, s8
	v_cmp_gt_i32_e64 s8, 32, v62
	v_add_f32_e32 v4, 0x40051340, v1
	v_lshlrev_b32_e32 v2, 2, v2
	v_max_f32_e32 v3, v3, v4
	v_cndmask_b32_e64 v4, v59, v62, s8
	v_cmp_gt_i32_e64 s8, 32, v80
	ds_bpermute_b32 v2, v2, v3
	v_lshlrev_b32_e32 v4, 2, v4
	s_waitcnt lgkmcnt(0)
	v_max_f32_e32 v2, v2, v2
	v_max_f32_e32 v2, v3, v2
	ds_bpermute_b32 v3, v4, v2
	v_cndmask_b32_e64 v4, v59, v80, s8
	v_cmp_gt_i32_e64 s8, 32, v81
	v_lshlrev_b32_e32 v4, 2, v4
	s_waitcnt lgkmcnt(0)
	v_max_f32_e32 v3, v3, v3
	v_max_f32_e32 v2, v2, v3
	ds_bpermute_b32 v3, v4, v2
	v_cndmask_b32_e64 v4, v59, v81, s8
	v_cmp_gt_i32_e64 s8, 32, v82
	v_lshlrev_b32_e32 v4, 2, v4
	s_waitcnt lgkmcnt(0)
	v_max_f32_e32 v3, v3, v3
	v_max_f32_e32 v2, v2, v3
	ds_bpermute_b32 v3, v4, v2
	v_cndmask_b32_e64 v4, v59, v82, s8
	v_lshlrev_b32_e32 v4, 2, v4
	s_waitcnt lgkmcnt(0)
	v_max_f32_e32 v3, v3, v3
	v_max_f32_e32 v2, v2, v3
	ds_bpermute_b32 v3, v4, v2
	s_waitcnt lgkmcnt(0)
	v_max_f32_e32 v3, v3, v3
	v_max_f32_e32 v54, v2, v3
	v_sub_f32_e32 v1, v1, v54
	v_mul_f32_e32 v2, 0x3fb8aa3b, v1
	v_cmp_ngt_f32_e64 s8, 0xc2ce8ed0, v1
	v_fma_f32 v3, 0x3fb8aa3b, v1, -v2
	v_rndne_f32_e32 v4, v2
	v_fmac_f32_e32 v3, 0x32a5705f, v1
	v_sub_f32_e32 v2, v2, v4
	v_add_f32_e32 v2, v2, v3
	v_cvt_i32_f32_e32 v3, v4
	v_exp_f32_e32 v2, v2
	v_ldexp_f32 v2, v2, v3
	v_cndmask_b32_e64 v2, 0, v2, s8
	v_cmp_nlt_f32_e64 s8, 0x42b17218, v1
	v_cndmask_b32_e64 v83, 0x7f800000, v2, s8
	s_mul_i32 s8, s18, s19
	s_lshl_b64 s[40:41], s[8:9], 2
	v_cvt_f16_f32_e32 v1, v83
	s_add_u32 s9, s24, s40
	s_addc_u32 s10, s25, s41
	ds_write_b16 v69, v1
	s_and_saveexec_b32 s29, s3
	s_cbranch_execnz .LBB43_33
; %bb.20:                               ;   in Loop: Header=BB43_11 Depth=1
	s_or_b32 exec_lo, exec_lo, s29
	s_and_saveexec_b32 s29, s6
	s_cbranch_execnz .LBB43_34
.LBB43_21:                              ;   in Loop: Header=BB43_11 Depth=1
	s_or_b32 exec_lo, exec_lo, s29
	v_lshlrev_b32_e32 v85, 2, v71
	s_and_saveexec_b32 s29, s7
	s_cbranch_execz .LBB43_23
.LBB43_22:                              ;   in Loop: Header=BB43_11 Depth=1
	v_add_co_u32 v1, s8, s9, v52
	v_add_co_ci_u32_e64 v2, null, s10, v53, s8
	v_add_co_u32 v1, s8, v1, v85
	v_add_co_ci_u32_e64 v2, null, 0, v2, s8
	global_load_dwordx4 v[1:4], v[1:2], off
	s_waitcnt vmcnt(0)
	ds_write_b128 v74, v[1:4]
.LBB43_23:                              ;   in Loop: Header=BB43_11 Depth=1
	s_or_b32 exec_lo, exec_lo, s29
	v_add_nc_u32_e32 v84, 0x800, v58
	s_waitcnt lgkmcnt(0)
	s_barrier
	buffer_gl0_inv
	ds_read2_b64 v[25:28], v58 offset1:28
	ds_read_b128 v[17:20], v68
	ds_read_b128 v[1:4], v68 offset:16
	ds_read2_b64 v[37:40], v58 offset0:56 offset1:84
	ds_read2_b64 v[33:36], v58 offset0:112 offset1:140
	;; [unrolled: 1-line block ×7, first 2 shown]
	v_sub_f32_e32 v79, v79, v54
	s_or_b32 s10, s18, 16
	s_waitcnt lgkmcnt(0)
	s_mul_hi_i32 s41, s10, s19
	s_mul_i32 s40, s10, s19
	v_cmp_ngt_f32_e64 s8, 0xc2ce8ed0, v79
	v_cmp_nlt_f32_e64 s9, 0x42b17218, v79
	s_lshl_b64 s[40:41], s[40:41], 2
	s_barrier
	s_add_u32 s29, s24, s40
	s_addc_u32 s31, s25, s41
	buffer_gl0_inv
	s_and_saveexec_b32 s35, s3
	s_cbranch_execnz .LBB43_35
; %bb.24:                               ;   in Loop: Header=BB43_11 Depth=1
	s_or_b32 exec_lo, exec_lo, s35
	s_and_saveexec_b32 s35, s6
	s_cbranch_execnz .LBB43_36
.LBB43_25:                              ;   in Loop: Header=BB43_11 Depth=1
	s_or_b32 exec_lo, exec_lo, s35
	s_and_saveexec_b32 s35, s7
	s_cbranch_execz .LBB43_27
.LBB43_26:                              ;   in Loop: Header=BB43_11 Depth=1
	v_add_co_u32 v86, s10, s29, v52
	v_add_co_ci_u32_e64 v87, null, s31, v53, s10
	v_add_co_u32 v85, s10, v86, v85
	v_add_co_ci_u32_e64 v86, null, 0, v87, s10
	global_load_dwordx4 v[85:88], v[85:86], off
	s_waitcnt vmcnt(0)
	ds_write_b128 v74, v[85:88]
.LBB43_27:                              ;   in Loop: Header=BB43_11 Depth=1
	s_or_b32 exec_lo, exec_lo, s35
	v_mul_f32_e32 v85, 0x3fb8aa3b, v79
	s_waitcnt lgkmcnt(0)
	s_barrier
	buffer_gl0_inv
	v_fma_f32 v86, 0x3fb8aa3b, v79, -v85
	v_rndne_f32_e32 v87, v85
	v_fmac_f32_e32 v86, 0x32a5705f, v79
	v_sub_f32_e32 v79, v85, v87
	v_cvt_i32_f32_e32 v85, v87
	v_add_f32_e32 v79, v79, v86
	v_exp_f32_e32 v79, v79
	v_ldexp_f32 v79, v79, v85
	v_mul_u32_u24_sdwa v85, v17, v77 dst_sel:DWORD dst_unused:UNUSED_PAD src0_sel:WORD_0 src1_sel:DWORD
	v_mul_u32_u24_sdwa v17, v17, v77 dst_sel:DWORD dst_unused:UNUSED_PAD src0_sel:WORD_1 src1_sel:DWORD
	v_cndmask_b32_e64 v79, 0, v79, s8
	v_pk_mul_f16 v25, v25, v85
	v_pk_mul_f16 v26, v26, v85
	v_cndmask_b32_e64 v79, 0x7f800000, v79, s9
	v_cvt_f16_f32_e32 v86, v79
	v_fmac_f32_e32 v83, v78, v79
	v_mul_u32_u24_sdwa v86, v86, v77 dst_sel:DWORD dst_unused:UNUSED_PAD src0_sel:WORD_0 src1_sel:DWORD
	v_pk_fma_f16 v25, v61, v86, v25
	v_pk_fma_f16 v26, v70, v86, v26
	v_mul_u32_u24_sdwa v61, v18, v77 dst_sel:DWORD dst_unused:UNUSED_PAD src0_sel:WORD_0 src1_sel:DWORD
	v_mul_u32_u24_sdwa v18, v18, v77 dst_sel:DWORD dst_unused:UNUSED_PAD src0_sel:WORD_1 src1_sel:DWORD
	v_pk_fma_f16 v25, v27, v17, v25
	v_pk_fma_f16 v17, v28, v17, v26
	v_mul_u32_u24_sdwa v26, v19, v77 dst_sel:DWORD dst_unused:UNUSED_PAD src0_sel:WORD_0 src1_sel:DWORD
	v_pk_fma_f16 v25, v37, v61, v25
	v_pk_fma_f16 v17, v38, v61, v17
	;; [unrolled: 1-line block ×4, first 2 shown]
	v_mul_u32_u24_sdwa v18, v19, v77 dst_sel:DWORD dst_unused:UNUSED_PAD src0_sel:WORD_1 src1_sel:DWORD
	v_pk_fma_f16 v19, v33, v26, v25
	v_pk_fma_f16 v17, v34, v26, v17
	v_mul_u32_u24_sdwa v25, v20, v77 dst_sel:DWORD dst_unused:UNUSED_PAD src0_sel:WORD_0 src1_sel:DWORD
	v_pk_fma_f16 v19, v35, v18, v19
	v_pk_fma_f16 v17, v36, v18, v17
	v_mul_u32_u24_sdwa v18, v20, v77 dst_sel:DWORD dst_unused:UNUSED_PAD src0_sel:WORD_1 src1_sel:DWORD
	v_mul_u32_u24_sdwa v20, v1, v77 dst_sel:DWORD dst_unused:UNUSED_PAD src0_sel:WORD_0 src1_sel:DWORD
	v_mul_u32_u24_sdwa v1, v1, v77 dst_sel:DWORD dst_unused:UNUSED_PAD src0_sel:WORD_1 src1_sel:DWORD
	v_pk_fma_f16 v19, v29, v25, v19
	v_pk_fma_f16 v17, v30, v25, v17
	;; [unrolled: 1-line block ×6, first 2 shown]
	v_mul_u32_u24_sdwa v19, v2, v77 dst_sel:DWORD dst_unused:UNUSED_PAD src0_sel:WORD_0 src1_sel:DWORD
	v_mul_u32_u24_sdwa v2, v2, v77 dst_sel:DWORD dst_unused:UNUSED_PAD src0_sel:WORD_1 src1_sel:DWORD
	v_mul_u32_u24_sdwa v21, v3, v77 dst_sel:DWORD dst_unused:UNUSED_PAD src0_sel:WORD_0 src1_sel:DWORD
	v_pk_fma_f16 v18, v23, v1, v18
	v_pk_fma_f16 v1, v24, v1, v17
	;; [unrolled: 1-line block ×4, first 2 shown]
	ds_read_b128 v[17:20], v68 offset:32
	v_pk_fma_f16 v22, v15, v2, v13
	v_pk_fma_f16 v1, v16, v2, v1
	v_mul_u32_u24_sdwa v2, v3, v77 dst_sel:DWORD dst_unused:UNUSED_PAD src0_sel:WORD_1 src1_sel:DWORD
	ds_read2_b64 v[13:16], v58 offset1:28
	v_pk_fma_f16 v3, v9, v21, v22
	v_pk_fma_f16 v1, v10, v21, v1
	v_mul_u32_u24_sdwa v9, v4, v77 dst_sel:DWORD dst_unused:UNUSED_PAD src0_sel:WORD_0 src1_sel:DWORD
	v_mul_u32_u24_sdwa v21, v4, v77 dst_sel:DWORD dst_unused:UNUSED_PAD src0_sel:WORD_1 src1_sel:DWORD
	v_pk_fma_f16 v10, v11, v2, v3
	v_pk_fma_f16 v11, v12, v2, v1
	ds_read2_b64 v[1:4], v58 offset0:56 offset1:84
	v_pk_fma_f16 v5, v5, v9, v10
	v_pk_fma_f16 v6, v6, v9, v11
	ds_read_b128 v[9:12], v68 offset:48
	s_waitcnt lgkmcnt(3)
	v_mul_u32_u24_sdwa v22, v17, v77 dst_sel:DWORD dst_unused:UNUSED_PAD src0_sel:WORD_0 src1_sel:DWORD
	v_mul_u32_u24_sdwa v17, v17, v77 dst_sel:DWORD dst_unused:UNUSED_PAD src0_sel:WORD_1 src1_sel:DWORD
	v_pk_fma_f16 v23, v7, v21, v5
	v_pk_fma_f16 v21, v8, v21, v6
	ds_read2_b64 v[5:8], v58 offset0:112 offset1:140
	s_waitcnt lgkmcnt(3)
	v_pk_fma_f16 v13, v13, v22, v23
	v_pk_fma_f16 v14, v14, v22, v21
	v_mul_u32_u24_sdwa v21, v18, v77 dst_sel:DWORD dst_unused:UNUSED_PAD src0_sel:WORD_0 src1_sel:DWORD
	v_mul_u32_u24_sdwa v18, v18, v77 dst_sel:DWORD dst_unused:UNUSED_PAD src0_sel:WORD_1 src1_sel:DWORD
	v_pk_fma_f16 v22, v15, v17, v13
	v_pk_fma_f16 v17, v16, v17, v14
	ds_read2_b64 v[13:16], v58 offset0:168 offset1:196
	s_waitcnt lgkmcnt(3)
	v_pk_fma_f16 v1, v1, v21, v22
	v_pk_fma_f16 v2, v2, v21, v17
	;; [unrolled: 8-line block ×3, first 2 shown]
	v_mul_u32_u24_sdwa v17, v20, v77 dst_sel:DWORD dst_unused:UNUSED_PAD src0_sel:WORD_0 src1_sel:DWORD
	v_mul_u32_u24_sdwa v20, v20, v77 dst_sel:DWORD dst_unused:UNUSED_PAD src0_sel:WORD_1 src1_sel:DWORD
	v_mul_u32_u24_sdwa v21, v10, v77 dst_sel:DWORD dst_unused:UNUSED_PAD src0_sel:WORD_0 src1_sel:DWORD
	v_pk_fma_f16 v18, v7, v19, v5
	v_pk_fma_f16 v19, v8, v19, v6
	ds_read2_b64 v[5:8], v84 offset0:24 offset1:52
	s_waitcnt lgkmcnt(2)
	v_pk_fma_f16 v13, v13, v17, v18
	v_pk_fma_f16 v14, v14, v17, v19
	v_mul_u32_u24_sdwa v17, v9, v77 dst_sel:DWORD dst_unused:UNUSED_PAD src0_sel:WORD_0 src1_sel:DWORD
	v_mul_u32_u24_sdwa v9, v9, v77 dst_sel:DWORD dst_unused:UNUSED_PAD src0_sel:WORD_1 src1_sel:DWORD
	v_pk_fma_f16 v18, v15, v20, v13
	v_pk_fma_f16 v19, v16, v20, v14
	ds_read2_b64 v[13:16], v84 offset0:80 offset1:108
	s_waitcnt lgkmcnt(2)
	v_pk_fma_f16 v1, v1, v17, v18
	v_pk_fma_f16 v2, v2, v17, v19
	ds_read2_b64 v[17:20], v84 offset0:136 offset1:164
	s_waitcnt lgkmcnt(0)
	s_barrier
	v_pk_fma_f16 v1, v3, v9, v1
	v_pk_fma_f16 v2, v4, v9, v2
	v_mul_u32_u24_sdwa v3, v10, v77 dst_sel:DWORD dst_unused:UNUSED_PAD src0_sel:WORD_1 src1_sel:DWORD
	buffer_gl0_inv
	s_load_dword s8, s[12:13], 0x4
	v_pk_fma_f16 v1, v5, v21, v1
	v_pk_fma_f16 v2, v6, v21, v2
	v_mul_u32_u24_sdwa v4, v11, v77 dst_sel:DWORD dst_unused:UNUSED_PAD src0_sel:WORD_0 src1_sel:DWORD
	v_pk_fma_f16 v1, v7, v3, v1
	v_pk_fma_f16 v2, v8, v3, v2
	v_mul_u32_u24_sdwa v3, v11, v77 dst_sel:DWORD dst_unused:UNUSED_PAD src0_sel:WORD_1 src1_sel:DWORD
	v_pk_fma_f16 v1, v13, v4, v1
	v_pk_fma_f16 v2, v14, v4, v2
	v_mul_u32_u24_sdwa v4, v12, v77 dst_sel:DWORD dst_unused:UNUSED_PAD src0_sel:WORD_0 src1_sel:DWORD
	v_pk_fma_f16 v1, v15, v3, v1
	v_pk_fma_f16 v2, v16, v3, v2
	v_mul_u32_u24_sdwa v3, v12, v77 dst_sel:DWORD dst_unused:UNUSED_PAD src0_sel:WORD_1 src1_sel:DWORD
	s_waitcnt lgkmcnt(0)
	s_lshl_b32 s8, s8, 5
	v_pk_fma_f16 v1, v17, v4, v1
	v_pk_fma_f16 v2, v18, v4, v2
	s_add_i32 s18, s8, s18
	s_cmp_ge_i32 s18, s36
	v_pk_fma_f16 v61, v19, v3, v1
	v_pk_fma_f16 v70, v20, v3, v2
	s_cbranch_scc1 .LBB43_37
; %bb.28:                               ;   in Loop: Header=BB43_11 Depth=1
	v_mov_b32_e32 v79, v54
	v_mov_b32_e32 v78, v83
	s_branch .LBB43_11
.LBB43_29:                              ;   in Loop: Header=BB43_11 Depth=1
	v_add_co_u32 v1, s8, s9, v42
	v_add_co_ci_u32_e64 v2, null, s10, v43, s8
	global_load_dwordx4 v[1:4], v[1:2], off offset:96
	s_waitcnt vmcnt(0)
	ds_write_b128 v65, v[1:4]
	s_or_b32 exec_lo, exec_lo, s29
	s_and_saveexec_b32 s29, s1
	s_cbranch_execz .LBB43_13
.LBB43_30:                              ;   in Loop: Header=BB43_11 Depth=1
	v_add_co_u32 v1, s8, s9, v44
	v_add_co_ci_u32_e64 v2, null, s10, v45, s8
	v_add_co_u32 v1, s8, v1, v75
	v_add_co_ci_u32_e64 v2, null, 0, v2, s8
	global_load_dwordx4 v[1:4], v[1:2], off offset:64
	s_waitcnt vmcnt(0)
	ds_write_b128 v66, v[1:4]
	s_or_b32 exec_lo, exec_lo, s29
	s_and_saveexec_b32 s29, s2
	s_cbranch_execnz .LBB43_14
	s_branch .LBB43_15
.LBB43_31:                              ;   in Loop: Header=BB43_11 Depth=1
	v_add_co_u32 v2, s8, s9, v42
	v_add_co_ci_u32_e64 v3, null, s10, v43, s8
	global_load_dwordx4 v[2:5], v[2:3], off offset:208
	s_waitcnt vmcnt(0)
	ds_write_b128 v65, v[2:5]
	s_or_b32 exec_lo, exec_lo, s29
	s_and_saveexec_b32 s29, s1
	s_cbranch_execz .LBB43_17
.LBB43_32:                              ;   in Loop: Header=BB43_11 Depth=1
	v_add_co_u32 v2, s8, s9, v44
	v_add_co_ci_u32_e64 v3, null, s10, v45, s8
	v_add_co_u32 v2, s8, v2, v75
	v_add_co_ci_u32_e64 v3, null, 0, v3, s8
	global_load_dwordx4 v[2:5], v[2:3], off offset:176
	s_waitcnt vmcnt(0)
	ds_write_b128 v66, v[2:5]
	s_or_b32 exec_lo, exec_lo, s29
	s_and_saveexec_b32 s29, s2
	s_cbranch_execnz .LBB43_18
	s_branch .LBB43_19
.LBB43_33:                              ;   in Loop: Header=BB43_11 Depth=1
	v_add_co_u32 v1, s8, s9, v48
	v_add_co_ci_u32_e64 v2, null, s10, v49, s8
	v_add_co_u32 v1, s8, v1, v75
	v_add_co_ci_u32_e64 v2, null, 0, v2, s8
	global_load_dwordx4 v[1:4], v[1:2], off offset:192
	s_waitcnt vmcnt(0)
	ds_write_b128 v72, v[1:4]
	s_or_b32 exec_lo, exec_lo, s29
	s_and_saveexec_b32 s29, s6
	s_cbranch_execz .LBB43_21
.LBB43_34:                              ;   in Loop: Header=BB43_11 Depth=1
	v_add_co_u32 v1, s8, s9, v50
	v_add_co_ci_u32_e64 v2, null, s10, v51, s8
	v_add_co_u32 v1, s8, v1, v76
	v_add_co_ci_u32_e64 v2, null, 0, v2, s8
	global_load_dwordx4 v[1:4], v[1:2], off offset:128
	s_waitcnt vmcnt(0)
	ds_write_b128 v73, v[1:4]
	s_or_b32 exec_lo, exec_lo, s29
	v_lshlrev_b32_e32 v85, 2, v71
	s_and_saveexec_b32 s29, s7
	s_cbranch_execnz .LBB43_22
	s_branch .LBB43_23
.LBB43_35:                              ;   in Loop: Header=BB43_11 Depth=1
	v_add_co_u32 v86, s10, s29, v48
	v_add_co_ci_u32_e64 v87, null, s31, v49, s10
	v_add_co_u32 v86, s10, v86, v75
	v_add_co_ci_u32_e64 v87, null, 0, v87, s10
	global_load_dwordx4 v[86:89], v[86:87], off offset:192
	s_waitcnt vmcnt(0)
	ds_write_b128 v72, v[86:89]
	s_or_b32 exec_lo, exec_lo, s35
	s_and_saveexec_b32 s35, s6
	s_cbranch_execz .LBB43_25
.LBB43_36:                              ;   in Loop: Header=BB43_11 Depth=1
	v_add_co_u32 v86, s10, s29, v50
	v_add_co_ci_u32_e64 v87, null, s31, v51, s10
	v_add_co_u32 v86, s10, v86, v76
	v_add_co_ci_u32_e64 v87, null, 0, v87, s10
	global_load_dwordx4 v[86:89], v[86:87], off offset:128
	s_waitcnt vmcnt(0)
	ds_write_b128 v73, v[86:89]
	s_or_b32 exec_lo, exec_lo, s35
	s_and_saveexec_b32 s35, s7
	s_cbranch_execnz .LBB43_26
	s_branch .LBB43_27
.LBB43_37:
	v_mov_b32_e32 v2, v59
.LBB43_38:
	v_cmp_lt_i32_e32 vcc_lo, v63, v60
	s_cmp_lg_u64 s[16:17], 0
	s_cselect_b32 s1, -1, 0
	s_cmp_eq_u32 s34, 0
	v_cndmask_b32_e32 v1, v2, v63, vcc_lo
	v_cmp_lt_i32_e32 vcc_lo, v62, v60
	s_cselect_b32 s2, -1, 0
	s_and_b32 s1, s2, s1
	v_lshlrev_b32_e32 v1, 2, v1
	v_cndmask_b32_e32 v3, v2, v62, vcc_lo
	v_cmp_lt_i32_e32 vcc_lo, v80, v60
	ds_bpermute_b32 v1, v1, v83
	v_lshlrev_b32_e32 v3, 2, v3
	v_cndmask_b32_e32 v4, v2, v80, vcc_lo
	v_cmp_lt_i32_e32 vcc_lo, v81, v60
	v_lshlrev_b32_e32 v4, 2, v4
	s_waitcnt lgkmcnt(0)
	v_add_f32_e32 v1, v83, v1
	ds_bpermute_b32 v3, v3, v1
	s_waitcnt lgkmcnt(0)
	v_add_f32_e32 v1, v1, v3
	ds_bpermute_b32 v3, v4, v1
	v_cndmask_b32_e32 v4, v2, v81, vcc_lo
	v_cmp_lt_i32_e32 vcc_lo, v82, v60
	v_lshlrev_b32_e32 v4, 2, v4
	v_cndmask_b32_e32 v2, v2, v82, vcc_lo
	s_and_b32 vcc_lo, exec_lo, s1
	v_lshlrev_b32_e32 v2, 2, v2
	s_waitcnt lgkmcnt(0)
	v_add_f32_e32 v1, v1, v3
	ds_bpermute_b32 v3, v4, v1
	s_waitcnt lgkmcnt(0)
	v_add_f32_e32 v1, v1, v3
	ds_bpermute_b32 v2, v2, v1
	s_waitcnt lgkmcnt(0)
	v_add_f32_e32 v55, v1, v2
	s_cbranch_vccz .LBB43_40
; %bb.39:
	v_add_nc_u32_e32 v1, s14, v56
	v_ashrrev_i32_e32 v2, 31, v1
	v_lshlrev_b64 v[1:2], 2, v[1:2]
	v_add_co_u32 v1, vcc_lo, s16, v1
	v_add_co_ci_u32_e64 v2, null, s17, v2, vcc_lo
	global_load_dword v1, v[1:2], off
	v_max_f32_e32 v2, v54, v54
	s_waitcnt vmcnt(0)
	v_max_f32_e32 v3, v1, v1
	v_max_f32_e32 v2, v2, v3
	v_sub_f32_e32 v3, v54, v2
	v_sub_f32_e32 v1, v1, v2
	v_mov_b32_e32 v54, v2
	v_mul_f32_e32 v4, 0x3fb8aa3b, v3
	v_mul_f32_e32 v5, 0x3fb8aa3b, v1
	v_cmp_ngt_f32_e32 vcc_lo, 0xc2ce8ed0, v3
	v_fma_f32 v6, 0x3fb8aa3b, v3, -v4
	v_rndne_f32_e32 v7, v4
	v_fma_f32 v8, 0x3fb8aa3b, v1, -v5
	v_rndne_f32_e32 v9, v5
	v_fmac_f32_e32 v6, 0x32a5705f, v3
	v_sub_f32_e32 v4, v4, v7
	v_fmac_f32_e32 v8, 0x32a5705f, v1
	v_sub_f32_e32 v5, v5, v9
	v_add_f32_e32 v4, v4, v6
	v_cvt_i32_f32_e32 v6, v7
	v_add_f32_e32 v5, v5, v8
	v_cvt_i32_f32_e32 v7, v9
	v_exp_f32_e32 v4, v4
	v_exp_f32_e32 v5, v5
	v_ldexp_f32 v4, v4, v6
	v_ldexp_f32 v5, v5, v7
	v_cndmask_b32_e32 v4, 0, v4, vcc_lo
	v_cmp_ngt_f32_e32 vcc_lo, 0xc2ce8ed0, v1
	v_cndmask_b32_e32 v5, 0, v5, vcc_lo
	v_cmp_nlt_f32_e32 vcc_lo, 0x42b17218, v3
	v_cndmask_b32_e32 v3, 0x7f800000, v4, vcc_lo
	v_cmp_nlt_f32_e32 vcc_lo, 0x42b17218, v1
	v_mov_b32_e32 v4, 0x10001
	v_cndmask_b32_e32 v1, 0x7f800000, v5, vcc_lo
	v_cvt_f16_f32_e32 v5, v3
	v_fmac_f32_e32 v1, v55, v3
	v_mul_u32_u24_sdwa v3, v5, v4 dst_sel:DWORD dst_unused:UNUSED_PAD src0_sel:WORD_0 src1_sel:DWORD
	v_mov_b32_e32 v55, v1
	v_pk_mul_f16 v61, v61, v3
	v_pk_mul_f16 v70, v70, v3
.LBB43_40:
	v_add_nc_u32_e32 v1, s15, v57
	s_mov_b32 s1, exec_lo
	v_cmpx_gt_i32_e64 s26, v1
	s_cbranch_execz .LBB43_45
; %bb.41:
	v_mad_u64_u32 v[1:2], null, s33, s26, v[1:2]
	s_load_dword s1, s[4:5], 0xd4
	v_mul_lo_u32 v1, v1, s27
	v_add3_u32 v1, s14, v56, v1
	s_waitcnt lgkmcnt(0)
	s_cmp_lg_u32 s1, 1
	v_mad_u64_u32 v[1:2], null, s1, v1, s[34:35]
	s_cselect_b32 s1, -1, 0
	s_and_saveexec_b32 s2, s0
	s_cbranch_execz .LBB43_43
; %bb.42:
	v_div_scale_f32 v2, null, v55, v55, 1.0
	v_div_scale_f32 v5, vcc_lo, 1.0, v55, 1.0
	v_cvt_f32_f16_sdwa v8, v70 dst_sel:DWORD dst_unused:UNUSED_PAD src0_sel:WORD_1
	v_rcp_f32_e32 v3, v2
	v_cvt_f32_f16_sdwa v10, v61 dst_sel:DWORD dst_unused:UNUSED_PAD src0_sel:WORD_1
	v_cvt_f32_f16_e32 v11, v61
	v_fma_f32 v4, -v2, v3, 1.0
	v_fmac_f32_e32 v3, v4, v3
	v_mul_f32_e32 v4, v5, v3
	v_fma_f32 v6, -v2, v4, v5
	v_fmac_f32_e32 v4, v6, v3
	v_fma_f32 v2, -v2, v4, v5
	v_div_fmas_f32 v2, v2, v3, v4
	v_mul_lo_u32 v4, 0x70, v1
	v_mov_b32_e32 v3, 0
	v_div_fixup_f32 v5, v2, v55, 1.0
	v_lshl_add_u32 v2, v0, 2, v4
	v_cndmask_b32_e64 v9, v5, 1.0, s1
	v_cvt_f32_f16_e32 v4, v70
	v_lshlrev_b64 v[6:7], 2, v[2:3]
	v_mul_f32_e32 v5, v9, v8
	v_mul_f32_e32 v4, v9, v4
	;; [unrolled: 1-line block ×4, first 2 shown]
	v_add_co_u32 v6, vcc_lo, s20, v6
	v_add_co_ci_u32_e64 v7, null, s21, v7, vcc_lo
	global_store_dwordx4 v[6:7], v[2:5], off
.LBB43_43:
	s_or_b32 exec_lo, exec_lo, s2
	v_cmp_eq_u32_e32 vcc_lo, 0, v0
	s_and_b32 s0, vcc_lo, s1
	s_and_b32 exec_lo, exec_lo, s0
	s_cbranch_execz .LBB43_45
; %bb.44:
	v_ashrrev_i32_e32 v2, 31, v1
	v_lshlrev_b64 v[0:1], 3, v[1:2]
	v_add_co_u32 v0, vcc_lo, s22, v0
	v_add_co_ci_u32_e64 v1, null, s23, v1, vcc_lo
	global_store_dwordx2 v[0:1], v[54:55], off
.LBB43_45:
	s_endpgm
	.section	.rodata,"a",@progbits
	.p2align	6, 0x0
	.amdhsa_kernel _ZL15flash_attn_tileILi112ELi112ELi4ELi2ELb0EEvPKcS1_S1_S1_S1_PKiPfP15HIP_vector_typeIfLj2EEffffjfiS5_IjLj3EEiiiiiiiiiiiliiliiiiil
		.amdhsa_group_segment_fixed_size 6464
		.amdhsa_private_segment_fixed_size 0
		.amdhsa_kernarg_size 464
		.amdhsa_user_sgpr_count 6
		.amdhsa_user_sgpr_private_segment_buffer 1
		.amdhsa_user_sgpr_dispatch_ptr 0
		.amdhsa_user_sgpr_queue_ptr 0
		.amdhsa_user_sgpr_kernarg_segment_ptr 1
		.amdhsa_user_sgpr_dispatch_id 0
		.amdhsa_user_sgpr_flat_scratch_init 0
		.amdhsa_user_sgpr_private_segment_size 0
		.amdhsa_wavefront_size32 1
		.amdhsa_uses_dynamic_stack 0
		.amdhsa_system_sgpr_private_segment_wavefront_offset 0
		.amdhsa_system_sgpr_workgroup_id_x 1
		.amdhsa_system_sgpr_workgroup_id_y 1
		.amdhsa_system_sgpr_workgroup_id_z 1
		.amdhsa_system_sgpr_workgroup_info 0
		.amdhsa_system_vgpr_workitem_id 1
		.amdhsa_next_free_vgpr 90
		.amdhsa_next_free_sgpr 44
		.amdhsa_reserve_vcc 1
		.amdhsa_reserve_flat_scratch 0
		.amdhsa_float_round_mode_32 0
		.amdhsa_float_round_mode_16_64 0
		.amdhsa_float_denorm_mode_32 3
		.amdhsa_float_denorm_mode_16_64 3
		.amdhsa_dx10_clamp 1
		.amdhsa_ieee_mode 1
		.amdhsa_fp16_overflow 0
		.amdhsa_workgroup_processor_mode 1
		.amdhsa_memory_ordered 1
		.amdhsa_forward_progress 1
		.amdhsa_shared_vgpr_count 0
		.amdhsa_exception_fp_ieee_invalid_op 0
		.amdhsa_exception_fp_denorm_src 0
		.amdhsa_exception_fp_ieee_div_zero 0
		.amdhsa_exception_fp_ieee_overflow 0
		.amdhsa_exception_fp_ieee_underflow 0
		.amdhsa_exception_fp_ieee_inexact 0
		.amdhsa_exception_int_div_zero 0
	.end_amdhsa_kernel
	.section	.text._ZL15flash_attn_tileILi112ELi112ELi4ELi2ELb0EEvPKcS1_S1_S1_S1_PKiPfP15HIP_vector_typeIfLj2EEffffjfiS5_IjLj3EEiiiiiiiiiiiliiliiiiil,"axG",@progbits,_ZL15flash_attn_tileILi112ELi112ELi4ELi2ELb0EEvPKcS1_S1_S1_S1_PKiPfP15HIP_vector_typeIfLj2EEffffjfiS5_IjLj3EEiiiiiiiiiiiliiliiiiil,comdat
.Lfunc_end43:
	.size	_ZL15flash_attn_tileILi112ELi112ELi4ELi2ELb0EEvPKcS1_S1_S1_S1_PKiPfP15HIP_vector_typeIfLj2EEffffjfiS5_IjLj3EEiiiiiiiiiiiliiliiiiil, .Lfunc_end43-_ZL15flash_attn_tileILi112ELi112ELi4ELi2ELb0EEvPKcS1_S1_S1_S1_PKiPfP15HIP_vector_typeIfLj2EEffffjfiS5_IjLj3EEiiiiiiiiiiiliiliiiiil
                                        ; -- End function
	.set _ZL15flash_attn_tileILi112ELi112ELi4ELi2ELb0EEvPKcS1_S1_S1_S1_PKiPfP15HIP_vector_typeIfLj2EEffffjfiS5_IjLj3EEiiiiiiiiiiiliiliiiiil.num_vgpr, 90
	.set _ZL15flash_attn_tileILi112ELi112ELi4ELi2ELb0EEvPKcS1_S1_S1_S1_PKiPfP15HIP_vector_typeIfLj2EEffffjfiS5_IjLj3EEiiiiiiiiiiiliiliiiiil.num_agpr, 0
	.set _ZL15flash_attn_tileILi112ELi112ELi4ELi2ELb0EEvPKcS1_S1_S1_S1_PKiPfP15HIP_vector_typeIfLj2EEffffjfiS5_IjLj3EEiiiiiiiiiiiliiliiiiil.numbered_sgpr, 44
	.set _ZL15flash_attn_tileILi112ELi112ELi4ELi2ELb0EEvPKcS1_S1_S1_S1_PKiPfP15HIP_vector_typeIfLj2EEffffjfiS5_IjLj3EEiiiiiiiiiiiliiliiiiil.num_named_barrier, 0
	.set _ZL15flash_attn_tileILi112ELi112ELi4ELi2ELb0EEvPKcS1_S1_S1_S1_PKiPfP15HIP_vector_typeIfLj2EEffffjfiS5_IjLj3EEiiiiiiiiiiiliiliiiiil.private_seg_size, 0
	.set _ZL15flash_attn_tileILi112ELi112ELi4ELi2ELb0EEvPKcS1_S1_S1_S1_PKiPfP15HIP_vector_typeIfLj2EEffffjfiS5_IjLj3EEiiiiiiiiiiiliiliiiiil.uses_vcc, 1
	.set _ZL15flash_attn_tileILi112ELi112ELi4ELi2ELb0EEvPKcS1_S1_S1_S1_PKiPfP15HIP_vector_typeIfLj2EEffffjfiS5_IjLj3EEiiiiiiiiiiiliiliiiiil.uses_flat_scratch, 0
	.set _ZL15flash_attn_tileILi112ELi112ELi4ELi2ELb0EEvPKcS1_S1_S1_S1_PKiPfP15HIP_vector_typeIfLj2EEffffjfiS5_IjLj3EEiiiiiiiiiiiliiliiiiil.has_dyn_sized_stack, 0
	.set _ZL15flash_attn_tileILi112ELi112ELi4ELi2ELb0EEvPKcS1_S1_S1_S1_PKiPfP15HIP_vector_typeIfLj2EEffffjfiS5_IjLj3EEiiiiiiiiiiiliiliiiiil.has_recursion, 0
	.set _ZL15flash_attn_tileILi112ELi112ELi4ELi2ELb0EEvPKcS1_S1_S1_S1_PKiPfP15HIP_vector_typeIfLj2EEffffjfiS5_IjLj3EEiiiiiiiiiiiliiliiiiil.has_indirect_call, 0
	.section	.AMDGPU.csdata,"",@progbits
; Kernel info:
; codeLenInByte = 6380
; TotalNumSgprs: 46
; NumVgprs: 90
; ScratchSize: 0
; MemoryBound: 0
; FloatMode: 240
; IeeeMode: 1
; LDSByteSize: 6464 bytes/workgroup (compile time only)
; SGPRBlocks: 0
; VGPRBlocks: 11
; NumSGPRsForWavesPerEU: 46
; NumVGPRsForWavesPerEU: 90
; Occupancy: 10
; WaveLimiterHint : 1
; COMPUTE_PGM_RSRC2:SCRATCH_EN: 0
; COMPUTE_PGM_RSRC2:USER_SGPR: 6
; COMPUTE_PGM_RSRC2:TRAP_HANDLER: 0
; COMPUTE_PGM_RSRC2:TGID_X_EN: 1
; COMPUTE_PGM_RSRC2:TGID_Y_EN: 1
; COMPUTE_PGM_RSRC2:TGID_Z_EN: 1
; COMPUTE_PGM_RSRC2:TIDIG_COMP_CNT: 1
	.section	.text._ZL33flash_attn_stream_k_fixup_uniformILi112ELi4ELi2EEvPfPK15HIP_vector_typeIfLj2EEiiiiiiS1_IjLj3EES5_S5_,"axG",@progbits,_ZL33flash_attn_stream_k_fixup_uniformILi112ELi4ELi2EEvPfPK15HIP_vector_typeIfLj2EEiiiiiiS1_IjLj3EES5_S5_,comdat
	.globl	_ZL33flash_attn_stream_k_fixup_uniformILi112ELi4ELi2EEvPfPK15HIP_vector_typeIfLj2EEiiiiiiS1_IjLj3EES5_S5_ ; -- Begin function _ZL33flash_attn_stream_k_fixup_uniformILi112ELi4ELi2EEvPfPK15HIP_vector_typeIfLj2EEiiiiiiS1_IjLj3EES5_S5_
	.p2align	8
	.type	_ZL33flash_attn_stream_k_fixup_uniformILi112ELi4ELi2EEvPfPK15HIP_vector_typeIfLj2EEiiiiiiS1_IjLj3EES5_S5_,@function
_ZL33flash_attn_stream_k_fixup_uniformILi112ELi4ELi2EEvPfPK15HIP_vector_typeIfLj2EEiiiiiiS1_IjLj3EES5_S5_: ; @_ZL33flash_attn_stream_k_fixup_uniformILi112ELi4ELi2EEvPfPK15HIP_vector_typeIfLj2EEiiiiiiS1_IjLj3EES5_S5_
; %bb.0:
	s_clause 0x2
	s_load_dwordx8 s[12:19], s[4:5], 0x1c
	s_load_dwordx4 s[20:23], s[4:5], 0x3c
	s_load_dwordx2 s[10:11], s[4:5], 0x10
	s_waitcnt lgkmcnt(0)
	s_mul_hi_u32 s0, s15, s6
	s_add_i32 s0, s6, s0
	s_lshr_b32 s0, s0, s16
	s_mul_i32 s1, s0, s17
	s_sub_i32 s1, s6, s1
	s_mul_hi_u32 s2, s1, s18
	s_add_i32 s2, s1, s2
	s_lshr_b32 s9, s2, s19
	s_mul_i32 s2, s9, s20
	s_sub_i32 s1, s1, s2
	s_mul_hi_u32 s2, s1, s21
	s_add_i32 s2, s1, s2
	s_lshr_b32 s2, s2, s22
	s_mul_i32 s3, s2, s23
	s_lshl_b32 s16, s2, 1
	s_sub_i32 s15, s1, s3
	s_lshl_b32 s1, s15, 2
	s_add_i32 s1, s1, s7
	s_cmp_lt_i32 s1, s10
	s_cselect_b32 s1, -1, 0
	s_add_i32 s16, s16, s8
	s_cmp_lt_i32 s16, s13
	s_cselect_b32 s2, -1, 0
	s_and_b32 s1, s1, s2
	s_andn2_b32 vcc_lo, exec_lo, s1
	s_cbranch_vccnz .LBB44_6
; %bb.1:
	s_mul_i32 s10, s0, s10
	s_load_dwordx4 s[0:3], s[4:5], 0x0
	s_add_i32 s4, s10, s7
	s_mul_i32 s9, s9, s13
	s_mul_i32 s4, s4, s11
	s_add_i32 s5, s16, s9
	s_mul_i32 s9, s11, s15
	s_add_i32 s4, s5, s4
	s_mulk_i32 s9, 0x1c0
	s_mulk_i32 s4, 0x70
	s_lshl_b32 s10, s7, 1
	v_add3_u32 v1, s4, s9, v0
	s_mul_i32 s4, s14, s6
	s_add_i32 s11, s4, s14
	v_ashrrev_i32_e32 v2, 31, v1
	v_lshlrev_b64 v[1:2], 2, v[1:2]
	s_waitcnt lgkmcnt(0)
	v_add_co_u32 v1, vcc_lo, s0, v1
	v_add_co_ci_u32_e64 v2, null, s1, v2, vcc_lo
	s_add_i32 s0, s10, s8
	s_lshl_b32 s1, s11, 3
	global_load_dword v5, v[1:2], off
	s_add_i32 s0, s0, s1
	s_add_i32 s0, s0, -8
	s_ashr_i32 s1, s0, 31
	s_lshl_b64 s[0:1], s[0:1], 3
	s_add_u32 s0, s2, s0
	s_addc_u32 s1, s3, s1
	s_add_i32 s5, s11, -2
	s_load_dword s13, s[0:1], 0x4
	s_cmp_lt_i32 s5, s4
	s_cbranch_scc1 .LBB44_4
; %bb.2:
	s_load_dword s15, s[0:1], 0x0
	s_lshl_b32 s16, s12, 5
	s_mulk_i32 s7, 0xe0
	s_ashr_i32 s17, s16, 31
	s_waitcnt lgkmcnt(0)
	v_mov_b32_e32 v6, s13
	s_lshl_b64 s[0:1], s[16:17], 2
	s_add_u32 s5, s2, s0
	s_addc_u32 s9, s3, s1
	s_add_i32 s6, s6, 1
	s_mul_i32 s0, s14, s6
	s_mul_i32 s6, s8, 0x70
	s_lshl_b32 s1, s0, 3
	s_mulk_i32 s0, 0x380
	s_add_i32 s6, s6, s7
	s_add_i32 s1, s8, s1
	s_lshl_b32 s7, s12, 3
	s_add_i32 s6, s6, s0
	s_add_i32 s0, s1, s7
	v_add3_u32 v3, s6, v0, 0xfffff900
	v_mov_b32_e32 v0, s15
	s_add_i32 s0, s0, s10
	s_add_i32 s6, s11, -1
	s_add_i32 s0, s0, -16
.LBB44_3:                               ; =>This Inner Loop Header: Depth=1
	v_ashrrev_i32_e32 v4, 31, v3
	s_ashr_i32 s1, s0, 31
	s_lshl_b64 s[10:11], s[0:1], 3
	s_add_u32 s10, s2, s10
	v_lshlrev_b64 v[7:8], 2, v[3:4]
	s_addc_u32 s11, s3, s11
	v_add_nc_u32_e32 v3, 0xfffffc80, v3
	s_add_i32 s6, s6, -1
	s_add_i32 s0, s0, -8
	s_cmp_le_i32 s6, s4
	v_add_co_u32 v7, vcc_lo, s5, v7
	v_add_co_ci_u32_e64 v8, null, s9, v8, vcc_lo
	s_load_dwordx2 s[10:11], s[10:11], 0x0
	global_load_dword v4, v[7:8], off
	v_max_f32_e32 v7, v0, v0
	s_waitcnt lgkmcnt(0)
	v_max_f32_e64 v8, s10, s10
	v_max_f32_e32 v7, v7, v8
	v_sub_f32_e32 v8, s10, v7
	v_sub_f32_e32 v0, v0, v7
	v_mul_f32_e32 v9, 0x3fb8aa3b, v8
	v_mul_f32_e32 v12, 0x3fb8aa3b, v0
	v_cmp_ngt_f32_e32 vcc_lo, 0xc2ce8ed0, v8
	v_fma_f32 v10, 0x3fb8aa3b, v8, -v9
	v_rndne_f32_e32 v11, v9
	v_fma_f32 v13, 0x3fb8aa3b, v0, -v12
	v_rndne_f32_e32 v14, v12
	v_fmac_f32_e32 v10, 0x32a5705f, v8
	v_sub_f32_e32 v9, v9, v11
	v_fmac_f32_e32 v13, 0x32a5705f, v0
	v_cvt_i32_f32_e32 v11, v11
	v_add_f32_e32 v9, v9, v10
	v_sub_f32_e32 v10, v12, v14
	v_exp_f32_e32 v9, v9
	v_add_f32_e32 v10, v10, v13
	v_exp_f32_e32 v10, v10
	v_ldexp_f32 v9, v9, v11
	v_cvt_i32_f32_e32 v11, v14
	v_cndmask_b32_e32 v9, 0, v9, vcc_lo
	v_cmp_nlt_f32_e32 vcc_lo, 0x42b17218, v8
	v_ldexp_f32 v10, v10, v11
	v_mov_b32_e32 v11, v6
	v_cndmask_b32_e32 v9, 0x7f800000, v9, vcc_lo
	v_cmp_ngt_f32_e32 vcc_lo, 0xc2ce8ed0, v0
	v_cndmask_b32_e32 v10, 0, v10, vcc_lo
	v_cmp_le_f32_e32 vcc_lo, 0xc1a00000, v8
	v_cndmask_b32_e32 v8, 0, v9, vcc_lo
	v_cmp_nlt_f32_e32 vcc_lo, 0x42b17218, v0
	s_waitcnt vmcnt(1)
	v_mov_b32_e32 v9, v5
	v_cndmask_b32_e32 v5, 0x7f800000, v10, vcc_lo
	v_mul_f32_e32 v10, s11, v8
	v_cmp_le_f32_e32 vcc_lo, 0xc1a00000, v0
	v_mov_b32_e32 v0, v7
	v_mov_b32_e32 v6, v10
	v_cndmask_b32_e32 v12, 0, v5, vcc_lo
	v_fmac_f32_e32 v6, v11, v12
	s_waitcnt vmcnt(0)
	v_mul_f32_e32 v5, v4, v8
	v_fmac_f32_e32 v5, v9, v12
	s_cbranch_scc0 .LBB44_3
	s_branch .LBB44_5
.LBB44_4:
	s_waitcnt lgkmcnt(0)
	v_mov_b32_e32 v6, s13
.LBB44_5:
	s_waitcnt vmcnt(0)
	v_div_scale_f32 v0, null, v6, v6, v5
	v_rcp_f32_e32 v3, v0
	v_fma_f32 v4, -v0, v3, 1.0
	v_fmac_f32_e32 v3, v4, v3
	v_div_scale_f32 v4, vcc_lo, v5, v6, v5
	v_mul_f32_e32 v7, v4, v3
	v_fma_f32 v8, -v0, v7, v4
	v_fmac_f32_e32 v7, v8, v3
	v_fma_f32 v0, -v0, v7, v4
	v_div_fmas_f32 v0, v0, v3, v7
	v_div_fixup_f32 v0, v0, v6, v5
	global_store_dword v[1:2], v0, off
.LBB44_6:
	s_endpgm
	.section	.rodata,"a",@progbits
	.p2align	6, 0x0
	.amdhsa_kernel _ZL33flash_attn_stream_k_fixup_uniformILi112ELi4ELi2EEvPfPK15HIP_vector_typeIfLj2EEiiiiiiS1_IjLj3EES5_S5_
		.amdhsa_group_segment_fixed_size 0
		.amdhsa_private_segment_fixed_size 0
		.amdhsa_kernarg_size 76
		.amdhsa_user_sgpr_count 6
		.amdhsa_user_sgpr_private_segment_buffer 1
		.amdhsa_user_sgpr_dispatch_ptr 0
		.amdhsa_user_sgpr_queue_ptr 0
		.amdhsa_user_sgpr_kernarg_segment_ptr 1
		.amdhsa_user_sgpr_dispatch_id 0
		.amdhsa_user_sgpr_flat_scratch_init 0
		.amdhsa_user_sgpr_private_segment_size 0
		.amdhsa_wavefront_size32 1
		.amdhsa_uses_dynamic_stack 0
		.amdhsa_system_sgpr_private_segment_wavefront_offset 0
		.amdhsa_system_sgpr_workgroup_id_x 1
		.amdhsa_system_sgpr_workgroup_id_y 1
		.amdhsa_system_sgpr_workgroup_id_z 1
		.amdhsa_system_sgpr_workgroup_info 0
		.amdhsa_system_vgpr_workitem_id 0
		.amdhsa_next_free_vgpr 15
		.amdhsa_next_free_sgpr 24
		.amdhsa_reserve_vcc 1
		.amdhsa_reserve_flat_scratch 0
		.amdhsa_float_round_mode_32 0
		.amdhsa_float_round_mode_16_64 0
		.amdhsa_float_denorm_mode_32 3
		.amdhsa_float_denorm_mode_16_64 3
		.amdhsa_dx10_clamp 1
		.amdhsa_ieee_mode 1
		.amdhsa_fp16_overflow 0
		.amdhsa_workgroup_processor_mode 1
		.amdhsa_memory_ordered 1
		.amdhsa_forward_progress 1
		.amdhsa_shared_vgpr_count 0
		.amdhsa_exception_fp_ieee_invalid_op 0
		.amdhsa_exception_fp_denorm_src 0
		.amdhsa_exception_fp_ieee_div_zero 0
		.amdhsa_exception_fp_ieee_overflow 0
		.amdhsa_exception_fp_ieee_underflow 0
		.amdhsa_exception_fp_ieee_inexact 0
		.amdhsa_exception_int_div_zero 0
	.end_amdhsa_kernel
	.section	.text._ZL33flash_attn_stream_k_fixup_uniformILi112ELi4ELi2EEvPfPK15HIP_vector_typeIfLj2EEiiiiiiS1_IjLj3EES5_S5_,"axG",@progbits,_ZL33flash_attn_stream_k_fixup_uniformILi112ELi4ELi2EEvPfPK15HIP_vector_typeIfLj2EEiiiiiiS1_IjLj3EES5_S5_,comdat
.Lfunc_end44:
	.size	_ZL33flash_attn_stream_k_fixup_uniformILi112ELi4ELi2EEvPfPK15HIP_vector_typeIfLj2EEiiiiiiS1_IjLj3EES5_S5_, .Lfunc_end44-_ZL33flash_attn_stream_k_fixup_uniformILi112ELi4ELi2EEvPfPK15HIP_vector_typeIfLj2EEiiiiiiS1_IjLj3EES5_S5_
                                        ; -- End function
	.set _ZL33flash_attn_stream_k_fixup_uniformILi112ELi4ELi2EEvPfPK15HIP_vector_typeIfLj2EEiiiiiiS1_IjLj3EES5_S5_.num_vgpr, 15
	.set _ZL33flash_attn_stream_k_fixup_uniformILi112ELi4ELi2EEvPfPK15HIP_vector_typeIfLj2EEiiiiiiS1_IjLj3EES5_S5_.num_agpr, 0
	.set _ZL33flash_attn_stream_k_fixup_uniformILi112ELi4ELi2EEvPfPK15HIP_vector_typeIfLj2EEiiiiiiS1_IjLj3EES5_S5_.numbered_sgpr, 24
	.set _ZL33flash_attn_stream_k_fixup_uniformILi112ELi4ELi2EEvPfPK15HIP_vector_typeIfLj2EEiiiiiiS1_IjLj3EES5_S5_.num_named_barrier, 0
	.set _ZL33flash_attn_stream_k_fixup_uniformILi112ELi4ELi2EEvPfPK15HIP_vector_typeIfLj2EEiiiiiiS1_IjLj3EES5_S5_.private_seg_size, 0
	.set _ZL33flash_attn_stream_k_fixup_uniformILi112ELi4ELi2EEvPfPK15HIP_vector_typeIfLj2EEiiiiiiS1_IjLj3EES5_S5_.uses_vcc, 1
	.set _ZL33flash_attn_stream_k_fixup_uniformILi112ELi4ELi2EEvPfPK15HIP_vector_typeIfLj2EEiiiiiiS1_IjLj3EES5_S5_.uses_flat_scratch, 0
	.set _ZL33flash_attn_stream_k_fixup_uniformILi112ELi4ELi2EEvPfPK15HIP_vector_typeIfLj2EEiiiiiiS1_IjLj3EES5_S5_.has_dyn_sized_stack, 0
	.set _ZL33flash_attn_stream_k_fixup_uniformILi112ELi4ELi2EEvPfPK15HIP_vector_typeIfLj2EEiiiiiiS1_IjLj3EES5_S5_.has_recursion, 0
	.set _ZL33flash_attn_stream_k_fixup_uniformILi112ELi4ELi2EEvPfPK15HIP_vector_typeIfLj2EEiiiiiiS1_IjLj3EES5_S5_.has_indirect_call, 0
	.section	.AMDGPU.csdata,"",@progbits
; Kernel info:
; codeLenInByte = 848
; TotalNumSgprs: 26
; NumVgprs: 15
; ScratchSize: 0
; MemoryBound: 0
; FloatMode: 240
; IeeeMode: 1
; LDSByteSize: 0 bytes/workgroup (compile time only)
; SGPRBlocks: 0
; VGPRBlocks: 1
; NumSGPRsForWavesPerEU: 26
; NumVGPRsForWavesPerEU: 15
; Occupancy: 16
; WaveLimiterHint : 0
; COMPUTE_PGM_RSRC2:SCRATCH_EN: 0
; COMPUTE_PGM_RSRC2:USER_SGPR: 6
; COMPUTE_PGM_RSRC2:TRAP_HANDLER: 0
; COMPUTE_PGM_RSRC2:TGID_X_EN: 1
; COMPUTE_PGM_RSRC2:TGID_Y_EN: 1
; COMPUTE_PGM_RSRC2:TGID_Z_EN: 1
; COMPUTE_PGM_RSRC2:TIDIG_COMP_CNT: 0
	.section	.text._ZL33flash_attn_stream_k_fixup_generalILi112ELi4ELi2EEvPfPK15HIP_vector_typeIfLj2EEiiiiS1_IjLj3EES5_S5_S5_,"axG",@progbits,_ZL33flash_attn_stream_k_fixup_generalILi112ELi4ELi2EEvPfPK15HIP_vector_typeIfLj2EEiiiiS1_IjLj3EES5_S5_S5_,comdat
	.globl	_ZL33flash_attn_stream_k_fixup_generalILi112ELi4ELi2EEvPfPK15HIP_vector_typeIfLj2EEiiiiS1_IjLj3EES5_S5_S5_ ; -- Begin function _ZL33flash_attn_stream_k_fixup_generalILi112ELi4ELi2EEvPfPK15HIP_vector_typeIfLj2EEiiiiS1_IjLj3EES5_S5_S5_
	.p2align	8
	.type	_ZL33flash_attn_stream_k_fixup_generalILi112ELi4ELi2EEvPfPK15HIP_vector_typeIfLj2EEiiiiS1_IjLj3EES5_S5_S5_,@function
_ZL33flash_attn_stream_k_fixup_generalILi112ELi4ELi2EEvPfPK15HIP_vector_typeIfLj2EEiiiiS1_IjLj3EES5_S5_S5_: ; @_ZL33flash_attn_stream_k_fixup_generalILi112ELi4ELi2EEvPfPK15HIP_vector_typeIfLj2EEiiiiS1_IjLj3EES5_S5_S5_
; %bb.0:
	s_clause 0x1
	s_load_dwordx4 s[0:3], s[4:5], 0x10
	s_load_dword s9, s[4:5], 0x50
	s_mov_b32 s16, 0
	s_waitcnt lgkmcnt(0)
	s_mul_hi_i32 s17, s3, s6
	s_mul_i32 s18, s3, s6
	s_cmp_lg_u64 s[16:17], 0
	s_cbranch_scc0 .LBB45_21
; %bb.1:
	s_add_u32 s10, s9, 0
	s_addc_u32 s11, 0, 0
	s_xor_b64 s[10:11], s[10:11], 0
	v_cvt_f32_u32_e32 v1, s10
	v_cvt_f32_u32_e32 v2, s11
	s_sub_u32 s14, 0, s10
	s_subb_u32 s15, 0, s11
	v_fmamk_f32 v1, v2, 0x4f800000, v1
	v_rcp_f32_e32 v1, v1
	v_mul_f32_e32 v1, 0x5f7ffffc, v1
	v_mul_f32_e32 v2, 0x2f800000, v1
	v_trunc_f32_e32 v2, v2
	v_fmamk_f32 v1, v2, 0xcf800000, v1
	v_cvt_u32_f32_e32 v2, v2
	v_cvt_u32_f32_e32 v1, v1
	v_readfirstlane_b32 s12, v2
	v_readfirstlane_b32 s13, v1
	s_mul_i32 s19, s14, s12
	s_mul_hi_u32 s21, s14, s13
	s_mul_i32 s20, s15, s13
	s_add_i32 s19, s21, s19
	s_mul_i32 s22, s14, s13
	s_add_i32 s19, s19, s20
	s_mul_hi_u32 s21, s13, s22
	s_mul_i32 s24, s13, s19
	s_mul_hi_u32 s23, s12, s22
	s_mul_i32 s20, s12, s22
	s_mul_hi_u32 s22, s13, s19
	s_add_u32 s21, s21, s24
	s_addc_u32 s22, 0, s22
	s_mul_hi_u32 s25, s12, s19
	s_add_u32 s20, s21, s20
	s_mul_i32 s19, s12, s19
	s_addc_u32 s20, s22, s23
	s_addc_u32 s21, s25, 0
	s_add_u32 s19, s20, s19
	s_addc_u32 s20, 0, s21
	s_add_u32 s13, s13, s19
	s_cselect_b32 s19, -1, 0
	s_mul_hi_u32 s21, s14, s13
	s_cmp_lg_u32 s19, 0
	s_mul_i32 s19, s14, s13
	s_addc_u32 s12, s12, s20
	s_mul_i32 s15, s15, s13
	s_mul_i32 s14, s14, s12
	s_mul_hi_u32 s20, s13, s19
	s_add_i32 s14, s21, s14
	s_mul_hi_u32 s21, s12, s19
	s_add_i32 s14, s14, s15
	s_mul_i32 s15, s12, s19
	s_mul_i32 s23, s13, s14
	s_mul_hi_u32 s22, s13, s14
	s_add_u32 s20, s20, s23
	s_addc_u32 s22, 0, s22
	s_mul_hi_u32 s19, s12, s14
	s_add_u32 s15, s20, s15
	s_mul_i32 s14, s12, s14
	s_addc_u32 s15, s22, s21
	s_addc_u32 s19, s19, 0
	s_add_u32 s14, s15, s14
	s_addc_u32 s15, 0, s19
	s_add_u32 s19, s13, s14
	s_cselect_b32 s13, -1, 0
	s_cmp_lg_u32 s13, 0
	s_addc_u32 s20, s12, s15
	s_ashr_i32 s12, s17, 31
	s_add_u32 s14, s18, s12
	s_mov_b32 s13, s12
	s_addc_u32 s15, s17, s12
	s_xor_b64 s[14:15], s[14:15], s[12:13]
	s_mul_i32 s21, s14, s20
	s_mul_hi_u32 s22, s14, s19
	s_mul_hi_u32 s17, s14, s20
	;; [unrolled: 1-line block ×3, first 2 shown]
	s_mul_i32 s19, s15, s19
	s_add_u32 s21, s22, s21
	s_addc_u32 s17, 0, s17
	s_mul_hi_u32 s23, s15, s20
	s_add_u32 s19, s21, s19
	s_mul_i32 s20, s15, s20
	s_addc_u32 s17, s17, s24
	s_addc_u32 s19, s23, 0
	s_add_u32 s17, s17, s20
	s_addc_u32 s19, 0, s19
	s_mul_hi_u32 s20, s10, s17
	s_mul_i32 s21, s10, s19
	s_mul_i32 s22, s11, s17
	s_add_i32 s20, s20, s21
	s_mul_i32 s21, s10, s17
	s_add_i32 s20, s20, s22
	s_sub_i32 s22, s15, s20
	s_sub_u32 s14, s14, s21
	s_cselect_b32 s21, -1, 0
	s_cmp_lg_u32 s21, 0
	s_subb_u32 s22, s22, s11
	s_sub_u32 s23, s14, s10
	s_cselect_b32 s24, -1, 0
	s_cmp_lg_u32 s24, 0
	s_subb_u32 s22, s22, 0
	s_cmp_ge_u32 s22, s11
	s_cselect_b32 s24, -1, 0
	s_cmp_ge_u32 s23, s10
	s_cselect_b32 s23, -1, 0
	s_cmp_eq_u32 s22, s11
	s_cselect_b32 s22, s23, s24
	s_add_u32 s23, s17, 1
	s_addc_u32 s24, s19, 0
	s_add_u32 s25, s17, 2
	s_addc_u32 s26, s19, 0
	s_cmp_lg_u32 s22, 0
	s_cselect_b32 s22, s25, s23
	s_cselect_b32 s23, s26, s24
	s_cmp_lg_u32 s21, 0
	s_subb_u32 s15, s15, s20
	s_cmp_ge_u32 s15, s11
	s_cselect_b32 s20, -1, 0
	s_cmp_ge_u32 s14, s10
	s_cselect_b32 s10, -1, 0
	s_cmp_eq_u32 s15, s11
	s_cselect_b32 s10, s10, s20
	s_cmp_lg_u32 s10, 0
	s_cselect_b32 s11, s23, s19
	s_cselect_b32 s10, s22, s17
	s_xor_b64 s[12:13], s[12:13], 0
	s_xor_b64 s[10:11], s[10:11], s[12:13]
	s_sub_u32 s10, s10, s12
	s_load_dwordx4 s[12:15], s[4:5], 0x44
	s_andn2_b32 vcc_lo, exec_lo, s16
	s_cbranch_vccnz .LBB45_3
.LBB45_2:
	v_cvt_f32_u32_e32 v1, s9
	s_sub_i32 s11, 0, s9
	v_rcp_iflag_f32_e32 v1, v1
	v_mul_f32_e32 v1, 0x4f7ffffe, v1
	v_cvt_u32_f32_e32 v1, v1
	v_readfirstlane_b32 s10, v1
	s_mul_i32 s11, s11, s10
	s_mul_hi_u32 s11, s10, s11
	s_add_i32 s10, s10, s11
	s_mul_hi_u32 s10, s18, s10
	s_mul_i32 s11, s10, s9
	s_waitcnt lgkmcnt(0)
	s_add_i32 s15, s10, 1
	s_sub_i32 s11, s18, s11
	s_sub_i32 s16, s11, s9
	s_cmp_ge_u32 s11, s9
	s_cselect_b32 s10, s15, s10
	s_cselect_b32 s11, s16, s11
	s_add_i32 s15, s10, 1
	s_cmp_ge_u32 s11, s9
	s_cselect_b32 s10, s15, s10
.LBB45_3:
	s_add_i32 s11, s6, 1
	s_mov_b32 s16, 0
	s_mul_hi_i32 s17, s3, s11
	s_mul_i32 s11, s3, s11
	s_cmp_lg_u64 s[16:17], 0
	s_cbranch_scc0 .LBB45_22
; %bb.4:
	s_add_u32 s18, s9, 0
	s_addc_u32 s19, 0, 0
	s_xor_b64 s[18:19], s[18:19], 0
	v_cvt_f32_u32_e32 v1, s18
	v_cvt_f32_u32_e32 v2, s19
	s_sub_u32 s21, 0, s18
	s_subb_u32 s22, 0, s19
	v_fmamk_f32 v1, v2, 0x4f800000, v1
	v_rcp_f32_e32 v1, v1
	v_mul_f32_e32 v1, 0x5f7ffffc, v1
	v_mul_f32_e32 v2, 0x2f800000, v1
	v_trunc_f32_e32 v2, v2
	v_fmamk_f32 v1, v2, 0xcf800000, v1
	v_cvt_u32_f32_e32 v2, v2
	v_cvt_u32_f32_e32 v1, v1
	s_waitcnt lgkmcnt(0)
	v_readfirstlane_b32 s15, v2
	v_readfirstlane_b32 s20, v1
	s_mul_i32 s23, s21, s15
	s_mul_hi_u32 s25, s21, s20
	s_mul_i32 s24, s22, s20
	s_add_i32 s23, s25, s23
	s_mul_i32 s26, s21, s20
	s_add_i32 s23, s23, s24
	s_mul_hi_u32 s25, s20, s26
	s_mul_i32 s28, s20, s23
	s_mul_hi_u32 s27, s15, s26
	s_mul_i32 s24, s15, s26
	s_mul_hi_u32 s26, s20, s23
	s_add_u32 s25, s25, s28
	s_addc_u32 s26, 0, s26
	s_mul_hi_u32 s29, s15, s23
	s_add_u32 s24, s25, s24
	s_mul_i32 s23, s15, s23
	s_addc_u32 s24, s26, s27
	s_addc_u32 s25, s29, 0
	s_add_u32 s23, s24, s23
	s_addc_u32 s24, 0, s25
	s_add_u32 s20, s20, s23
	s_cselect_b32 s23, -1, 0
	s_mul_hi_u32 s25, s21, s20
	s_cmp_lg_u32 s23, 0
	s_mul_i32 s23, s21, s20
	s_addc_u32 s15, s15, s24
	s_mul_i32 s22, s22, s20
	s_mul_i32 s21, s21, s15
	s_mul_hi_u32 s24, s20, s23
	s_add_i32 s21, s25, s21
	s_mul_hi_u32 s25, s15, s23
	s_add_i32 s21, s21, s22
	s_mul_i32 s22, s15, s23
	s_mul_i32 s27, s20, s21
	s_mul_hi_u32 s26, s20, s21
	s_add_u32 s24, s24, s27
	s_addc_u32 s26, 0, s26
	s_mul_hi_u32 s23, s15, s21
	s_add_u32 s22, s24, s22
	s_mul_i32 s21, s15, s21
	s_addc_u32 s22, s26, s25
	s_addc_u32 s23, s23, 0
	s_add_u32 s21, s22, s21
	s_addc_u32 s22, 0, s23
	s_add_u32 s24, s20, s21
	s_cselect_b32 s20, -1, 0
	s_cmp_lg_u32 s20, 0
	s_addc_u32 s15, s15, s22
	s_ashr_i32 s20, s17, 31
	s_add_u32 s22, s11, s20
	s_mov_b32 s21, s20
	s_addc_u32 s23, s17, s20
	s_xor_b64 s[22:23], s[22:23], s[20:21]
	s_mul_i32 s25, s22, s15
	s_mul_hi_u32 s26, s22, s24
	s_mul_hi_u32 s17, s22, s15
	s_mul_hi_u32 s28, s23, s24
	s_mul_i32 s24, s23, s24
	s_add_u32 s25, s26, s25
	s_addc_u32 s17, 0, s17
	s_mul_hi_u32 s27, s23, s15
	s_add_u32 s24, s25, s24
	s_mul_i32 s15, s23, s15
	s_addc_u32 s17, s17, s28
	s_addc_u32 s24, s27, 0
	s_add_u32 s15, s17, s15
	s_addc_u32 s17, 0, s24
	s_mul_hi_u32 s24, s18, s15
	s_mul_i32 s25, s18, s17
	s_mul_i32 s26, s19, s15
	s_add_i32 s24, s24, s25
	s_mul_i32 s25, s18, s15
	s_add_i32 s24, s24, s26
	s_sub_i32 s26, s23, s24
	s_sub_u32 s22, s22, s25
	s_cselect_b32 s25, -1, 0
	s_cmp_lg_u32 s25, 0
	s_subb_u32 s26, s26, s19
	s_sub_u32 s27, s22, s18
	s_cselect_b32 s28, -1, 0
	s_cmp_lg_u32 s28, 0
	s_subb_u32 s26, s26, 0
	s_cmp_ge_u32 s26, s19
	s_cselect_b32 s28, -1, 0
	s_cmp_ge_u32 s27, s18
	s_cselect_b32 s27, -1, 0
	s_cmp_eq_u32 s26, s19
	s_cselect_b32 s26, s27, s28
	s_add_u32 s27, s15, 1
	s_addc_u32 s28, s17, 0
	s_add_u32 s29, s15, 2
	s_addc_u32 s30, s17, 0
	s_cmp_lg_u32 s26, 0
	s_cselect_b32 s26, s29, s27
	s_cselect_b32 s27, s30, s28
	s_cmp_lg_u32 s25, 0
	s_subb_u32 s23, s23, s24
	s_cmp_ge_u32 s23, s19
	s_cselect_b32 s24, -1, 0
	s_cmp_ge_u32 s22, s18
	s_cselect_b32 s18, -1, 0
	s_cmp_eq_u32 s23, s19
	s_cselect_b32 s18, s18, s24
	s_cmp_lg_u32 s18, 0
	s_cselect_b32 s19, s27, s17
	s_cselect_b32 s18, s26, s15
	s_xor_b64 s[20:21], s[20:21], 0
	s_xor_b64 s[18:19], s[18:19], s[20:21]
	s_sub_u32 s18, s18, s20
	s_andn2_b32 vcc_lo, exec_lo, s16
	s_cbranch_vccnz .LBB45_6
.LBB45_5:
	v_cvt_f32_u32_e32 v1, s9
	s_sub_i32 s16, 0, s9
	v_rcp_iflag_f32_e32 v1, v1
	v_mul_f32_e32 v1, 0x4f7ffffe, v1
	v_cvt_u32_f32_e32 v1, v1
	s_waitcnt lgkmcnt(0)
	v_readfirstlane_b32 s15, v1
	s_mul_i32 s16, s16, s15
	s_mul_hi_u32 s16, s15, s16
	s_add_i32 s15, s15, s16
	s_mul_hi_u32 s15, s11, s15
	s_mul_i32 s16, s15, s9
	s_sub_i32 s11, s11, s16
	s_add_i32 s16, s15, 1
	s_sub_i32 s17, s11, s9
	s_cmp_ge_u32 s11, s9
	s_cselect_b32 s15, s16, s15
	s_cselect_b32 s11, s17, s11
	s_add_i32 s16, s15, 1
	s_cmp_ge_u32 s11, s9
	s_cselect_b32 s18, s16, s15
.LBB45_6:
	s_cmp_eq_u32 s10, s18
	s_waitcnt lgkmcnt(0)
	s_mul_hi_u32 s11, s10, s12
	s_cselect_b32 s15, -1, 0
	s_add_i32 s11, s11, s10
	s_lshr_b32 s11, s11, s13
	s_mul_i32 s16, s11, s14
	s_cmp_eq_u32 s16, s10
	s_mul_hi_u32 s16, s18, s12
	s_cselect_b32 s17, -1, 0
	s_add_i32 s16, s16, s18
	s_lshr_b32 s16, s16, s13
	s_cmp_eq_u32 s11, s16
	s_mul_i32 s16, s16, s14
	s_cselect_b32 s19, -1, 0
	s_cmp_lg_u32 s16, s18
	s_cselect_b32 s16, -1, 0
	s_or_b32 s15, s15, s17
	s_and_b32 s16, s19, s16
	s_or_b32 s15, s15, s16
	s_and_b32 vcc_lo, exec_lo, s15
	s_cbranch_vccnz .LBB45_24
; %bb.7:
	s_clause 0x1
	s_load_dwordx8 s[20:27], s[4:5], 0x20
	s_load_dword s16, s[4:5], 0x40
	s_waitcnt lgkmcnt(0)
	s_mul_hi_u32 s15, s10, s20
	s_add_i32 s15, s15, s10
	s_lshr_b32 s15, s15, s21
	s_mul_i32 s17, s15, s22
	s_sub_i32 s17, s10, s17
	s_mul_hi_u32 s18, s17, s23
	s_add_i32 s18, s17, s18
	s_lshr_b32 s21, s18, s24
	s_mul_i32 s18, s21, s25
	s_sub_i32 s17, s17, s18
	s_mul_hi_u32 s18, s17, s26
	s_add_i32 s18, s17, s18
	s_lshr_b32 s18, s18, s27
	s_mul_i32 s16, s18, s16
	s_lshl_b32 s22, s18, 1
	s_sub_i32 s16, s17, s16
	s_mul_hi_u32 s17, s16, s12
	s_add_i32 s16, s16, s17
	s_lshr_b32 s20, s16, s13
	s_lshl_b32 s16, s20, 2
	s_add_i32 s16, s16, s7
	s_cmp_lt_i32 s16, s0
	s_cselect_b32 s16, -1, 0
	s_add_i32 s22, s22, s8
	s_cmp_lt_i32 s22, s2
	s_cselect_b32 s17, -1, 0
	s_and_b32 s16, s16, s17
	s_andn2_b32 vcc_lo, exec_lo, s16
	s_cbranch_vccnz .LBB45_24
; %bb.8:
	s_load_dwordx4 s[16:19], s[4:5], 0x0
	s_mov_b32 s4, 0
	s_lshl_b32 s24, s9, 5
	s_mov_b32 s25, s4
	s_lshl_b32 s5, s7, 1
	s_lshl_b64 s[24:25], s[24:25], 2
	s_mul_i32 s21, s21, s2
	s_mul_i32 s0, s15, s0
	s_add_i32 s2, s5, s8
	v_cvt_f32_u32_e32 v3, s9
	v_rcp_iflag_f32_e32 v3, v3
	s_waitcnt lgkmcnt(0)
	s_add_u32 s8, s18, s24
	s_addc_u32 s15, s19, s25
	s_add_i32 s0, s0, s7
	s_add_i32 s5, s22, s21
	s_mul_i32 s0, s0, s1
	s_mul_i32 s1, s1, s20
	s_add_i32 s0, s5, s0
	s_mulk_i32 s1, 0x1c0
	s_mulk_i32 s0, 0x70
	v_mul_f32_e32 v7, 0x4f7ffffe, v3
	v_add3_u32 v1, s1, s0, v0
	s_lshl_b32 s0, s6, 3
	s_add_i32 s0, s2, s0
	v_ashrrev_i32_e32 v2, 31, v1
	s_ashr_i32 s1, s0, 31
	s_lshl_b64 s[0:1], s[0:1], 3
	v_lshlrev_b64 v[1:2], 2, v[1:2]
	s_add_u32 s0, s18, s0
	s_addc_u32 s1, s19, s1
	s_load_dwordx2 s[0:1], s[0:1], 0x0
	v_add_co_u32 v1, vcc_lo, s16, v1
	v_add_co_ci_u32_e64 v2, null, s17, v2, vcc_lo
	s_add_i32 s17, s6, -1
	v_mad_u64_u32 v[3:4], null, 0x70, s2, v[0:1]
	global_load_dword v5, v[1:2], off
	v_cvt_u32_f32_e32 v0, v7
	s_sub_i32 s16, 0, s9
	s_waitcnt lgkmcnt(0)
	v_mov_b32_e32 v4, s1
	v_mov_b32_e32 v6, s0
.LBB45_9:                               ; =>This Inner Loop Header: Depth=1
	s_mul_hi_i32 s5, s17, s3
	s_mul_i32 s6, s17, s3
	s_cmp_lg_u64 s[4:5], 0
	s_mov_b32 s7, -1
                                        ; implicit-def: $sgpr0_sgpr1
	s_cbranch_scc0 .LBB45_11
; %bb.10:                               ;   in Loop: Header=BB45_9 Depth=1
	s_add_u32 s0, s9, 0
	s_addc_u32 s1, 0, 0
	s_xor_b64 s[0:1], s[0:1], 0
	v_cvt_f32_u32_e32 v7, s0
	v_cvt_f32_u32_e32 v8, s1
	s_sub_u32 s21, 0, s0
	s_subb_u32 s22, 0, s1
	v_fmac_f32_e32 v7, 0x4f800000, v8
	v_rcp_f32_e32 v7, v7
	v_mul_f32_e32 v7, 0x5f7ffffc, v7
	v_mul_f32_e32 v8, 0x2f800000, v7
	v_trunc_f32_e32 v8, v8
	v_fmac_f32_e32 v7, 0xcf800000, v8
	v_cvt_u32_f32_e32 v8, v8
	v_cvt_u32_f32_e32 v7, v7
	v_readfirstlane_b32 s7, v8
	v_readfirstlane_b32 s20, v7
	s_mul_i32 s23, s21, s7
	s_mul_hi_u32 s25, s21, s20
	s_mul_i32 s24, s22, s20
	s_add_i32 s23, s25, s23
	s_mul_i32 s26, s21, s20
	s_add_i32 s23, s23, s24
	s_mul_hi_u32 s25, s20, s26
	s_mul_i32 s28, s20, s23
	s_mul_hi_u32 s27, s7, s26
	s_mul_i32 s24, s7, s26
	s_mul_hi_u32 s26, s20, s23
	s_add_u32 s25, s25, s28
	s_addc_u32 s26, 0, s26
	s_mul_hi_u32 s29, s7, s23
	s_add_u32 s24, s25, s24
	s_mul_i32 s23, s7, s23
	s_addc_u32 s24, s26, s27
	s_addc_u32 s25, s29, 0
	s_add_u32 s23, s24, s23
	s_addc_u32 s24, 0, s25
	s_add_u32 s20, s20, s23
	s_cselect_b32 s23, -1, 0
	s_mul_hi_u32 s25, s21, s20
	s_cmp_lg_u32 s23, 0
	s_mul_i32 s23, s21, s20
	s_addc_u32 s7, s7, s24
	s_mul_i32 s22, s22, s20
	s_mul_i32 s21, s21, s7
	s_mul_hi_u32 s24, s20, s23
	s_add_i32 s21, s25, s21
	s_mul_hi_u32 s25, s7, s23
	s_add_i32 s21, s21, s22
	s_mul_i32 s22, s7, s23
	s_mul_i32 s27, s20, s21
	s_mul_hi_u32 s26, s20, s21
	s_add_u32 s24, s24, s27
	s_addc_u32 s26, 0, s26
	s_mul_hi_u32 s23, s7, s21
	s_add_u32 s22, s24, s22
	s_mul_i32 s21, s7, s21
	s_addc_u32 s22, s26, s25
	s_addc_u32 s23, s23, 0
	s_add_u32 s21, s22, s21
	s_addc_u32 s22, 0, s23
	s_add_u32 s24, s20, s21
	s_cselect_b32 s20, -1, 0
	s_cmp_lg_u32 s20, 0
	s_addc_u32 s7, s7, s22
	s_ashr_i32 s20, s5, 31
	s_add_u32 s22, s6, s20
	s_mov_b32 s21, s20
	s_addc_u32 s23, s5, s20
	s_xor_b64 s[22:23], s[22:23], s[20:21]
	s_mul_i32 s25, s22, s7
	s_mul_hi_u32 s26, s22, s24
	s_mul_hi_u32 s5, s22, s7
	;; [unrolled: 1-line block ×3, first 2 shown]
	s_mul_i32 s24, s23, s24
	s_add_u32 s25, s26, s25
	s_addc_u32 s5, 0, s5
	s_mul_hi_u32 s27, s23, s7
	s_add_u32 s24, s25, s24
	s_mul_i32 s7, s23, s7
	s_addc_u32 s5, s5, s28
	s_addc_u32 s24, s27, 0
	s_add_u32 s5, s5, s7
	s_addc_u32 s7, 0, s24
	s_mul_hi_u32 s24, s0, s5
	s_mul_i32 s25, s0, s7
	s_mul_i32 s26, s1, s5
	s_add_i32 s24, s24, s25
	s_mul_i32 s25, s0, s5
	s_add_i32 s24, s24, s26
	s_sub_i32 s26, s23, s24
	s_sub_u32 s22, s22, s25
	s_cselect_b32 s25, -1, 0
	s_cmp_lg_u32 s25, 0
	s_subb_u32 s26, s26, s1
	s_sub_u32 s27, s22, s0
	s_cselect_b32 s28, -1, 0
	s_cmp_lg_u32 s28, 0
	s_subb_u32 s26, s26, 0
	s_cmp_ge_u32 s26, s1
	s_cselect_b32 s28, -1, 0
	s_cmp_ge_u32 s27, s0
	s_cselect_b32 s27, -1, 0
	s_cmp_eq_u32 s26, s1
	s_cselect_b32 s26, s27, s28
	s_add_u32 s27, s5, 1
	s_addc_u32 s28, s7, 0
	s_add_u32 s29, s5, 2
	s_addc_u32 s30, s7, 0
	s_cmp_lg_u32 s26, 0
	s_cselect_b32 s26, s29, s27
	s_cselect_b32 s27, s30, s28
	s_cmp_lg_u32 s25, 0
	s_subb_u32 s23, s23, s24
	s_cmp_ge_u32 s23, s1
	s_cselect_b32 s24, -1, 0
	s_cmp_ge_u32 s22, s0
	s_cselect_b32 s0, -1, 0
	s_cmp_eq_u32 s23, s1
	s_cselect_b32 s0, s0, s24
	s_cmp_lg_u32 s0, 0
	s_cselect_b32 s1, s27, s7
	s_cselect_b32 s0, s26, s5
	s_xor_b64 s[20:21], s[20:21], 0
	s_mov_b32 s7, 0
	s_xor_b64 s[0:1], s[0:1], s[20:21]
	s_sub_u32 s0, s0, s20
.LBB45_11:                              ;   in Loop: Header=BB45_9 Depth=1
	s_andn2_b32 vcc_lo, exec_lo, s7
	s_cbranch_vccnz .LBB45_13
; %bb.12:                               ;   in Loop: Header=BB45_9 Depth=1
	v_readfirstlane_b32 s0, v0
	s_mul_i32 s1, s16, s0
	s_mul_hi_u32 s1, s0, s1
	s_add_i32 s0, s0, s1
	s_mul_hi_u32 s0, s6, s0
	s_mul_i32 s1, s0, s9
	s_add_i32 s5, s0, 1
	s_sub_i32 s1, s6, s1
	s_sub_i32 s6, s1, s9
	s_cmp_ge_u32 s1, s9
	s_cselect_b32 s0, s5, s0
	s_cselect_b32 s1, s6, s1
	s_add_i32 s5, s0, 1
	s_cmp_ge_u32 s1, s9
	s_cselect_b32 s0, s5, s0
.LBB45_13:                              ;   in Loop: Header=BB45_9 Depth=1
	s_cmp_lg_u32 s10, s0
	s_mov_b32 s6, -1
                                        ; implicit-def: $sgpr5
                                        ; implicit-def: $vgpr8
                                        ; implicit-def: $vgpr7
                                        ; implicit-def: $vgpr9
                                        ; implicit-def: $sgpr1
                                        ; implicit-def: $sgpr20
	s_cbranch_scc0 .LBB45_18
; %bb.14:                               ;   in Loop: Header=BB45_9 Depth=1
	s_add_i32 s1, s17, s9
	s_mov_b32 s7, s4
	s_lshl_b32 s1, s1, 3
	s_mov_b32 s20, s10
	s_add_i32 s6, s1, s2
	s_mul_hi_u32 s1, s0, s12
	s_lshl_b64 s[6:7], s[6:7], 3
	s_add_u32 s6, s18, s6
	s_addc_u32 s7, s19, s7
	s_add_i32 s1, s1, s0
	s_lshr_b32 s1, s1, s13
	s_mul_i32 s5, s1, s14
	s_cmp_eq_u32 s5, s0
	s_cselect_b32 s5, -1, 0
	s_cmp_lt_u32 s1, s11
	s_cselect_b32 s1, -1, 0
	s_or_b32 s1, s1, s5
	s_mov_b32 s5, -1
	s_and_b32 vcc_lo, exec_lo, s1
	s_mov_b32 s1, s17
	s_cbranch_vccnz .LBB45_16
; %bb.15:                               ;   in Loop: Header=BB45_9 Depth=1
	s_add_i32 s1, s17, -1
	s_mov_b32 s5, 0
	s_mov_b32 s20, s0
.LBB45_16:                              ;   in Loop: Header=BB45_9 Depth=1
	v_mad_u64_u32 v[7:8], null, 0x380, s17, v[3:4]
	s_load_dwordx2 s[6:7], s[6:7], 0x0
	v_ashrrev_i32_e32 v8, 31, v7
	v_lshlrev_b64 v[7:8], 2, v[7:8]
	v_add_co_u32 v7, vcc_lo, s8, v7
	v_add_co_ci_u32_e64 v8, null, s15, v8, vcc_lo
	s_waitcnt lgkmcnt(0)
	v_max_f32_e64 v9, s6, s6
	global_load_dword v8, v[7:8], off
	v_max_f32_e32 v7, v6, v6
	v_max_f32_e32 v7, v7, v9
	v_sub_f32_e32 v9, s6, v7
	v_sub_f32_e32 v10, v6, v7
	v_mul_f32_e32 v11, 0x3fb8aa3b, v9
	v_mul_f32_e32 v12, 0x3fb8aa3b, v10
	v_cmp_ngt_f32_e32 vcc_lo, 0xc2ce8ed0, v9
	v_fma_f32 v13, 0x3fb8aa3b, v9, -v11
	v_rndne_f32_e32 v14, v11
	v_fma_f32 v15, 0x3fb8aa3b, v10, -v12
	v_rndne_f32_e32 v16, v12
	v_fmac_f32_e32 v13, 0x32a5705f, v9
	v_sub_f32_e32 v11, v11, v14
	v_fmac_f32_e32 v15, 0x32a5705f, v10
	v_sub_f32_e32 v12, v12, v16
	v_add_f32_e32 v11, v11, v13
	v_cvt_i32_f32_e32 v13, v14
	v_add_f32_e32 v12, v12, v15
	v_cvt_i32_f32_e32 v14, v16
	v_exp_f32_e32 v11, v11
	v_exp_f32_e32 v12, v12
	v_ldexp_f32 v11, v11, v13
	v_ldexp_f32 v12, v12, v14
	v_cndmask_b32_e32 v11, 0, v11, vcc_lo
	v_cmp_ngt_f32_e32 vcc_lo, 0xc2ce8ed0, v10
	v_cndmask_b32_e32 v12, 0, v12, vcc_lo
	v_cmp_nlt_f32_e32 vcc_lo, 0x42b17218, v9
	v_cndmask_b32_e32 v11, 0x7f800000, v11, vcc_lo
	v_cmp_nlt_f32_e32 vcc_lo, 0x42b17218, v10
	v_cndmask_b32_e32 v12, 0x7f800000, v12, vcc_lo
	v_cmp_le_f32_e32 vcc_lo, 0xc1a00000, v9
	v_cndmask_b32_e32 v9, 0, v11, vcc_lo
	v_cmp_le_f32_e32 vcc_lo, 0xc1a00000, v10
	v_cndmask_b32_e32 v10, 0, v12, vcc_lo
	s_waitcnt vmcnt(0)
	v_mul_f32_e32 v8, v8, v9
	v_mul_f32_e32 v9, s7, v9
	v_fmac_f32_e32 v8, v5, v10
	v_fmac_f32_e32 v9, v4, v10
	s_cbranch_execz .LBB45_19
.LBB45_17:                              ;   in Loop: Header=BB45_9 Depth=1
	s_andn2_b32 vcc_lo, exec_lo, s5
	s_cbranch_vccnz .LBB45_20
	s_branch .LBB45_23
.LBB45_18:                              ;   in Loop: Header=BB45_9 Depth=1
	s_andn2_b32 vcc_lo, exec_lo, s6
	s_cbranch_vccnz .LBB45_17
.LBB45_19:                              ;   in Loop: Header=BB45_9 Depth=1
	v_mov_b32_e32 v9, v4
	v_mov_b32_e32 v7, v6
	s_waitcnt vmcnt(0)
	v_mov_b32_e32 v8, v5
	s_add_i32 s1, s17, -1
	s_mov_b32 s20, s10
	s_cbranch_execz .LBB45_23
.LBB45_20:                              ;   in Loop: Header=BB45_9 Depth=1
	v_mov_b32_e32 v4, v9
	v_mov_b32_e32 v6, v7
	s_waitcnt vmcnt(0)
	v_mov_b32_e32 v5, v8
	s_mov_b32 s10, s20
	s_mov_b32 s17, s1
	s_branch .LBB45_9
.LBB45_21:
                                        ; implicit-def: $sgpr10_sgpr11
	s_load_dwordx4 s[12:15], s[4:5], 0x44
	s_branch .LBB45_2
.LBB45_22:
                                        ; implicit-def: $sgpr18_sgpr19
	s_branch .LBB45_5
.LBB45_23:
	v_div_scale_f32 v0, null, v9, v9, v8
	v_rcp_f32_e32 v3, v0
	v_fma_f32 v4, -v0, v3, 1.0
	v_fmac_f32_e32 v3, v4, v3
	v_div_scale_f32 v4, vcc_lo, v8, v9, v8
	s_waitcnt vmcnt(0)
	v_mul_f32_e32 v5, v4, v3
	v_fma_f32 v6, -v0, v5, v4
	v_fmac_f32_e32 v5, v6, v3
	v_fma_f32 v0, -v0, v5, v4
	v_div_fmas_f32 v0, v0, v3, v5
	v_div_fixup_f32 v0, v0, v9, v8
	global_store_dword v[1:2], v0, off
.LBB45_24:
	s_endpgm
	.section	.rodata,"a",@progbits
	.p2align	6, 0x0
	.amdhsa_kernel _ZL33flash_attn_stream_k_fixup_generalILi112ELi4ELi2EEvPfPK15HIP_vector_typeIfLj2EEiiiiS1_IjLj3EES5_S5_S5_
		.amdhsa_group_segment_fixed_size 0
		.amdhsa_private_segment_fixed_size 0
		.amdhsa_kernarg_size 336
		.amdhsa_user_sgpr_count 6
		.amdhsa_user_sgpr_private_segment_buffer 1
		.amdhsa_user_sgpr_dispatch_ptr 0
		.amdhsa_user_sgpr_queue_ptr 0
		.amdhsa_user_sgpr_kernarg_segment_ptr 1
		.amdhsa_user_sgpr_dispatch_id 0
		.amdhsa_user_sgpr_flat_scratch_init 0
		.amdhsa_user_sgpr_private_segment_size 0
		.amdhsa_wavefront_size32 1
		.amdhsa_uses_dynamic_stack 0
		.amdhsa_system_sgpr_private_segment_wavefront_offset 0
		.amdhsa_system_sgpr_workgroup_id_x 1
		.amdhsa_system_sgpr_workgroup_id_y 1
		.amdhsa_system_sgpr_workgroup_id_z 1
		.amdhsa_system_sgpr_workgroup_info 0
		.amdhsa_system_vgpr_workitem_id 0
		.amdhsa_next_free_vgpr 17
		.amdhsa_next_free_sgpr 31
		.amdhsa_reserve_vcc 1
		.amdhsa_reserve_flat_scratch 0
		.amdhsa_float_round_mode_32 0
		.amdhsa_float_round_mode_16_64 0
		.amdhsa_float_denorm_mode_32 3
		.amdhsa_float_denorm_mode_16_64 3
		.amdhsa_dx10_clamp 1
		.amdhsa_ieee_mode 1
		.amdhsa_fp16_overflow 0
		.amdhsa_workgroup_processor_mode 1
		.amdhsa_memory_ordered 1
		.amdhsa_forward_progress 1
		.amdhsa_shared_vgpr_count 0
		.amdhsa_exception_fp_ieee_invalid_op 0
		.amdhsa_exception_fp_denorm_src 0
		.amdhsa_exception_fp_ieee_div_zero 0
		.amdhsa_exception_fp_ieee_overflow 0
		.amdhsa_exception_fp_ieee_underflow 0
		.amdhsa_exception_fp_ieee_inexact 0
		.amdhsa_exception_int_div_zero 0
	.end_amdhsa_kernel
	.section	.text._ZL33flash_attn_stream_k_fixup_generalILi112ELi4ELi2EEvPfPK15HIP_vector_typeIfLj2EEiiiiS1_IjLj3EES5_S5_S5_,"axG",@progbits,_ZL33flash_attn_stream_k_fixup_generalILi112ELi4ELi2EEvPfPK15HIP_vector_typeIfLj2EEiiiiS1_IjLj3EES5_S5_S5_,comdat
.Lfunc_end45:
	.size	_ZL33flash_attn_stream_k_fixup_generalILi112ELi4ELi2EEvPfPK15HIP_vector_typeIfLj2EEiiiiS1_IjLj3EES5_S5_S5_, .Lfunc_end45-_ZL33flash_attn_stream_k_fixup_generalILi112ELi4ELi2EEvPfPK15HIP_vector_typeIfLj2EEiiiiS1_IjLj3EES5_S5_S5_
                                        ; -- End function
	.set _ZL33flash_attn_stream_k_fixup_generalILi112ELi4ELi2EEvPfPK15HIP_vector_typeIfLj2EEiiiiS1_IjLj3EES5_S5_S5_.num_vgpr, 17
	.set _ZL33flash_attn_stream_k_fixup_generalILi112ELi4ELi2EEvPfPK15HIP_vector_typeIfLj2EEiiiiS1_IjLj3EES5_S5_S5_.num_agpr, 0
	.set _ZL33flash_attn_stream_k_fixup_generalILi112ELi4ELi2EEvPfPK15HIP_vector_typeIfLj2EEiiiiS1_IjLj3EES5_S5_S5_.numbered_sgpr, 31
	.set _ZL33flash_attn_stream_k_fixup_generalILi112ELi4ELi2EEvPfPK15HIP_vector_typeIfLj2EEiiiiS1_IjLj3EES5_S5_S5_.num_named_barrier, 0
	.set _ZL33flash_attn_stream_k_fixup_generalILi112ELi4ELi2EEvPfPK15HIP_vector_typeIfLj2EEiiiiS1_IjLj3EES5_S5_S5_.private_seg_size, 0
	.set _ZL33flash_attn_stream_k_fixup_generalILi112ELi4ELi2EEvPfPK15HIP_vector_typeIfLj2EEiiiiS1_IjLj3EES5_S5_S5_.uses_vcc, 1
	.set _ZL33flash_attn_stream_k_fixup_generalILi112ELi4ELi2EEvPfPK15HIP_vector_typeIfLj2EEiiiiS1_IjLj3EES5_S5_S5_.uses_flat_scratch, 0
	.set _ZL33flash_attn_stream_k_fixup_generalILi112ELi4ELi2EEvPfPK15HIP_vector_typeIfLj2EEiiiiS1_IjLj3EES5_S5_S5_.has_dyn_sized_stack, 0
	.set _ZL33flash_attn_stream_k_fixup_generalILi112ELi4ELi2EEvPfPK15HIP_vector_typeIfLj2EEiiiiS1_IjLj3EES5_S5_S5_.has_recursion, 0
	.set _ZL33flash_attn_stream_k_fixup_generalILi112ELi4ELi2EEvPfPK15HIP_vector_typeIfLj2EEiiiiS1_IjLj3EES5_S5_S5_.has_indirect_call, 0
	.section	.AMDGPU.csdata,"",@progbits
; Kernel info:
; codeLenInByte = 2948
; TotalNumSgprs: 33
; NumVgprs: 17
; ScratchSize: 0
; MemoryBound: 0
; FloatMode: 240
; IeeeMode: 1
; LDSByteSize: 0 bytes/workgroup (compile time only)
; SGPRBlocks: 0
; VGPRBlocks: 2
; NumSGPRsForWavesPerEU: 33
; NumVGPRsForWavesPerEU: 17
; Occupancy: 16
; WaveLimiterHint : 0
; COMPUTE_PGM_RSRC2:SCRATCH_EN: 0
; COMPUTE_PGM_RSRC2:USER_SGPR: 6
; COMPUTE_PGM_RSRC2:TRAP_HANDLER: 0
; COMPUTE_PGM_RSRC2:TGID_X_EN: 1
; COMPUTE_PGM_RSRC2:TGID_Y_EN: 1
; COMPUTE_PGM_RSRC2:TGID_Z_EN: 1
; COMPUTE_PGM_RSRC2:TIDIG_COMP_CNT: 0
	.section	.text._ZL15flash_attn_tileILi112ELi112ELi2ELi2ELb0EEvPKcS1_S1_S1_S1_PKiPfP15HIP_vector_typeIfLj2EEffffjfiS5_IjLj3EEiiiiiiiiiiiliiliiiiil,"axG",@progbits,_ZL15flash_attn_tileILi112ELi112ELi2ELi2ELb0EEvPKcS1_S1_S1_S1_PKiPfP15HIP_vector_typeIfLj2EEffffjfiS5_IjLj3EEiiiiiiiiiiiliiliiiiil,comdat
	.globl	_ZL15flash_attn_tileILi112ELi112ELi2ELi2ELb0EEvPKcS1_S1_S1_S1_PKiPfP15HIP_vector_typeIfLj2EEffffjfiS5_IjLj3EEiiiiiiiiiiiliiliiiiil ; -- Begin function _ZL15flash_attn_tileILi112ELi112ELi2ELi2ELb0EEvPKcS1_S1_S1_S1_PKiPfP15HIP_vector_typeIfLj2EEffffjfiS5_IjLj3EEiiiiiiiiiiiliiliiiiil
	.p2align	8
	.type	_ZL15flash_attn_tileILi112ELi112ELi2ELi2ELb0EEvPKcS1_S1_S1_S1_PKiPfP15HIP_vector_typeIfLj2EEffffjfiS5_IjLj3EEiiiiiiiiiiiliiliiiiil,@function
_ZL15flash_attn_tileILi112ELi112ELi2ELi2ELb0EEvPKcS1_S1_S1_S1_PKiPfP15HIP_vector_typeIfLj2EEffffjfiS5_IjLj3EEiiiiiiiiiiiliiliiiiil: ; @_ZL15flash_attn_tileILi112ELi112ELi2ELi2ELb0EEvPKcS1_S1_S1_S1_PKiPfP15HIP_vector_typeIfLj2EEffffjfiS5_IjLj3EEiiiiiiiiiiiliiliiiiil
; %bb.0:
	s_clause 0x1
	s_load_dwordx4 s[24:27], s[4:5], 0x5c
	s_load_dwordx2 s[36:37], s[4:5], 0x80
	s_mov_b32 s34, s7
	s_mov_b64 s[38:39], 0
	s_waitcnt lgkmcnt(0)
	s_lshr_b32 s0, s27, 31
	s_add_i32 s0, s27, s0
	s_ashr_i32 s0, s0, 1
	v_cvt_f32_u32_e32 v2, s0
	s_sub_i32 s2, 0, s0
	v_rcp_iflag_f32_e32 v2, v2
	v_mul_f32_e32 v2, 0x4f7ffffe, v2
	v_cvt_u32_f32_e32 v2, v2
	v_readfirstlane_b32 s1, v2
	s_mul_i32 s2, s2, s1
	s_mul_hi_u32 s2, s1, s2
	s_add_i32 s1, s1, s2
	s_mul_hi_u32 s1, s8, s1
	s_mul_i32 s2, s1, s0
	s_add_i32 s3, s1, 1
	s_sub_i32 s2, s8, s2
	s_sub_i32 s7, s2, s0
	s_cmp_ge_u32 s2, s0
	s_cselect_b32 s1, s3, s1
	s_cselect_b32 s2, s7, s2
	s_add_i32 s3, s1, 1
	s_cmp_ge_u32 s2, s0
	s_cselect_b32 s33, s3, s1
	s_abs_i32 s0, s37
	s_abs_i32 s3, s27
	v_cvt_f32_u32_e32 v2, s0
	s_sub_i32 s2, 0, s0
	s_xor_b32 s7, s27, s37
	s_ashr_i32 s7, s7, 31
	v_rcp_iflag_f32_e32 v2, v2
	v_mul_f32_e32 v2, 0x4f7ffffe, v2
	v_cvt_u32_f32_e32 v2, v2
	v_readfirstlane_b32 s1, v2
	s_mul_i32 s2, s2, s1
	s_mul_hi_u32 s2, s1, s2
	s_add_i32 s1, s1, s2
	s_lshl_b32 s2, s8, 1
	s_mul_hi_u32 s1, s3, s1
	s_mul_i32 s8, s1, s0
	s_sub_i32 s3, s3, s8
	s_add_i32 s8, s1, 1
	s_sub_i32 s9, s3, s0
	s_cmp_ge_u32 s3, s0
	s_cselect_b32 s1, s8, s1
	s_cselect_b32 s3, s9, s3
	s_add_i32 s8, s1, 1
	s_cmp_ge_u32 s3, s0
	s_mul_i32 s3, s33, s27
	s_cselect_b32 s0, s8, s1
	s_xor_b32 s0, s0, s7
	s_sub_i32 s35, s0, s7
	s_clause 0x1
	s_load_dwordx16 s[8:23], s[4:5], 0x0
	s_load_dwordx2 s[0:1], s[4:5], 0xb8
	s_abs_i32 s7, s35
	v_cvt_f32_u32_e32 v2, s7
	v_rcp_iflag_f32_e32 v2, v2
	v_mul_f32_e32 v2, 0x4f7ffffe, v2
	s_waitcnt lgkmcnt(0)
	s_cmp_eq_u64 s[14:15], 0
	v_cvt_u32_f32_e32 v2, v2
	v_readfirstlane_b32 s37, v2
	s_cbranch_scc1 .LBB46_2
; %bb.1:
	s_abs_i32 s0, s0
	s_abs_i32 s30, s33
	v_cvt_f32_u32_e32 v2, s0
	s_sub_i32 s29, 0, s0
	v_rcp_iflag_f32_e32 v2, v2
	v_mul_f32_e32 v2, 0x4f7ffffe, v2
	v_cvt_u32_f32_e32 v2, v2
	v_readfirstlane_b32 s28, v2
	s_mul_i32 s29, s29, s28
	s_mul_hi_u32 s29, s28, s29
	s_add_i32 s28, s28, s29
	s_mul_hi_u32 s31, s30, s28
	s_load_dwordx2 s[28:29], s[4:5], 0xc8
	s_mul_i32 s31, s31, s0
	s_sub_i32 s30, s30, s31
	s_ashr_i32 s31, s33, 31
	s_sub_i32 s38, s30, s0
	s_cmp_ge_u32 s30, s0
	s_cselect_b32 s30, s38, s30
	s_sub_i32 s38, s30, s0
	s_cmp_ge_u32 s30, s0
	s_cselect_b32 s0, s38, s30
	s_xor_b32 s0, s0, s31
	s_sub_i32 s0, s0, s31
	s_ashr_i32 s30, s0, 31
	s_waitcnt lgkmcnt(0)
	s_mul_hi_u32 s31, s28, s0
	s_mul_i32 s30, s28, s30
	s_mul_i32 s29, s29, s0
	s_add_i32 s30, s31, s30
	s_mul_i32 s0, s28, s0
	s_add_i32 s30, s30, s29
	s_add_u32 s38, s14, s0
	s_addc_u32 s39, s15, s30
.LBB46_2:
	s_movk_i32 s14, 0xe0
	v_cmp_gt_u32_e64 s0, 28, v0
	v_mad_u32_u24 v55, v1, s14, 0x1040
	v_lshlrev_b32_e32 v58, 3, v0
	v_and_b32_e32 v56, 1, v1
	v_lshrrev_b32_e32 v57, 1, v1
	s_sub_i32 s14, s2, s3
	s_lshl_b32 s15, s6, 1
	s_and_saveexec_b32 s2, s0
	s_cbranch_execz .LBB46_4
; %bb.3:
	v_add_nc_u32_e32 v2, s15, v57
	s_load_dwordx4 s[28:31], s[4:5], 0x70
	v_lshlrev_b32_e32 v6, 4, v0
	v_mul_hi_u32 v3, s24, v2
	v_add_nc_u32_e32 v3, v2, v3
	v_lshrrev_b32_e32 v3, s25, v3
	s_waitcnt lgkmcnt(0)
	s_mul_i32 s3, s33, s30
	s_mul_i32 s31, s14, s29
	v_mul_lo_u32 v3, v3, s26
	s_ashr_i32 s40, s3, 31
	s_add_u32 s3, s8, s3
	s_addc_u32 s8, s9, s40
	s_ashr_i32 s9, s31, 31
	s_add_u32 s3, s3, s31
	s_mov_b32 s30, s29
	s_addc_u32 s40, s8, s9
	v_sub_nc_u32_e32 v4, v2, v3
	s_ashr_i32 s31, s29, 31
	s_ashr_i32 s29, s28, 31
	s_lshr_b64 s[8:9], s[28:29], 2
	s_lshr_b32 s28, s29, 2
	v_mad_u64_u32 v[2:3], null, s8, v4, 0
	s_lshr_b64 s[8:9], s[30:31], 2
	s_lshr_b32 s9, s31, 2
	v_mul_lo_u32 v5, s9, v56
	v_mad_u64_u32 v[3:4], null, s28, v4, v[3:4]
	v_mul_lo_u32 v4, s8, v56
	v_lshlrev_b64 v[2:3], 2, v[2:3]
	v_lshlrev_b64 v[4:5], 2, v[4:5]
	v_add_co_u32 v4, vcc_lo, s3, v4
	v_add_co_ci_u32_e64 v5, null, s40, v5, vcc_lo
	s_load_dword s3, s[4:5], 0x40
	v_add_co_u32 v2, vcc_lo, v4, v2
	v_add_co_ci_u32_e64 v3, null, v5, v3, vcc_lo
	v_add_co_u32 v2, vcc_lo, v2, v6
	v_add_co_ci_u32_e64 v3, null, 0, v3, vcc_lo
	v_add_nc_u32_e32 v6, v55, v58
	global_load_dwordx4 v[2:5], v[2:3], off
	s_waitcnt vmcnt(0) lgkmcnt(0)
	v_fma_mixlo_f16 v3, s3, v3, 0
	v_fma_mixlo_f16 v2, s3, v2, 0
	;; [unrolled: 1-line block ×4, first 2 shown]
	v_lshlrev_b32_e32 v3, 16, v3
	v_and_b32_e32 v2, 0xffff, v2
	v_and_b32_e32 v4, 0xffff, v4
	v_lshlrev_b32_e32 v5, 16, v5
	v_or_b32_e32 v2, v3, v2
	v_or3_b32 v3, v5, v4, 0
	v_or3_b32 v2, 0, 0, v2
	ds_write_b64 v6, v[2:3]
.LBB46_4:
	s_or_b32 exec_lo, exec_lo, s2
	s_cmp_eq_u64 s[18:19], 0
	s_waitcnt lgkmcnt(0)
	s_barrier
	buffer_gl0_inv
	s_cbranch_scc1 .LBB46_6
; %bb.5:
	s_load_dword s2, s[4:5], 0xd0
	s_mov_b32 s3, 0
	s_waitcnt lgkmcnt(0)
	s_mul_i32 s2, s2, s33
	s_add_i32 s2, s2, s6
	s_lshl_b64 s[2:3], s[2:3], 2
	s_add_u32 s2, s18, s2
	s_addc_u32 s3, s19, s3
	s_load_dword s36, s[2:3], 0x0
.LBB46_6:
	v_mbcnt_lo_u32_b32 v59, -1, 0
	s_lshl_b32 s9, s34, 5
	s_waitcnt lgkmcnt(0)
	s_cmp_lt_i32 s9, s36
	s_cbranch_scc1 .LBB46_9
; %bb.7:
	v_mbcnt_lo_u32_b32 v2, -1, 0
	v_mov_b32_e32 v61, 32
	v_xor_b32_e32 v77, 16, v2
	v_xor_b32_e32 v78, 8, v2
	;; [unrolled: 1-line block ×5, first 2 shown]
	s_cbranch_execz .LBB46_10
; %bb.8:
	v_mov_b32_e32 v66, 0
	v_mov_b32_e32 v83, 0
	;; [unrolled: 1-line block ×4, first 2 shown]
	s_branch .LBB46_30
.LBB46_9:
                                        ; implicit-def: $vgpr2
                                        ; implicit-def: $vgpr61
                                        ; implicit-def: $vgpr77
                                        ; implicit-def: $vgpr78
                                        ; implicit-def: $vgpr79
                                        ; implicit-def: $vgpr81
                                        ; implicit-def: $vgpr82
.LBB46_10:
	s_clause 0x1
	s_load_dwordx4 s[28:31], s[4:5], 0x98
	s_load_dwordx2 s[2:3], s[4:5], 0x8c
	s_sub_i32 s6, 0, s7
	v_add_nc_u32_e32 v8, s15, v57
	s_mul_i32 s6, s6, s37
	s_abs_i32 s8, s14
	s_mul_hi_u32 s6, s37, s6
	v_lshrrev_b32_e32 v3, 2, v0
	s_add_i32 s37, s37, s6
	s_ashr_i32 s6, s1, 1
	s_mul_hi_u32 s1, s8, s37
	s_ashr_i32 s37, s33, 31
	v_mul_hi_u32 v4, s24, v8
	s_ashr_i32 s42, s14, 31
	s_ashr_i32 s35, s35, 31
	s_load_dwordx2 s[40:41], s[4:5], 0xa8
	s_mul_i32 s43, s1, s7
	v_lshl_add_u32 v11, v1, 3, v3
	v_lshlrev_b32_e32 v9, 2, v0
	v_lshrrev_b32_e32 v2, 1, v0
	s_waitcnt lgkmcnt(0)
	s_ashr_i32 s18, s30, 2
	s_ashr_i32 s19, s2, 2
	s_mul_hi_u32 s2, s28, s33
	s_mul_i32 s30, s28, s37
	s_mul_i32 s29, s29, s33
	s_add_i32 s2, s2, s30
	s_mul_i32 s28, s28, s33
	s_add_i32 s2, s2, s29
	s_add_u32 s10, s10, s28
	s_addc_u32 s2, s11, s2
	s_sub_i32 s8, s8, s43
	s_xor_b32 s11, s42, s35
	s_add_i32 s28, s1, 1
	s_sub_i32 s29, s8, s7
	v_add_nc_u32_e32 v3, v8, v4
	s_cmp_ge_u32 s8, s7
	v_lshl_add_u32 v10, v1, 4, v2
	s_cselect_b32 s1, s28, s1
	s_cselect_b32 s8, s29, s8
	s_add_i32 s28, s1, 1
	v_lshrrev_b32_e32 v3, s25, v3
	s_cmp_ge_u32 s8, s7
	v_and_b32_e32 v15, 4, v9
	s_cselect_b32 s1, s28, s1
	v_lshrrev_b32_e32 v17, 3, v0
	s_xor_b32 s1, s1, s11
	v_mul_lo_u32 v12, v3, s26
	s_sub_i32 s1, s1, s11
	s_mul_hi_u32 s7, s40, s33
	s_mul_i32 s3, s1, s3
	s_mul_i32 s8, s40, s37
	s_ashr_i32 s29, s3, 31
	s_add_u32 s28, s10, s3
	s_mul_i32 s11, s41, s33
	s_addc_u32 s29, s2, s29
	s_add_i32 s2, s7, s8
	v_lshl_add_u32 v5, v1, 5, v0
	v_lshlrev_b32_e32 v7, 7, v10
	v_lshlrev_b32_e32 v16, 2, v15
	v_sub_nc_u32_e32 v8, v8, v12
	v_lshl_add_u32 v67, v1, 6, 0x13c0
	v_lshl_add_u32 v1, v1, 2, v17
	v_mul_u32_u24_e32 v12, 0xe0, v10
	s_mul_i32 s30, s40, s33
	s_mul_i32 s1, s1, s31
	s_add_i32 s2, s2, s11
	s_add_u32 s3, s12, s30
	v_and_b32_e32 v14, 12, v9
	s_addc_u32 s7, s13, s2
	s_ashr_i32 s8, s1, 31
	s_add_u32 s12, s3, s1
	v_cmp_gt_u32_e64 s1, 32, v10
	v_mul_lo_u32 v2, s19, v11
	v_mul_lo_u32 v4, s19, v5
	;; [unrolled: 1-line block ×3, first 2 shown]
	v_or3_b32 v65, v7, v16, 64
	v_mad_u64_u32 v[41:42], null, v8, s6, v[0:1]
	v_mul_lo_u32 v8, s18, v1
	v_cmp_gt_u32_e64 s2, 16, v10
	v_or_b32_e32 v16, v12, v16
	v_mul_lo_u32 v10, s18, v10
	v_mul_lo_u32 v12, s18, v11
	v_lshlrev_b32_e32 v13, 2, v14
	v_mul_u32_u24_e32 v18, 0xe0, v11
	v_and_b32_e32 v17, 28, v9
	v_cmp_gt_u32_e32 vcc_lo, 32, v5
	v_ashrrev_i32_e32 v3, 31, v2
	v_lshl_or_b32 v62, v11, 7, v13
	v_ashrrev_i32_e32 v5, 31, v4
	v_ashrrev_i32_e32 v7, 31, v6
	v_cmp_gt_u32_e64 s3, 16, v11
	v_ashrrev_i32_e32 v9, 31, v8
	v_ashrrev_i32_e32 v11, 31, v10
	v_add3_u32 v70, v18, v13, 0x80
	v_ashrrev_i32_e32 v13, 31, v12
	v_lshlrev_b32_e32 v63, 7, v0
	v_lshlrev_b32_e32 v19, 2, v17
	v_lshlrev_b64 v[42:43], 2, v[4:5]
	v_lshlrev_b64 v[44:45], 2, v[6:7]
	;; [unrolled: 1-line block ×6, first 2 shown]
	v_mov_b32_e32 v60, 0
	v_or_b32_e32 v64, 0x60, v63
	v_lshl_add_u32 v68, v0, 1, v67
	v_add_nc_u32_e32 v69, 0xc0, v16
	v_mad_u32_u24 v71, 0xe0, v1, v19
	v_mov_b32_e32 v80, 0xfeffffff
	v_lshlrev_b32_e32 v72, 2, v14
	v_mov_b32_e32 v61, 32
	v_lshlrev_b32_e32 v73, 2, v17
	v_lshlrev_b32_e32 v74, 2, v15
	v_mov_b32_e32 v75, 0x10001
	v_mov_b32_e32 v66, 0
	;; [unrolled: 1-line block ×3, first 2 shown]
	s_addc_u32 s13, s7, s8
	s_add_u32 s10, s4, 0xd0
	s_addc_u32 s11, s5, 0
.LBB46_11:                              ; =>This Inner Loop Header: Depth=1
	s_mul_hi_i32 s7, s9, s19
	s_mul_i32 s6, s9, s19
	s_lshl_b64 s[24:25], s[6:7], 2
	s_add_u32 s7, s28, s24
	s_addc_u32 s8, s29, s25
	s_and_saveexec_b32 s24, vcc_lo
	s_cbranch_execz .LBB46_13
; %bb.12:                               ;   in Loop: Header=BB46_11 Depth=1
	v_add_co_u32 v1, s6, s7, v42
	v_add_co_ci_u32_e64 v2, null, s8, v43, s6
	global_load_dwordx4 v[1:4], v[1:2], off offset:96
	s_waitcnt vmcnt(0)
	ds_write_b128 v64, v[1:4]
.LBB46_13:                              ;   in Loop: Header=BB46_11 Depth=1
	s_or_b32 exec_lo, exec_lo, s24
	s_and_saveexec_b32 s24, s1
	s_cbranch_execz .LBB46_15
; %bb.14:                               ;   in Loop: Header=BB46_11 Depth=1
	v_add_co_u32 v1, s6, s7, v44
	v_add_co_ci_u32_e64 v2, null, s8, v45, s6
	v_add_co_u32 v1, s6, v1, v74
	v_add_co_ci_u32_e64 v2, null, 0, v2, s6
	global_load_dwordx4 v[1:4], v[1:2], off offset:64
	s_waitcnt vmcnt(0)
	ds_write_b128 v65, v[1:4]
.LBB46_15:                              ;   in Loop: Header=BB46_11 Depth=1
	s_or_b32 exec_lo, exec_lo, s24
	v_add_co_u32 v1, s6, s7, v46
	v_add_co_ci_u32_e64 v2, null, s8, v47, s6
	v_add_co_u32 v1, s6, v1, v72
	v_add_co_ci_u32_e64 v2, null, 0, v2, s6
	global_load_dwordx4 v[3:6], v[1:2], off
	s_waitcnt vmcnt(0)
	ds_write_b128 v62, v[3:6]
	s_waitcnt lgkmcnt(0)
	s_barrier
	buffer_gl0_inv
	ds_read_b128 v[4:7], v63
	ds_read_b128 v[8:11], v55
	v_mov_b32_e32 v3, 0
	s_waitcnt lgkmcnt(0)
	;;#ASMSTART
	v_dot2_f32_f16 v3, v4, v8, v3
	;;#ASMEND
	;;#ASMSTART
	v_dot2_f32_f16 v3, v5, v9, v3
	;;#ASMEND
	;;#ASMSTART
	v_dot2_f32_f16 v3, v6, v10, v3
	;;#ASMEND
	;;#ASMSTART
	v_dot2_f32_f16 v3, v7, v11, v3
	;;#ASMEND
	ds_read_b128 v[4:7], v63 offset:16
	ds_read_b128 v[8:11], v55 offset:16
	s_waitcnt lgkmcnt(0)
	;;#ASMSTART
	v_dot2_f32_f16 v3, v4, v8, v3
	;;#ASMEND
	;;#ASMSTART
	v_dot2_f32_f16 v3, v5, v9, v3
	;;#ASMEND
	;;#ASMSTART
	v_dot2_f32_f16 v3, v6, v10, v3
	;;#ASMEND
	;;#ASMSTART
	v_dot2_f32_f16 v3, v7, v11, v3
	;;#ASMEND
	ds_read_b128 v[4:7], v63 offset:32
	ds_read_b128 v[8:11], v55 offset:32
	;; [unrolled: 15-line block ×6, first 2 shown]
	s_waitcnt lgkmcnt(0)
	;;#ASMSTART
	v_dot2_f32_f16 v3, v4, v8, v3
	;;#ASMEND
	;;#ASMSTART
	v_dot2_f32_f16 v3, v5, v9, v3
	;;#ASMEND
	;; [unrolled: 3-line block ×4, first 2 shown]
	s_barrier
	buffer_gl0_inv
	s_and_saveexec_b32 s24, vcc_lo
	s_cbranch_execz .LBB46_17
; %bb.16:                               ;   in Loop: Header=BB46_11 Depth=1
	v_add_co_u32 v4, s6, s7, v42
	v_add_co_ci_u32_e64 v5, null, s8, v43, s6
	global_load_dwordx4 v[4:7], v[4:5], off offset:208
	s_waitcnt vmcnt(0)
	ds_write_b128 v64, v[4:7]
.LBB46_17:                              ;   in Loop: Header=BB46_11 Depth=1
	s_or_b32 exec_lo, exec_lo, s24
	s_and_saveexec_b32 s24, s1
	s_cbranch_execz .LBB46_19
; %bb.18:                               ;   in Loop: Header=BB46_11 Depth=1
	v_add_co_u32 v4, s6, s7, v44
	v_add_co_ci_u32_e64 v5, null, s8, v45, s6
	v_add_co_u32 v4, s6, v4, v74
	v_add_co_ci_u32_e64 v5, null, 0, v5, s6
	global_load_dwordx4 v[4:7], v[4:5], off offset:176
	s_waitcnt vmcnt(0)
	ds_write_b128 v65, v[4:7]
.LBB46_19:                              ;   in Loop: Header=BB46_11 Depth=1
	s_or_b32 exec_lo, exec_lo, s24
	global_load_dwordx4 v[4:7], v[1:2], off offset:112
	v_add_nc_u32_e32 v1, s9, v41
	v_xor_b32_e32 v77, 16, v59
	v_xor_b32_e32 v78, 8, v59
	;; [unrolled: 1-line block ×4, first 2 shown]
	v_ashrrev_i32_e32 v2, 31, v1
	v_xor_b32_e32 v82, 1, v59
	s_mul_hi_i32 s7, s9, s18
	v_lshlrev_b64 v[1:2], 1, v[1:2]
	v_add_co_u32 v1, s6, s38, v1
	v_add_co_ci_u32_e64 v2, null, s39, v2, s6
	v_cmp_gt_i32_e64 s6, 32, v77
	s_waitcnt vmcnt(0)
	ds_write_b128 v62, v[4:7]
	s_waitcnt lgkmcnt(0)
	s_barrier
	buffer_gl0_inv
	ds_read_b128 v[4:7], v63
	ds_read_b128 v[8:11], v55 offset:112
	s_waitcnt lgkmcnt(0)
	;;#ASMSTART
	v_dot2_f32_f16 v3, v4, v8, v3
	;;#ASMEND
	;;#ASMSTART
	v_dot2_f32_f16 v3, v5, v9, v3
	;;#ASMEND
	;;#ASMSTART
	v_dot2_f32_f16 v3, v6, v10, v3
	;;#ASMEND
	;;#ASMSTART
	v_dot2_f32_f16 v3, v7, v11, v3
	;;#ASMEND
	ds_read_b128 v[4:7], v63 offset:16
	ds_read_b128 v[8:11], v55 offset:128
	s_waitcnt lgkmcnt(0)
	;;#ASMSTART
	v_dot2_f32_f16 v3, v4, v8, v3
	;;#ASMEND
	;;#ASMSTART
	v_dot2_f32_f16 v3, v5, v9, v3
	;;#ASMEND
	;;#ASMSTART
	v_dot2_f32_f16 v3, v6, v10, v3
	;;#ASMEND
	;;#ASMSTART
	v_dot2_f32_f16 v3, v7, v11, v3
	;;#ASMEND
	ds_read_b128 v[4:7], v63 offset:32
	ds_read_b128 v[8:11], v55 offset:144
	s_waitcnt lgkmcnt(0)
	;;#ASMSTART
	v_dot2_f32_f16 v3, v4, v8, v3
	;;#ASMEND
	;;#ASMSTART
	v_dot2_f32_f16 v3, v5, v9, v3
	;;#ASMEND
	;;#ASMSTART
	v_dot2_f32_f16 v3, v6, v10, v3
	;;#ASMEND
	;;#ASMSTART
	v_dot2_f32_f16 v3, v7, v11, v3
	;;#ASMEND
	ds_read_b128 v[4:7], v63 offset:48
	ds_read_b128 v[8:11], v55 offset:160
	s_waitcnt lgkmcnt(0)
	;;#ASMSTART
	v_dot2_f32_f16 v3, v4, v8, v3
	;;#ASMEND
	;;#ASMSTART
	v_dot2_f32_f16 v3, v5, v9, v3
	;;#ASMEND
	;;#ASMSTART
	v_dot2_f32_f16 v3, v6, v10, v3
	;;#ASMEND
	;;#ASMSTART
	v_dot2_f32_f16 v3, v7, v11, v3
	;;#ASMEND
	ds_read_b128 v[4:7], v63 offset:64
	ds_read_b128 v[8:11], v55 offset:176
	s_waitcnt lgkmcnt(0)
	;;#ASMSTART
	v_dot2_f32_f16 v3, v4, v8, v3
	;;#ASMEND
	;;#ASMSTART
	v_dot2_f32_f16 v3, v5, v9, v3
	;;#ASMEND
	;;#ASMSTART
	v_dot2_f32_f16 v3, v6, v10, v3
	;;#ASMEND
	;;#ASMSTART
	v_dot2_f32_f16 v3, v7, v11, v3
	;;#ASMEND
	ds_read_b128 v[4:7], v63 offset:80
	ds_read_b128 v[8:11], v55 offset:192
	s_waitcnt lgkmcnt(0)
	;;#ASMSTART
	v_dot2_f32_f16 v3, v4, v8, v3
	;;#ASMEND
	;;#ASMSTART
	v_dot2_f32_f16 v3, v5, v9, v3
	;;#ASMEND
	;;#ASMSTART
	v_dot2_f32_f16 v3, v6, v10, v3
	;;#ASMEND
	;;#ASMSTART
	v_dot2_f32_f16 v3, v7, v11, v3
	;;#ASMEND
	ds_read_b128 v[4:7], v63 offset:96
	ds_read_b128 v[8:11], v55 offset:208
	s_waitcnt lgkmcnt(0)
	;;#ASMSTART
	v_dot2_f32_f16 v3, v4, v8, v3
	;;#ASMEND
	;;#ASMSTART
	v_dot2_f32_f16 v3, v5, v9, v3
	;;#ASMEND
	;; [unrolled: 3-line block ×4, first 2 shown]
	global_load_ushort v1, v[1:2], off
	v_max_f32_e32 v2, v80, v80
	s_waitcnt vmcnt(0)
	s_barrier
	buffer_gl0_inv
	v_cvt_f32_f16_e32 v1, v1
	v_add_f32_e32 v1, v3, v1
	v_cndmask_b32_e64 v3, v59, v77, s6
	v_cmp_gt_i32_e64 s6, 32, v78
	v_add_f32_e32 v4, 0x40051340, v1
	v_lshlrev_b32_e32 v3, 2, v3
	v_max_f32_e32 v2, v2, v4
	v_cndmask_b32_e64 v4, v59, v78, s6
	v_cmp_gt_i32_e64 s6, 32, v79
	ds_bpermute_b32 v3, v3, v2
	v_lshlrev_b32_e32 v4, 2, v4
	s_waitcnt lgkmcnt(0)
	v_max_f32_e32 v3, v3, v3
	v_max_f32_e32 v2, v2, v3
	ds_bpermute_b32 v3, v4, v2
	v_cndmask_b32_e64 v4, v59, v79, s6
	v_cmp_gt_i32_e64 s6, 32, v81
	v_lshlrev_b32_e32 v4, 2, v4
	s_waitcnt lgkmcnt(0)
	v_max_f32_e32 v3, v3, v3
	v_max_f32_e32 v2, v2, v3
	ds_bpermute_b32 v3, v4, v2
	v_cndmask_b32_e64 v4, v59, v81, s6
	v_cmp_gt_i32_e64 s6, 32, v82
	v_lshlrev_b32_e32 v4, 2, v4
	s_waitcnt lgkmcnt(0)
	v_max_f32_e32 v3, v3, v3
	v_max_f32_e32 v2, v2, v3
	ds_bpermute_b32 v3, v4, v2
	v_cndmask_b32_e64 v4, v59, v82, s6
	v_lshlrev_b32_e32 v4, 2, v4
	s_waitcnt lgkmcnt(0)
	v_max_f32_e32 v3, v3, v3
	v_max_f32_e32 v2, v2, v3
	ds_bpermute_b32 v3, v4, v2
	s_waitcnt lgkmcnt(0)
	v_max_f32_e32 v3, v3, v3
	v_max_f32_e32 v54, v2, v3
	v_sub_f32_e32 v1, v1, v54
	v_mul_f32_e32 v2, 0x3fb8aa3b, v1
	v_cmp_ngt_f32_e64 s6, 0xc2ce8ed0, v1
	v_fma_f32 v3, 0x3fb8aa3b, v1, -v2
	v_rndne_f32_e32 v4, v2
	v_fmac_f32_e32 v3, 0x32a5705f, v1
	v_sub_f32_e32 v2, v2, v4
	v_add_f32_e32 v2, v2, v3
	v_cvt_i32_f32_e32 v3, v4
	v_exp_f32_e32 v2, v2
	v_ldexp_f32 v2, v2, v3
	v_cndmask_b32_e64 v2, 0, v2, s6
	v_cmp_nlt_f32_e64 s6, 0x42b17218, v1
	v_cndmask_b32_e64 v83, 0x7f800000, v2, s6
	s_mul_i32 s6, s9, s18
	s_lshl_b64 s[24:25], s[6:7], 2
	v_cvt_f16_f32_e32 v1, v83
	s_add_u32 s7, s12, s24
	s_addc_u32 s8, s13, s25
	ds_write_b16 v68, v1
	s_and_saveexec_b32 s24, s2
	s_cbranch_execz .LBB46_21
; %bb.20:                               ;   in Loop: Header=BB46_11 Depth=1
	v_add_co_u32 v1, s6, s7, v48
	v_add_co_ci_u32_e64 v2, null, s8, v49, s6
	v_add_co_u32 v1, s6, v1, v74
	v_add_co_ci_u32_e64 v2, null, 0, v2, s6
	global_load_dwordx4 v[1:4], v[1:2], off offset:192
	s_waitcnt vmcnt(0)
	ds_write_b128 v69, v[1:4]
.LBB46_21:                              ;   in Loop: Header=BB46_11 Depth=1
	s_or_b32 exec_lo, exec_lo, s24
	s_and_saveexec_b32 s24, s3
	s_cbranch_execz .LBB46_23
; %bb.22:                               ;   in Loop: Header=BB46_11 Depth=1
	v_add_co_u32 v1, s6, s7, v50
	v_add_co_ci_u32_e64 v2, null, s8, v51, s6
	v_add_co_u32 v1, s6, v1, v72
	v_add_co_ci_u32_e64 v2, null, 0, v2, s6
	global_load_dwordx4 v[1:4], v[1:2], off offset:128
	s_waitcnt vmcnt(0)
	ds_write_b128 v70, v[1:4]
.LBB46_23:                              ;   in Loop: Header=BB46_11 Depth=1
	s_or_b32 exec_lo, exec_lo, s24
	v_add_co_u32 v1, s6, s7, v52
	v_add_co_ci_u32_e64 v2, null, s8, v53, s6
	v_add_nc_u32_e32 v84, 0x800, v58
	v_add_co_u32 v1, s6, v1, v73
	v_add_co_ci_u32_e64 v2, null, 0, v2, s6
	v_sub_f32_e32 v80, v80, v54
	s_or_b32 s8, s9, 16
	s_mul_hi_i32 s25, s8, s18
	global_load_dwordx4 v[1:4], v[1:2], off
	s_mul_i32 s24, s8, s18
	v_cmp_ngt_f32_e64 s6, 0xc2ce8ed0, v80
	v_cmp_nlt_f32_e64 s7, 0x42b17218, v80
	s_lshl_b64 s[24:25], s[24:25], 2
	s_add_u32 s24, s12, s24
	s_addc_u32 s25, s13, s25
	s_waitcnt vmcnt(0)
	ds_write_b128 v71, v[1:4]
	s_waitcnt lgkmcnt(0)
	s_barrier
	buffer_gl0_inv
	ds_read2_b64 v[37:40], v58 offset1:28
	ds_read_b128 v[25:28], v67
	ds_read_b128 v[5:8], v67 offset:16
	ds_read2_b64 v[33:36], v58 offset0:56 offset1:84
	ds_read2_b64 v[29:32], v58 offset0:112 offset1:140
	;; [unrolled: 1-line block ×7, first 2 shown]
	s_waitcnt lgkmcnt(0)
	s_barrier
	buffer_gl0_inv
	s_and_saveexec_b32 s30, s2
	s_cbranch_execz .LBB46_25
; %bb.24:                               ;   in Loop: Header=BB46_11 Depth=1
	v_add_co_u32 v85, s8, s24, v48
	v_add_co_ci_u32_e64 v86, null, s25, v49, s8
	v_add_co_u32 v85, s8, v85, v74
	v_add_co_ci_u32_e64 v86, null, 0, v86, s8
	global_load_dwordx4 v[85:88], v[85:86], off offset:192
	s_waitcnt vmcnt(0)
	ds_write_b128 v69, v[85:88]
.LBB46_25:                              ;   in Loop: Header=BB46_11 Depth=1
	s_or_b32 exec_lo, exec_lo, s30
	s_and_saveexec_b32 s30, s3
	s_cbranch_execz .LBB46_27
; %bb.26:                               ;   in Loop: Header=BB46_11 Depth=1
	v_add_co_u32 v85, s8, s24, v50
	v_add_co_ci_u32_e64 v86, null, s25, v51, s8
	v_add_co_u32 v85, s8, v85, v72
	v_add_co_ci_u32_e64 v86, null, 0, v86, s8
	global_load_dwordx4 v[85:88], v[85:86], off offset:128
	s_waitcnt vmcnt(0)
	ds_write_b128 v70, v[85:88]
.LBB46_27:                              ;   in Loop: Header=BB46_11 Depth=1
	s_or_b32 exec_lo, exec_lo, s30
	v_add_co_u32 v85, s8, s24, v52
	v_add_co_ci_u32_e64 v86, null, s25, v53, s8
	v_mul_f32_e32 v89, 0x3fb8aa3b, v80
	v_add_co_u32 v85, s8, v85, v73
	v_add_co_ci_u32_e64 v86, null, 0, v86, s8
	v_fma_f32 v90, 0x3fb8aa3b, v80, -v89
	v_rndne_f32_e32 v91, v89
	global_load_dwordx4 v[85:88], v[85:86], off
	v_fmac_f32_e32 v90, 0x32a5705f, v80
	v_sub_f32_e32 v80, v89, v91
	v_cvt_i32_f32_e32 v89, v91
	v_add_f32_e32 v80, v80, v90
	v_exp_f32_e32 v80, v80
	v_ldexp_f32 v80, v80, v89
	v_mul_u32_u24_sdwa v89, v25, v75 dst_sel:DWORD dst_unused:UNUSED_PAD src0_sel:WORD_0 src1_sel:DWORD
	v_mul_u32_u24_sdwa v25, v25, v75 dst_sel:DWORD dst_unused:UNUSED_PAD src0_sel:WORD_1 src1_sel:DWORD
	v_cndmask_b32_e64 v80, 0, v80, s6
	v_pk_mul_f16 v37, v37, v89
	v_pk_mul_f16 v38, v38, v89
	v_cndmask_b32_e64 v80, 0x7f800000, v80, s7
	v_cvt_f16_f32_e32 v90, v80
	v_fmac_f32_e32 v83, v76, v80
	v_mul_u32_u24_sdwa v90, v90, v75 dst_sel:DWORD dst_unused:UNUSED_PAD src0_sel:WORD_0 src1_sel:DWORD
	v_pk_fma_f16 v37, v60, v90, v37
	v_pk_fma_f16 v38, v66, v90, v38
	v_mul_u32_u24_sdwa v60, v26, v75 dst_sel:DWORD dst_unused:UNUSED_PAD src0_sel:WORD_0 src1_sel:DWORD
	v_mul_u32_u24_sdwa v26, v26, v75 dst_sel:DWORD dst_unused:UNUSED_PAD src0_sel:WORD_1 src1_sel:DWORD
	v_pk_fma_f16 v37, v39, v25, v37
	v_pk_fma_f16 v25, v40, v25, v38
	v_pk_fma_f16 v33, v33, v60, v37
	v_pk_fma_f16 v25, v34, v60, v25
	v_mul_u32_u24_sdwa v37, v27, v75 dst_sel:DWORD dst_unused:UNUSED_PAD src0_sel:WORD_0 src1_sel:DWORD
	v_mul_u32_u24_sdwa v27, v27, v75 dst_sel:DWORD dst_unused:UNUSED_PAD src0_sel:WORD_1 src1_sel:DWORD
	v_pk_fma_f16 v33, v35, v26, v33
	v_pk_fma_f16 v25, v36, v26, v25
	;; [unrolled: 6-line block ×4, first 2 shown]
	v_pk_fma_f16 v17, v17, v26, v21
	v_pk_fma_f16 v18, v18, v26, v22
	v_mul_u32_u24_sdwa v21, v6, v75 dst_sel:DWORD dst_unused:UNUSED_PAD src0_sel:WORD_0 src1_sel:DWORD
	v_mul_u32_u24_sdwa v6, v6, v75 dst_sel:DWORD dst_unused:UNUSED_PAD src0_sel:WORD_1 src1_sel:DWORD
	v_mul_u32_u24_sdwa v22, v7, v75 dst_sel:DWORD dst_unused:UNUSED_PAD src0_sel:WORD_0 src1_sel:DWORD
	v_pk_fma_f16 v17, v19, v5, v17
	v_pk_fma_f16 v5, v20, v5, v18
	;; [unrolled: 1-line block ×4, first 2 shown]
	v_mul_u32_u24_sdwa v21, v8, v75 dst_sel:DWORD dst_unused:UNUSED_PAD src0_sel:WORD_1 src1_sel:DWORD
	v_pk_fma_f16 v13, v15, v6, v13
	v_pk_fma_f16 v5, v16, v6, v5
	v_mul_u32_u24_sdwa v6, v7, v75 dst_sel:DWORD dst_unused:UNUSED_PAD src0_sel:WORD_1 src1_sel:DWORD
	v_pk_fma_f16 v7, v9, v22, v13
	v_pk_fma_f16 v5, v10, v22, v5
	v_mul_u32_u24_sdwa v9, v8, v75 dst_sel:DWORD dst_unused:UNUSED_PAD src0_sel:WORD_0 src1_sel:DWORD
	v_pk_fma_f16 v7, v11, v6, v7
	v_pk_fma_f16 v10, v12, v6, v5
	;; [unrolled: 1-line block ×6, first 2 shown]
	s_waitcnt vmcnt(0)
	ds_write_b128 v71, v[85:88]
	s_waitcnt lgkmcnt(0)
	s_barrier
	buffer_gl0_inv
	ds_read_b128 v[17:20], v67 offset:32
	ds_read_b128 v[9:12], v67 offset:48
	ds_read2_b64 v[13:16], v58 offset1:28
	ds_read2_b64 v[5:8], v58 offset0:56 offset1:84
	ds_read2_b64 v[1:4], v58 offset0:112 offset1:140
	s_waitcnt lgkmcnt(4)
	v_mul_u32_u24_sdwa v23, v17, v75 dst_sel:DWORD dst_unused:UNUSED_PAD src0_sel:WORD_0 src1_sel:DWORD
	v_mul_u32_u24_sdwa v17, v17, v75 dst_sel:DWORD dst_unused:UNUSED_PAD src0_sel:WORD_1 src1_sel:DWORD
	s_waitcnt lgkmcnt(2)
	v_pk_fma_f16 v13, v13, v23, v22
	v_pk_fma_f16 v14, v14, v23, v21
	v_mul_u32_u24_sdwa v21, v18, v75 dst_sel:DWORD dst_unused:UNUSED_PAD src0_sel:WORD_0 src1_sel:DWORD
	v_mul_u32_u24_sdwa v18, v18, v75 dst_sel:DWORD dst_unused:UNUSED_PAD src0_sel:WORD_1 src1_sel:DWORD
	v_pk_fma_f16 v22, v15, v17, v13
	v_pk_fma_f16 v17, v16, v17, v14
	ds_read2_b64 v[13:16], v58 offset0:168 offset1:196
	s_waitcnt lgkmcnt(2)
	v_pk_fma_f16 v5, v5, v21, v22
	v_pk_fma_f16 v6, v6, v21, v17
	v_mul_u32_u24_sdwa v17, v19, v75 dst_sel:DWORD dst_unused:UNUSED_PAD src0_sel:WORD_0 src1_sel:DWORD
	v_mul_u32_u24_sdwa v19, v19, v75 dst_sel:DWORD dst_unused:UNUSED_PAD src0_sel:WORD_1 src1_sel:DWORD
	v_pk_fma_f16 v21, v7, v18, v5
	v_pk_fma_f16 v18, v8, v18, v6
	ds_read2_b64 v[5:8], v58 offset0:224 offset1:252
	s_waitcnt lgkmcnt(2)
	v_pk_fma_f16 v1, v1, v17, v21
	v_pk_fma_f16 v2, v2, v17, v18
	v_mul_u32_u24_sdwa v17, v20, v75 dst_sel:DWORD dst_unused:UNUSED_PAD src0_sel:WORD_0 src1_sel:DWORD
	v_mul_u32_u24_sdwa v20, v20, v75 dst_sel:DWORD dst_unused:UNUSED_PAD src0_sel:WORD_1 src1_sel:DWORD
	v_mul_u32_u24_sdwa v21, v10, v75 dst_sel:DWORD dst_unused:UNUSED_PAD src0_sel:WORD_0 src1_sel:DWORD
	v_pk_fma_f16 v18, v3, v19, v1
	v_pk_fma_f16 v19, v4, v19, v2
	ds_read2_b64 v[1:4], v84 offset0:24 offset1:52
	s_waitcnt lgkmcnt(2)
	v_pk_fma_f16 v13, v13, v17, v18
	v_pk_fma_f16 v14, v14, v17, v19
	v_mul_u32_u24_sdwa v17, v9, v75 dst_sel:DWORD dst_unused:UNUSED_PAD src0_sel:WORD_0 src1_sel:DWORD
	v_mul_u32_u24_sdwa v9, v9, v75 dst_sel:DWORD dst_unused:UNUSED_PAD src0_sel:WORD_1 src1_sel:DWORD
	v_pk_fma_f16 v18, v15, v20, v13
	v_pk_fma_f16 v19, v16, v20, v14
	ds_read2_b64 v[13:16], v84 offset0:80 offset1:108
	s_waitcnt lgkmcnt(2)
	v_pk_fma_f16 v5, v5, v17, v18
	v_pk_fma_f16 v6, v6, v17, v19
	ds_read2_b64 v[17:20], v84 offset0:136 offset1:164
	s_waitcnt lgkmcnt(0)
	s_barrier
	v_pk_fma_f16 v5, v7, v9, v5
	v_pk_fma_f16 v6, v8, v9, v6
	v_mul_u32_u24_sdwa v7, v10, v75 dst_sel:DWORD dst_unused:UNUSED_PAD src0_sel:WORD_1 src1_sel:DWORD
	buffer_gl0_inv
	s_load_dword s6, s[10:11], 0x4
	v_pk_fma_f16 v1, v1, v21, v5
	v_pk_fma_f16 v2, v2, v21, v6
	v_mul_u32_u24_sdwa v5, v11, v75 dst_sel:DWORD dst_unused:UNUSED_PAD src0_sel:WORD_0 src1_sel:DWORD
	v_pk_fma_f16 v1, v3, v7, v1
	v_pk_fma_f16 v2, v4, v7, v2
	v_mul_u32_u24_sdwa v3, v11, v75 dst_sel:DWORD dst_unused:UNUSED_PAD src0_sel:WORD_1 src1_sel:DWORD
	v_mul_u32_u24_sdwa v4, v12, v75 dst_sel:DWORD dst_unused:UNUSED_PAD src0_sel:WORD_0 src1_sel:DWORD
	v_pk_fma_f16 v1, v13, v5, v1
	v_pk_fma_f16 v2, v14, v5, v2
	;; [unrolled: 1-line block ×4, first 2 shown]
	v_mul_u32_u24_sdwa v3, v12, v75 dst_sel:DWORD dst_unused:UNUSED_PAD src0_sel:WORD_1 src1_sel:DWORD
	s_waitcnt lgkmcnt(0)
	s_lshl_b32 s6, s6, 5
	v_pk_fma_f16 v1, v17, v4, v1
	v_pk_fma_f16 v2, v18, v4, v2
	s_add_i32 s9, s6, s9
	s_cmp_ge_i32 s9, s36
	v_pk_fma_f16 v60, v19, v3, v1
	v_pk_fma_f16 v66, v20, v3, v2
	s_cbranch_scc1 .LBB46_29
; %bb.28:                               ;   in Loop: Header=BB46_11 Depth=1
	v_mov_b32_e32 v80, v54
	v_mov_b32_e32 v76, v83
	s_branch .LBB46_11
.LBB46_29:
	v_mov_b32_e32 v2, v59
.LBB46_30:
	v_cmp_lt_i32_e32 vcc_lo, v77, v61
	s_cmp_lg_u64 s[16:17], 0
	s_cselect_b32 s1, -1, 0
	s_cmp_eq_u32 s34, 0
	v_cndmask_b32_e32 v1, v2, v77, vcc_lo
	v_cmp_lt_i32_e32 vcc_lo, v78, v61
	s_cselect_b32 s2, -1, 0
	s_and_b32 s1, s2, s1
	v_lshlrev_b32_e32 v1, 2, v1
	v_cndmask_b32_e32 v3, v2, v78, vcc_lo
	v_cmp_lt_i32_e32 vcc_lo, v79, v61
	ds_bpermute_b32 v1, v1, v83
	v_lshlrev_b32_e32 v3, 2, v3
	v_cndmask_b32_e32 v4, v2, v79, vcc_lo
	v_cmp_lt_i32_e32 vcc_lo, v81, v61
	v_lshlrev_b32_e32 v4, 2, v4
	s_waitcnt lgkmcnt(0)
	v_add_f32_e32 v1, v83, v1
	ds_bpermute_b32 v3, v3, v1
	s_waitcnt lgkmcnt(0)
	v_add_f32_e32 v1, v1, v3
	ds_bpermute_b32 v3, v4, v1
	v_cndmask_b32_e32 v4, v2, v81, vcc_lo
	v_cmp_lt_i32_e32 vcc_lo, v82, v61
	v_lshlrev_b32_e32 v4, 2, v4
	v_cndmask_b32_e32 v2, v2, v82, vcc_lo
	s_and_b32 vcc_lo, exec_lo, s1
	v_lshlrev_b32_e32 v2, 2, v2
	s_waitcnt lgkmcnt(0)
	v_add_f32_e32 v1, v1, v3
	ds_bpermute_b32 v3, v4, v1
	s_waitcnt lgkmcnt(0)
	v_add_f32_e32 v1, v1, v3
	ds_bpermute_b32 v2, v2, v1
	s_waitcnt lgkmcnt(0)
	v_add_f32_e32 v55, v1, v2
	s_cbranch_vccz .LBB46_32
; %bb.31:
	v_add_nc_u32_e32 v1, s14, v56
	v_ashrrev_i32_e32 v2, 31, v1
	v_lshlrev_b64 v[1:2], 2, v[1:2]
	v_add_co_u32 v1, vcc_lo, s16, v1
	v_add_co_ci_u32_e64 v2, null, s17, v2, vcc_lo
	global_load_dword v1, v[1:2], off
	v_max_f32_e32 v2, v54, v54
	s_waitcnt vmcnt(0)
	v_max_f32_e32 v3, v1, v1
	v_max_f32_e32 v2, v2, v3
	v_sub_f32_e32 v3, v54, v2
	v_sub_f32_e32 v1, v1, v2
	v_mov_b32_e32 v54, v2
	v_mul_f32_e32 v4, 0x3fb8aa3b, v3
	v_mul_f32_e32 v5, 0x3fb8aa3b, v1
	v_cmp_ngt_f32_e32 vcc_lo, 0xc2ce8ed0, v3
	v_fma_f32 v6, 0x3fb8aa3b, v3, -v4
	v_rndne_f32_e32 v7, v4
	v_fma_f32 v8, 0x3fb8aa3b, v1, -v5
	v_rndne_f32_e32 v9, v5
	v_fmac_f32_e32 v6, 0x32a5705f, v3
	v_sub_f32_e32 v4, v4, v7
	v_fmac_f32_e32 v8, 0x32a5705f, v1
	v_sub_f32_e32 v5, v5, v9
	v_add_f32_e32 v4, v4, v6
	v_cvt_i32_f32_e32 v6, v7
	v_add_f32_e32 v5, v5, v8
	v_cvt_i32_f32_e32 v7, v9
	v_exp_f32_e32 v4, v4
	v_exp_f32_e32 v5, v5
	v_ldexp_f32 v4, v4, v6
	v_ldexp_f32 v5, v5, v7
	v_cndmask_b32_e32 v4, 0, v4, vcc_lo
	v_cmp_ngt_f32_e32 vcc_lo, 0xc2ce8ed0, v1
	v_cndmask_b32_e32 v5, 0, v5, vcc_lo
	v_cmp_nlt_f32_e32 vcc_lo, 0x42b17218, v3
	v_cndmask_b32_e32 v3, 0x7f800000, v4, vcc_lo
	v_cmp_nlt_f32_e32 vcc_lo, 0x42b17218, v1
	v_mov_b32_e32 v4, 0x10001
	v_cndmask_b32_e32 v1, 0x7f800000, v5, vcc_lo
	v_cvt_f16_f32_e32 v5, v3
	v_fmac_f32_e32 v1, v55, v3
	v_mul_u32_u24_sdwa v3, v5, v4 dst_sel:DWORD dst_unused:UNUSED_PAD src0_sel:WORD_0 src1_sel:DWORD
	v_mov_b32_e32 v55, v1
	v_pk_mul_f16 v60, v60, v3
	v_pk_mul_f16 v66, v66, v3
.LBB46_32:
	v_add_nc_u32_e32 v1, s15, v57
	s_mov_b32 s1, exec_lo
	v_cmpx_gt_i32_e64 s26, v1
	s_cbranch_execz .LBB46_37
; %bb.33:
	v_mad_u64_u32 v[1:2], null, s33, s26, v[1:2]
	s_load_dword s1, s[4:5], 0xd4
	v_mul_lo_u32 v1, v1, s27
	v_add3_u32 v1, s14, v56, v1
	s_waitcnt lgkmcnt(0)
	s_cmp_lg_u32 s1, 1
	v_mad_u64_u32 v[1:2], null, s1, v1, s[34:35]
	s_cselect_b32 s1, -1, 0
	s_and_saveexec_b32 s2, s0
	s_cbranch_execz .LBB46_35
; %bb.34:
	v_div_scale_f32 v2, null, v55, v55, 1.0
	v_div_scale_f32 v5, vcc_lo, 1.0, v55, 1.0
	v_cvt_f32_f16_sdwa v8, v66 dst_sel:DWORD dst_unused:UNUSED_PAD src0_sel:WORD_1
	v_rcp_f32_e32 v3, v2
	v_cvt_f32_f16_sdwa v10, v60 dst_sel:DWORD dst_unused:UNUSED_PAD src0_sel:WORD_1
	v_cvt_f32_f16_e32 v11, v60
	v_fma_f32 v4, -v2, v3, 1.0
	v_fmac_f32_e32 v3, v4, v3
	v_mul_f32_e32 v4, v5, v3
	v_fma_f32 v6, -v2, v4, v5
	v_fmac_f32_e32 v4, v6, v3
	v_fma_f32 v2, -v2, v4, v5
	v_div_fmas_f32 v2, v2, v3, v4
	v_mul_lo_u32 v4, 0x70, v1
	v_mov_b32_e32 v3, 0
	v_div_fixup_f32 v5, v2, v55, 1.0
	v_lshl_add_u32 v2, v0, 2, v4
	v_cndmask_b32_e64 v9, v5, 1.0, s1
	v_cvt_f32_f16_e32 v4, v66
	v_lshlrev_b64 v[6:7], 2, v[2:3]
	v_mul_f32_e32 v5, v9, v8
	v_mul_f32_e32 v4, v9, v4
	v_mul_f32_e32 v3, v9, v10
	v_mul_f32_e32 v2, v9, v11
	v_add_co_u32 v6, vcc_lo, s20, v6
	v_add_co_ci_u32_e64 v7, null, s21, v7, vcc_lo
	global_store_dwordx4 v[6:7], v[2:5], off
.LBB46_35:
	s_or_b32 exec_lo, exec_lo, s2
	v_cmp_eq_u32_e32 vcc_lo, 0, v0
	s_and_b32 s0, vcc_lo, s1
	s_and_b32 exec_lo, exec_lo, s0
	s_cbranch_execz .LBB46_37
; %bb.36:
	v_ashrrev_i32_e32 v2, 31, v1
	v_lshlrev_b64 v[0:1], 3, v[1:2]
	v_add_co_u32 v0, vcc_lo, s22, v0
	v_add_co_ci_u32_e64 v1, null, s23, v1, vcc_lo
	global_store_dwordx2 v[0:1], v[54:55], off
.LBB46_37:
	s_endpgm
	.section	.rodata,"a",@progbits
	.p2align	6, 0x0
	.amdhsa_kernel _ZL15flash_attn_tileILi112ELi112ELi2ELi2ELb0EEvPKcS1_S1_S1_S1_PKiPfP15HIP_vector_typeIfLj2EEffffjfiS5_IjLj3EEiiiiiiiiiiiliiliiiiil
		.amdhsa_group_segment_fixed_size 5312
		.amdhsa_private_segment_fixed_size 0
		.amdhsa_kernarg_size 464
		.amdhsa_user_sgpr_count 6
		.amdhsa_user_sgpr_private_segment_buffer 1
		.amdhsa_user_sgpr_dispatch_ptr 0
		.amdhsa_user_sgpr_queue_ptr 0
		.amdhsa_user_sgpr_kernarg_segment_ptr 1
		.amdhsa_user_sgpr_dispatch_id 0
		.amdhsa_user_sgpr_flat_scratch_init 0
		.amdhsa_user_sgpr_private_segment_size 0
		.amdhsa_wavefront_size32 1
		.amdhsa_uses_dynamic_stack 0
		.amdhsa_system_sgpr_private_segment_wavefront_offset 0
		.amdhsa_system_sgpr_workgroup_id_x 1
		.amdhsa_system_sgpr_workgroup_id_y 1
		.amdhsa_system_sgpr_workgroup_id_z 1
		.amdhsa_system_sgpr_workgroup_info 0
		.amdhsa_system_vgpr_workitem_id 1
		.amdhsa_next_free_vgpr 92
		.amdhsa_next_free_sgpr 44
		.amdhsa_reserve_vcc 1
		.amdhsa_reserve_flat_scratch 0
		.amdhsa_float_round_mode_32 0
		.amdhsa_float_round_mode_16_64 0
		.amdhsa_float_denorm_mode_32 3
		.amdhsa_float_denorm_mode_16_64 3
		.amdhsa_dx10_clamp 1
		.amdhsa_ieee_mode 1
		.amdhsa_fp16_overflow 0
		.amdhsa_workgroup_processor_mode 1
		.amdhsa_memory_ordered 1
		.amdhsa_forward_progress 1
		.amdhsa_shared_vgpr_count 0
		.amdhsa_exception_fp_ieee_invalid_op 0
		.amdhsa_exception_fp_denorm_src 0
		.amdhsa_exception_fp_ieee_div_zero 0
		.amdhsa_exception_fp_ieee_overflow 0
		.amdhsa_exception_fp_ieee_underflow 0
		.amdhsa_exception_fp_ieee_inexact 0
		.amdhsa_exception_int_div_zero 0
	.end_amdhsa_kernel
	.section	.text._ZL15flash_attn_tileILi112ELi112ELi2ELi2ELb0EEvPKcS1_S1_S1_S1_PKiPfP15HIP_vector_typeIfLj2EEffffjfiS5_IjLj3EEiiiiiiiiiiiliiliiiiil,"axG",@progbits,_ZL15flash_attn_tileILi112ELi112ELi2ELi2ELb0EEvPKcS1_S1_S1_S1_PKiPfP15HIP_vector_typeIfLj2EEffffjfiS5_IjLj3EEiiiiiiiiiiiliiliiiiil,comdat
.Lfunc_end46:
	.size	_ZL15flash_attn_tileILi112ELi112ELi2ELi2ELb0EEvPKcS1_S1_S1_S1_PKiPfP15HIP_vector_typeIfLj2EEffffjfiS5_IjLj3EEiiiiiiiiiiiliiliiiiil, .Lfunc_end46-_ZL15flash_attn_tileILi112ELi112ELi2ELi2ELb0EEvPKcS1_S1_S1_S1_PKiPfP15HIP_vector_typeIfLj2EEffffjfiS5_IjLj3EEiiiiiiiiiiiliiliiiiil
                                        ; -- End function
	.set _ZL15flash_attn_tileILi112ELi112ELi2ELi2ELb0EEvPKcS1_S1_S1_S1_PKiPfP15HIP_vector_typeIfLj2EEffffjfiS5_IjLj3EEiiiiiiiiiiiliiliiiiil.num_vgpr, 92
	.set _ZL15flash_attn_tileILi112ELi112ELi2ELi2ELb0EEvPKcS1_S1_S1_S1_PKiPfP15HIP_vector_typeIfLj2EEffffjfiS5_IjLj3EEiiiiiiiiiiiliiliiiiil.num_agpr, 0
	.set _ZL15flash_attn_tileILi112ELi112ELi2ELi2ELb0EEvPKcS1_S1_S1_S1_PKiPfP15HIP_vector_typeIfLj2EEffffjfiS5_IjLj3EEiiiiiiiiiiiliiliiiiil.numbered_sgpr, 44
	.set _ZL15flash_attn_tileILi112ELi112ELi2ELi2ELb0EEvPKcS1_S1_S1_S1_PKiPfP15HIP_vector_typeIfLj2EEffffjfiS5_IjLj3EEiiiiiiiiiiiliiliiiiil.num_named_barrier, 0
	.set _ZL15flash_attn_tileILi112ELi112ELi2ELi2ELb0EEvPKcS1_S1_S1_S1_PKiPfP15HIP_vector_typeIfLj2EEffffjfiS5_IjLj3EEiiiiiiiiiiiliiliiiiil.private_seg_size, 0
	.set _ZL15flash_attn_tileILi112ELi112ELi2ELi2ELb0EEvPKcS1_S1_S1_S1_PKiPfP15HIP_vector_typeIfLj2EEffffjfiS5_IjLj3EEiiiiiiiiiiiliiliiiiil.uses_vcc, 1
	.set _ZL15flash_attn_tileILi112ELi112ELi2ELi2ELb0EEvPKcS1_S1_S1_S1_PKiPfP15HIP_vector_typeIfLj2EEffffjfiS5_IjLj3EEiiiiiiiiiiiliiliiiiil.uses_flat_scratch, 0
	.set _ZL15flash_attn_tileILi112ELi112ELi2ELi2ELb0EEvPKcS1_S1_S1_S1_PKiPfP15HIP_vector_typeIfLj2EEffffjfiS5_IjLj3EEiiiiiiiiiiiliiliiiiil.has_dyn_sized_stack, 0
	.set _ZL15flash_attn_tileILi112ELi112ELi2ELi2ELb0EEvPKcS1_S1_S1_S1_PKiPfP15HIP_vector_typeIfLj2EEffffjfiS5_IjLj3EEiiiiiiiiiiiliiliiiiil.has_recursion, 0
	.set _ZL15flash_attn_tileILi112ELi112ELi2ELi2ELb0EEvPKcS1_S1_S1_S1_PKiPfP15HIP_vector_typeIfLj2EEffffjfiS5_IjLj3EEiiiiiiiiiiiliiliiiiil.has_indirect_call, 0
	.section	.AMDGPU.csdata,"",@progbits
; Kernel info:
; codeLenInByte = 6168
; TotalNumSgprs: 46
; NumVgprs: 92
; ScratchSize: 0
; MemoryBound: 0
; FloatMode: 240
; IeeeMode: 1
; LDSByteSize: 5312 bytes/workgroup (compile time only)
; SGPRBlocks: 0
; VGPRBlocks: 11
; NumSGPRsForWavesPerEU: 46
; NumVGPRsForWavesPerEU: 92
; Occupancy: 10
; WaveLimiterHint : 1
; COMPUTE_PGM_RSRC2:SCRATCH_EN: 0
; COMPUTE_PGM_RSRC2:USER_SGPR: 6
; COMPUTE_PGM_RSRC2:TRAP_HANDLER: 0
; COMPUTE_PGM_RSRC2:TGID_X_EN: 1
; COMPUTE_PGM_RSRC2:TGID_Y_EN: 1
; COMPUTE_PGM_RSRC2:TGID_Z_EN: 1
; COMPUTE_PGM_RSRC2:TIDIG_COMP_CNT: 1
	.section	.text._ZL33flash_attn_stream_k_fixup_uniformILi112ELi2ELi2EEvPfPK15HIP_vector_typeIfLj2EEiiiiiiS1_IjLj3EES5_S5_,"axG",@progbits,_ZL33flash_attn_stream_k_fixup_uniformILi112ELi2ELi2EEvPfPK15HIP_vector_typeIfLj2EEiiiiiiS1_IjLj3EES5_S5_,comdat
	.globl	_ZL33flash_attn_stream_k_fixup_uniformILi112ELi2ELi2EEvPfPK15HIP_vector_typeIfLj2EEiiiiiiS1_IjLj3EES5_S5_ ; -- Begin function _ZL33flash_attn_stream_k_fixup_uniformILi112ELi2ELi2EEvPfPK15HIP_vector_typeIfLj2EEiiiiiiS1_IjLj3EES5_S5_
	.p2align	8
	.type	_ZL33flash_attn_stream_k_fixup_uniformILi112ELi2ELi2EEvPfPK15HIP_vector_typeIfLj2EEiiiiiiS1_IjLj3EES5_S5_,@function
_ZL33flash_attn_stream_k_fixup_uniformILi112ELi2ELi2EEvPfPK15HIP_vector_typeIfLj2EEiiiiiiS1_IjLj3EES5_S5_: ; @_ZL33flash_attn_stream_k_fixup_uniformILi112ELi2ELi2EEvPfPK15HIP_vector_typeIfLj2EEiiiiiiS1_IjLj3EES5_S5_
; %bb.0:
	s_clause 0x2
	s_load_dwordx8 s[12:19], s[4:5], 0x1c
	s_load_dwordx4 s[20:23], s[4:5], 0x3c
	s_load_dwordx2 s[10:11], s[4:5], 0x10
	s_waitcnt lgkmcnt(0)
	s_mul_hi_u32 s0, s15, s6
	s_add_i32 s0, s6, s0
	s_lshr_b32 s0, s0, s16
	s_mul_i32 s1, s0, s17
	s_sub_i32 s1, s6, s1
	s_mul_hi_u32 s2, s1, s18
	s_add_i32 s2, s1, s2
	s_lshr_b32 s9, s2, s19
	s_mul_i32 s2, s9, s20
	s_sub_i32 s1, s1, s2
	s_mul_hi_u32 s2, s1, s21
	s_add_i32 s2, s1, s2
	s_lshr_b32 s2, s2, s22
	s_mul_i32 s3, s2, s23
	s_lshl_b32 s16, s2, 1
	s_sub_i32 s15, s1, s3
	s_lshl_b32 s1, s15, 1
	s_add_i32 s1, s1, s7
	s_cmp_lt_i32 s1, s10
	s_cselect_b32 s1, -1, 0
	s_add_i32 s16, s16, s8
	s_cmp_lt_i32 s16, s13
	s_cselect_b32 s2, -1, 0
	s_and_b32 s1, s1, s2
	s_andn2_b32 vcc_lo, exec_lo, s1
	s_cbranch_vccnz .LBB47_6
; %bb.1:
	s_mul_i32 s10, s0, s10
	s_load_dwordx4 s[0:3], s[4:5], 0x0
	s_add_i32 s4, s10, s7
	s_mul_i32 s9, s9, s13
	s_mul_i32 s4, s4, s11
	s_add_i32 s5, s16, s9
	s_mul_i32 s9, s11, s15
	s_add_i32 s4, s5, s4
	s_mulk_i32 s9, 0xe0
	s_mulk_i32 s4, 0x70
	s_lshl_b32 s10, s7, 1
	v_add3_u32 v1, s4, s9, v0
	s_mul_i32 s4, s14, s6
	s_add_i32 s11, s4, s14
	v_ashrrev_i32_e32 v2, 31, v1
	v_lshlrev_b64 v[1:2], 2, v[1:2]
	s_waitcnt lgkmcnt(0)
	v_add_co_u32 v1, vcc_lo, s0, v1
	v_add_co_ci_u32_e64 v2, null, s1, v2, vcc_lo
	s_add_i32 s0, s10, s8
	s_lshl_b32 s1, s11, 2
	global_load_dword v5, v[1:2], off
	s_add_i32 s0, s0, s1
	s_add_i32 s0, s0, -4
	s_ashr_i32 s1, s0, 31
	s_lshl_b64 s[0:1], s[0:1], 3
	s_add_u32 s0, s2, s0
	s_addc_u32 s1, s3, s1
	s_add_i32 s5, s11, -2
	s_load_dword s13, s[0:1], 0x4
	s_cmp_lt_i32 s5, s4
	s_cbranch_scc1 .LBB47_4
; %bb.2:
	s_load_dword s15, s[0:1], 0x0
	s_lshl_b32 s16, s12, 4
	s_mulk_i32 s7, 0xe0
	s_ashr_i32 s17, s16, 31
	s_waitcnt lgkmcnt(0)
	v_mov_b32_e32 v6, s13
	s_lshl_b64 s[0:1], s[16:17], 2
	s_add_u32 s5, s2, s0
	s_addc_u32 s9, s3, s1
	s_add_i32 s6, s6, 1
	s_mul_i32 s0, s14, s6
	s_mul_i32 s6, s8, 0x70
	s_lshl_b32 s1, s0, 2
	s_mulk_i32 s0, 0x1c0
	s_add_i32 s6, s6, s7
	s_add_i32 s1, s8, s1
	s_lshl_b32 s7, s12, 2
	s_add_i32 s6, s6, s0
	s_add_i32 s0, s1, s7
	v_add3_u32 v3, s6, v0, 0xfffffc80
	v_mov_b32_e32 v0, s15
	s_add_i32 s0, s0, s10
	s_add_i32 s6, s11, -1
	s_add_i32 s0, s0, -8
.LBB47_3:                               ; =>This Inner Loop Header: Depth=1
	v_ashrrev_i32_e32 v4, 31, v3
	s_ashr_i32 s1, s0, 31
	s_lshl_b64 s[10:11], s[0:1], 3
	s_add_u32 s10, s2, s10
	v_lshlrev_b64 v[7:8], 2, v[3:4]
	s_addc_u32 s11, s3, s11
	v_add_nc_u32_e32 v3, 0xfffffe40, v3
	s_add_i32 s6, s6, -1
	s_add_i32 s0, s0, -4
	s_cmp_le_i32 s6, s4
	v_add_co_u32 v7, vcc_lo, s5, v7
	v_add_co_ci_u32_e64 v8, null, s9, v8, vcc_lo
	s_load_dwordx2 s[10:11], s[10:11], 0x0
	global_load_dword v4, v[7:8], off
	v_max_f32_e32 v7, v0, v0
	s_waitcnt lgkmcnt(0)
	v_max_f32_e64 v8, s10, s10
	v_max_f32_e32 v7, v7, v8
	v_sub_f32_e32 v8, s10, v7
	v_sub_f32_e32 v0, v0, v7
	v_mul_f32_e32 v9, 0x3fb8aa3b, v8
	v_mul_f32_e32 v12, 0x3fb8aa3b, v0
	v_cmp_ngt_f32_e32 vcc_lo, 0xc2ce8ed0, v8
	v_fma_f32 v10, 0x3fb8aa3b, v8, -v9
	v_rndne_f32_e32 v11, v9
	v_fma_f32 v13, 0x3fb8aa3b, v0, -v12
	v_rndne_f32_e32 v14, v12
	v_fmac_f32_e32 v10, 0x32a5705f, v8
	v_sub_f32_e32 v9, v9, v11
	v_fmac_f32_e32 v13, 0x32a5705f, v0
	v_cvt_i32_f32_e32 v11, v11
	v_add_f32_e32 v9, v9, v10
	v_sub_f32_e32 v10, v12, v14
	v_exp_f32_e32 v9, v9
	v_add_f32_e32 v10, v10, v13
	v_exp_f32_e32 v10, v10
	v_ldexp_f32 v9, v9, v11
	v_cvt_i32_f32_e32 v11, v14
	v_cndmask_b32_e32 v9, 0, v9, vcc_lo
	v_cmp_nlt_f32_e32 vcc_lo, 0x42b17218, v8
	v_ldexp_f32 v10, v10, v11
	v_mov_b32_e32 v11, v6
	v_cndmask_b32_e32 v9, 0x7f800000, v9, vcc_lo
	v_cmp_ngt_f32_e32 vcc_lo, 0xc2ce8ed0, v0
	v_cndmask_b32_e32 v10, 0, v10, vcc_lo
	v_cmp_le_f32_e32 vcc_lo, 0xc1a00000, v8
	v_cndmask_b32_e32 v8, 0, v9, vcc_lo
	v_cmp_nlt_f32_e32 vcc_lo, 0x42b17218, v0
	s_waitcnt vmcnt(1)
	v_mov_b32_e32 v9, v5
	v_cndmask_b32_e32 v5, 0x7f800000, v10, vcc_lo
	v_mul_f32_e32 v10, s11, v8
	v_cmp_le_f32_e32 vcc_lo, 0xc1a00000, v0
	v_mov_b32_e32 v0, v7
	v_mov_b32_e32 v6, v10
	v_cndmask_b32_e32 v12, 0, v5, vcc_lo
	v_fmac_f32_e32 v6, v11, v12
	s_waitcnt vmcnt(0)
	v_mul_f32_e32 v5, v4, v8
	v_fmac_f32_e32 v5, v9, v12
	s_cbranch_scc0 .LBB47_3
	s_branch .LBB47_5
.LBB47_4:
	s_waitcnt lgkmcnt(0)
	v_mov_b32_e32 v6, s13
.LBB47_5:
	s_waitcnt vmcnt(0)
	v_div_scale_f32 v0, null, v6, v6, v5
	v_rcp_f32_e32 v3, v0
	v_fma_f32 v4, -v0, v3, 1.0
	v_fmac_f32_e32 v3, v4, v3
	v_div_scale_f32 v4, vcc_lo, v5, v6, v5
	v_mul_f32_e32 v7, v4, v3
	v_fma_f32 v8, -v0, v7, v4
	v_fmac_f32_e32 v7, v8, v3
	v_fma_f32 v0, -v0, v7, v4
	v_div_fmas_f32 v0, v0, v3, v7
	v_div_fixup_f32 v0, v0, v6, v5
	global_store_dword v[1:2], v0, off
.LBB47_6:
	s_endpgm
	.section	.rodata,"a",@progbits
	.p2align	6, 0x0
	.amdhsa_kernel _ZL33flash_attn_stream_k_fixup_uniformILi112ELi2ELi2EEvPfPK15HIP_vector_typeIfLj2EEiiiiiiS1_IjLj3EES5_S5_
		.amdhsa_group_segment_fixed_size 0
		.amdhsa_private_segment_fixed_size 0
		.amdhsa_kernarg_size 76
		.amdhsa_user_sgpr_count 6
		.amdhsa_user_sgpr_private_segment_buffer 1
		.amdhsa_user_sgpr_dispatch_ptr 0
		.amdhsa_user_sgpr_queue_ptr 0
		.amdhsa_user_sgpr_kernarg_segment_ptr 1
		.amdhsa_user_sgpr_dispatch_id 0
		.amdhsa_user_sgpr_flat_scratch_init 0
		.amdhsa_user_sgpr_private_segment_size 0
		.amdhsa_wavefront_size32 1
		.amdhsa_uses_dynamic_stack 0
		.amdhsa_system_sgpr_private_segment_wavefront_offset 0
		.amdhsa_system_sgpr_workgroup_id_x 1
		.amdhsa_system_sgpr_workgroup_id_y 1
		.amdhsa_system_sgpr_workgroup_id_z 1
		.amdhsa_system_sgpr_workgroup_info 0
		.amdhsa_system_vgpr_workitem_id 0
		.amdhsa_next_free_vgpr 15
		.amdhsa_next_free_sgpr 24
		.amdhsa_reserve_vcc 1
		.amdhsa_reserve_flat_scratch 0
		.amdhsa_float_round_mode_32 0
		.amdhsa_float_round_mode_16_64 0
		.amdhsa_float_denorm_mode_32 3
		.amdhsa_float_denorm_mode_16_64 3
		.amdhsa_dx10_clamp 1
		.amdhsa_ieee_mode 1
		.amdhsa_fp16_overflow 0
		.amdhsa_workgroup_processor_mode 1
		.amdhsa_memory_ordered 1
		.amdhsa_forward_progress 1
		.amdhsa_shared_vgpr_count 0
		.amdhsa_exception_fp_ieee_invalid_op 0
		.amdhsa_exception_fp_denorm_src 0
		.amdhsa_exception_fp_ieee_div_zero 0
		.amdhsa_exception_fp_ieee_overflow 0
		.amdhsa_exception_fp_ieee_underflow 0
		.amdhsa_exception_fp_ieee_inexact 0
		.amdhsa_exception_int_div_zero 0
	.end_amdhsa_kernel
	.section	.text._ZL33flash_attn_stream_k_fixup_uniformILi112ELi2ELi2EEvPfPK15HIP_vector_typeIfLj2EEiiiiiiS1_IjLj3EES5_S5_,"axG",@progbits,_ZL33flash_attn_stream_k_fixup_uniformILi112ELi2ELi2EEvPfPK15HIP_vector_typeIfLj2EEiiiiiiS1_IjLj3EES5_S5_,comdat
.Lfunc_end47:
	.size	_ZL33flash_attn_stream_k_fixup_uniformILi112ELi2ELi2EEvPfPK15HIP_vector_typeIfLj2EEiiiiiiS1_IjLj3EES5_S5_, .Lfunc_end47-_ZL33flash_attn_stream_k_fixup_uniformILi112ELi2ELi2EEvPfPK15HIP_vector_typeIfLj2EEiiiiiiS1_IjLj3EES5_S5_
                                        ; -- End function
	.set _ZL33flash_attn_stream_k_fixup_uniformILi112ELi2ELi2EEvPfPK15HIP_vector_typeIfLj2EEiiiiiiS1_IjLj3EES5_S5_.num_vgpr, 15
	.set _ZL33flash_attn_stream_k_fixup_uniformILi112ELi2ELi2EEvPfPK15HIP_vector_typeIfLj2EEiiiiiiS1_IjLj3EES5_S5_.num_agpr, 0
	.set _ZL33flash_attn_stream_k_fixup_uniformILi112ELi2ELi2EEvPfPK15HIP_vector_typeIfLj2EEiiiiiiS1_IjLj3EES5_S5_.numbered_sgpr, 24
	.set _ZL33flash_attn_stream_k_fixup_uniformILi112ELi2ELi2EEvPfPK15HIP_vector_typeIfLj2EEiiiiiiS1_IjLj3EES5_S5_.num_named_barrier, 0
	.set _ZL33flash_attn_stream_k_fixup_uniformILi112ELi2ELi2EEvPfPK15HIP_vector_typeIfLj2EEiiiiiiS1_IjLj3EES5_S5_.private_seg_size, 0
	.set _ZL33flash_attn_stream_k_fixup_uniformILi112ELi2ELi2EEvPfPK15HIP_vector_typeIfLj2EEiiiiiiS1_IjLj3EES5_S5_.uses_vcc, 1
	.set _ZL33flash_attn_stream_k_fixup_uniformILi112ELi2ELi2EEvPfPK15HIP_vector_typeIfLj2EEiiiiiiS1_IjLj3EES5_S5_.uses_flat_scratch, 0
	.set _ZL33flash_attn_stream_k_fixup_uniformILi112ELi2ELi2EEvPfPK15HIP_vector_typeIfLj2EEiiiiiiS1_IjLj3EES5_S5_.has_dyn_sized_stack, 0
	.set _ZL33flash_attn_stream_k_fixup_uniformILi112ELi2ELi2EEvPfPK15HIP_vector_typeIfLj2EEiiiiiiS1_IjLj3EES5_S5_.has_recursion, 0
	.set _ZL33flash_attn_stream_k_fixup_uniformILi112ELi2ELi2EEvPfPK15HIP_vector_typeIfLj2EEiiiiiiS1_IjLj3EES5_S5_.has_indirect_call, 0
	.section	.AMDGPU.csdata,"",@progbits
; Kernel info:
; codeLenInByte = 848
; TotalNumSgprs: 26
; NumVgprs: 15
; ScratchSize: 0
; MemoryBound: 0
; FloatMode: 240
; IeeeMode: 1
; LDSByteSize: 0 bytes/workgroup (compile time only)
; SGPRBlocks: 0
; VGPRBlocks: 1
; NumSGPRsForWavesPerEU: 26
; NumVGPRsForWavesPerEU: 15
; Occupancy: 16
; WaveLimiterHint : 0
; COMPUTE_PGM_RSRC2:SCRATCH_EN: 0
; COMPUTE_PGM_RSRC2:USER_SGPR: 6
; COMPUTE_PGM_RSRC2:TRAP_HANDLER: 0
; COMPUTE_PGM_RSRC2:TGID_X_EN: 1
; COMPUTE_PGM_RSRC2:TGID_Y_EN: 1
; COMPUTE_PGM_RSRC2:TGID_Z_EN: 1
; COMPUTE_PGM_RSRC2:TIDIG_COMP_CNT: 0
	.section	.text._ZL33flash_attn_stream_k_fixup_generalILi112ELi2ELi2EEvPfPK15HIP_vector_typeIfLj2EEiiiiS1_IjLj3EES5_S5_S5_,"axG",@progbits,_ZL33flash_attn_stream_k_fixup_generalILi112ELi2ELi2EEvPfPK15HIP_vector_typeIfLj2EEiiiiS1_IjLj3EES5_S5_S5_,comdat
	.globl	_ZL33flash_attn_stream_k_fixup_generalILi112ELi2ELi2EEvPfPK15HIP_vector_typeIfLj2EEiiiiS1_IjLj3EES5_S5_S5_ ; -- Begin function _ZL33flash_attn_stream_k_fixup_generalILi112ELi2ELi2EEvPfPK15HIP_vector_typeIfLj2EEiiiiS1_IjLj3EES5_S5_S5_
	.p2align	8
	.type	_ZL33flash_attn_stream_k_fixup_generalILi112ELi2ELi2EEvPfPK15HIP_vector_typeIfLj2EEiiiiS1_IjLj3EES5_S5_S5_,@function
_ZL33flash_attn_stream_k_fixup_generalILi112ELi2ELi2EEvPfPK15HIP_vector_typeIfLj2EEiiiiS1_IjLj3EES5_S5_S5_: ; @_ZL33flash_attn_stream_k_fixup_generalILi112ELi2ELi2EEvPfPK15HIP_vector_typeIfLj2EEiiiiS1_IjLj3EES5_S5_S5_
; %bb.0:
	s_clause 0x1
	s_load_dwordx4 s[0:3], s[4:5], 0x10
	s_load_dword s9, s[4:5], 0x50
	s_mov_b32 s16, 0
	s_waitcnt lgkmcnt(0)
	s_mul_hi_i32 s17, s3, s6
	s_mul_i32 s18, s3, s6
	s_cmp_lg_u64 s[16:17], 0
	s_cbranch_scc0 .LBB48_21
; %bb.1:
	s_add_u32 s10, s9, 0
	s_addc_u32 s11, 0, 0
	s_xor_b64 s[10:11], s[10:11], 0
	v_cvt_f32_u32_e32 v1, s10
	v_cvt_f32_u32_e32 v2, s11
	s_sub_u32 s14, 0, s10
	s_subb_u32 s15, 0, s11
	v_fmamk_f32 v1, v2, 0x4f800000, v1
	v_rcp_f32_e32 v1, v1
	v_mul_f32_e32 v1, 0x5f7ffffc, v1
	v_mul_f32_e32 v2, 0x2f800000, v1
	v_trunc_f32_e32 v2, v2
	v_fmamk_f32 v1, v2, 0xcf800000, v1
	v_cvt_u32_f32_e32 v2, v2
	v_cvt_u32_f32_e32 v1, v1
	v_readfirstlane_b32 s12, v2
	v_readfirstlane_b32 s13, v1
	s_mul_i32 s19, s14, s12
	s_mul_hi_u32 s21, s14, s13
	s_mul_i32 s20, s15, s13
	s_add_i32 s19, s21, s19
	s_mul_i32 s22, s14, s13
	s_add_i32 s19, s19, s20
	s_mul_hi_u32 s21, s13, s22
	s_mul_i32 s24, s13, s19
	s_mul_hi_u32 s23, s12, s22
	s_mul_i32 s20, s12, s22
	s_mul_hi_u32 s22, s13, s19
	s_add_u32 s21, s21, s24
	s_addc_u32 s22, 0, s22
	s_mul_hi_u32 s25, s12, s19
	s_add_u32 s20, s21, s20
	s_mul_i32 s19, s12, s19
	s_addc_u32 s20, s22, s23
	s_addc_u32 s21, s25, 0
	s_add_u32 s19, s20, s19
	s_addc_u32 s20, 0, s21
	s_add_u32 s13, s13, s19
	s_cselect_b32 s19, -1, 0
	s_mul_hi_u32 s21, s14, s13
	s_cmp_lg_u32 s19, 0
	s_mul_i32 s19, s14, s13
	s_addc_u32 s12, s12, s20
	s_mul_i32 s15, s15, s13
	s_mul_i32 s14, s14, s12
	s_mul_hi_u32 s20, s13, s19
	s_add_i32 s14, s21, s14
	s_mul_hi_u32 s21, s12, s19
	s_add_i32 s14, s14, s15
	s_mul_i32 s15, s12, s19
	s_mul_i32 s23, s13, s14
	s_mul_hi_u32 s22, s13, s14
	s_add_u32 s20, s20, s23
	s_addc_u32 s22, 0, s22
	s_mul_hi_u32 s19, s12, s14
	s_add_u32 s15, s20, s15
	s_mul_i32 s14, s12, s14
	s_addc_u32 s15, s22, s21
	s_addc_u32 s19, s19, 0
	s_add_u32 s14, s15, s14
	s_addc_u32 s15, 0, s19
	s_add_u32 s19, s13, s14
	s_cselect_b32 s13, -1, 0
	s_cmp_lg_u32 s13, 0
	s_addc_u32 s20, s12, s15
	s_ashr_i32 s12, s17, 31
	s_add_u32 s14, s18, s12
	s_mov_b32 s13, s12
	s_addc_u32 s15, s17, s12
	s_xor_b64 s[14:15], s[14:15], s[12:13]
	s_mul_i32 s21, s14, s20
	s_mul_hi_u32 s22, s14, s19
	s_mul_hi_u32 s17, s14, s20
	;; [unrolled: 1-line block ×3, first 2 shown]
	s_mul_i32 s19, s15, s19
	s_add_u32 s21, s22, s21
	s_addc_u32 s17, 0, s17
	s_mul_hi_u32 s23, s15, s20
	s_add_u32 s19, s21, s19
	s_mul_i32 s20, s15, s20
	s_addc_u32 s17, s17, s24
	s_addc_u32 s19, s23, 0
	s_add_u32 s17, s17, s20
	s_addc_u32 s19, 0, s19
	s_mul_hi_u32 s20, s10, s17
	s_mul_i32 s21, s10, s19
	s_mul_i32 s22, s11, s17
	s_add_i32 s20, s20, s21
	s_mul_i32 s21, s10, s17
	s_add_i32 s20, s20, s22
	s_sub_i32 s22, s15, s20
	s_sub_u32 s14, s14, s21
	s_cselect_b32 s21, -1, 0
	s_cmp_lg_u32 s21, 0
	s_subb_u32 s22, s22, s11
	s_sub_u32 s23, s14, s10
	s_cselect_b32 s24, -1, 0
	s_cmp_lg_u32 s24, 0
	s_subb_u32 s22, s22, 0
	s_cmp_ge_u32 s22, s11
	s_cselect_b32 s24, -1, 0
	s_cmp_ge_u32 s23, s10
	s_cselect_b32 s23, -1, 0
	s_cmp_eq_u32 s22, s11
	s_cselect_b32 s22, s23, s24
	s_add_u32 s23, s17, 1
	s_addc_u32 s24, s19, 0
	s_add_u32 s25, s17, 2
	s_addc_u32 s26, s19, 0
	s_cmp_lg_u32 s22, 0
	s_cselect_b32 s22, s25, s23
	s_cselect_b32 s23, s26, s24
	s_cmp_lg_u32 s21, 0
	s_subb_u32 s15, s15, s20
	s_cmp_ge_u32 s15, s11
	s_cselect_b32 s20, -1, 0
	s_cmp_ge_u32 s14, s10
	s_cselect_b32 s10, -1, 0
	s_cmp_eq_u32 s15, s11
	s_cselect_b32 s10, s10, s20
	s_cmp_lg_u32 s10, 0
	s_cselect_b32 s11, s23, s19
	s_cselect_b32 s10, s22, s17
	s_xor_b64 s[12:13], s[12:13], 0
	s_xor_b64 s[10:11], s[10:11], s[12:13]
	s_sub_u32 s10, s10, s12
	s_load_dwordx4 s[12:15], s[4:5], 0x44
	s_andn2_b32 vcc_lo, exec_lo, s16
	s_cbranch_vccnz .LBB48_3
.LBB48_2:
	v_cvt_f32_u32_e32 v1, s9
	s_sub_i32 s11, 0, s9
	v_rcp_iflag_f32_e32 v1, v1
	v_mul_f32_e32 v1, 0x4f7ffffe, v1
	v_cvt_u32_f32_e32 v1, v1
	v_readfirstlane_b32 s10, v1
	s_mul_i32 s11, s11, s10
	s_mul_hi_u32 s11, s10, s11
	s_add_i32 s10, s10, s11
	s_mul_hi_u32 s10, s18, s10
	s_mul_i32 s11, s10, s9
	s_waitcnt lgkmcnt(0)
	s_add_i32 s15, s10, 1
	s_sub_i32 s11, s18, s11
	s_sub_i32 s16, s11, s9
	s_cmp_ge_u32 s11, s9
	s_cselect_b32 s10, s15, s10
	s_cselect_b32 s11, s16, s11
	s_add_i32 s15, s10, 1
	s_cmp_ge_u32 s11, s9
	s_cselect_b32 s10, s15, s10
.LBB48_3:
	s_add_i32 s11, s6, 1
	s_mov_b32 s16, 0
	s_mul_hi_i32 s17, s3, s11
	s_mul_i32 s11, s3, s11
	s_cmp_lg_u64 s[16:17], 0
	s_cbranch_scc0 .LBB48_22
; %bb.4:
	s_add_u32 s18, s9, 0
	s_addc_u32 s19, 0, 0
	s_xor_b64 s[18:19], s[18:19], 0
	v_cvt_f32_u32_e32 v1, s18
	v_cvt_f32_u32_e32 v2, s19
	s_sub_u32 s21, 0, s18
	s_subb_u32 s22, 0, s19
	v_fmamk_f32 v1, v2, 0x4f800000, v1
	v_rcp_f32_e32 v1, v1
	v_mul_f32_e32 v1, 0x5f7ffffc, v1
	v_mul_f32_e32 v2, 0x2f800000, v1
	v_trunc_f32_e32 v2, v2
	v_fmamk_f32 v1, v2, 0xcf800000, v1
	v_cvt_u32_f32_e32 v2, v2
	v_cvt_u32_f32_e32 v1, v1
	s_waitcnt lgkmcnt(0)
	v_readfirstlane_b32 s15, v2
	v_readfirstlane_b32 s20, v1
	s_mul_i32 s23, s21, s15
	s_mul_hi_u32 s25, s21, s20
	s_mul_i32 s24, s22, s20
	s_add_i32 s23, s25, s23
	s_mul_i32 s26, s21, s20
	s_add_i32 s23, s23, s24
	s_mul_hi_u32 s25, s20, s26
	s_mul_i32 s28, s20, s23
	s_mul_hi_u32 s27, s15, s26
	s_mul_i32 s24, s15, s26
	s_mul_hi_u32 s26, s20, s23
	s_add_u32 s25, s25, s28
	s_addc_u32 s26, 0, s26
	s_mul_hi_u32 s29, s15, s23
	s_add_u32 s24, s25, s24
	s_mul_i32 s23, s15, s23
	s_addc_u32 s24, s26, s27
	s_addc_u32 s25, s29, 0
	s_add_u32 s23, s24, s23
	s_addc_u32 s24, 0, s25
	s_add_u32 s20, s20, s23
	s_cselect_b32 s23, -1, 0
	s_mul_hi_u32 s25, s21, s20
	s_cmp_lg_u32 s23, 0
	s_mul_i32 s23, s21, s20
	s_addc_u32 s15, s15, s24
	s_mul_i32 s22, s22, s20
	s_mul_i32 s21, s21, s15
	s_mul_hi_u32 s24, s20, s23
	s_add_i32 s21, s25, s21
	s_mul_hi_u32 s25, s15, s23
	s_add_i32 s21, s21, s22
	s_mul_i32 s22, s15, s23
	s_mul_i32 s27, s20, s21
	s_mul_hi_u32 s26, s20, s21
	s_add_u32 s24, s24, s27
	s_addc_u32 s26, 0, s26
	s_mul_hi_u32 s23, s15, s21
	s_add_u32 s22, s24, s22
	s_mul_i32 s21, s15, s21
	s_addc_u32 s22, s26, s25
	s_addc_u32 s23, s23, 0
	s_add_u32 s21, s22, s21
	s_addc_u32 s22, 0, s23
	s_add_u32 s24, s20, s21
	s_cselect_b32 s20, -1, 0
	s_cmp_lg_u32 s20, 0
	s_addc_u32 s15, s15, s22
	s_ashr_i32 s20, s17, 31
	s_add_u32 s22, s11, s20
	s_mov_b32 s21, s20
	s_addc_u32 s23, s17, s20
	s_xor_b64 s[22:23], s[22:23], s[20:21]
	s_mul_i32 s25, s22, s15
	s_mul_hi_u32 s26, s22, s24
	s_mul_hi_u32 s17, s22, s15
	;; [unrolled: 1-line block ×3, first 2 shown]
	s_mul_i32 s24, s23, s24
	s_add_u32 s25, s26, s25
	s_addc_u32 s17, 0, s17
	s_mul_hi_u32 s27, s23, s15
	s_add_u32 s24, s25, s24
	s_mul_i32 s15, s23, s15
	s_addc_u32 s17, s17, s28
	s_addc_u32 s24, s27, 0
	s_add_u32 s15, s17, s15
	s_addc_u32 s17, 0, s24
	s_mul_hi_u32 s24, s18, s15
	s_mul_i32 s25, s18, s17
	s_mul_i32 s26, s19, s15
	s_add_i32 s24, s24, s25
	s_mul_i32 s25, s18, s15
	s_add_i32 s24, s24, s26
	s_sub_i32 s26, s23, s24
	s_sub_u32 s22, s22, s25
	s_cselect_b32 s25, -1, 0
	s_cmp_lg_u32 s25, 0
	s_subb_u32 s26, s26, s19
	s_sub_u32 s27, s22, s18
	s_cselect_b32 s28, -1, 0
	s_cmp_lg_u32 s28, 0
	s_subb_u32 s26, s26, 0
	s_cmp_ge_u32 s26, s19
	s_cselect_b32 s28, -1, 0
	s_cmp_ge_u32 s27, s18
	s_cselect_b32 s27, -1, 0
	s_cmp_eq_u32 s26, s19
	s_cselect_b32 s26, s27, s28
	s_add_u32 s27, s15, 1
	s_addc_u32 s28, s17, 0
	s_add_u32 s29, s15, 2
	s_addc_u32 s30, s17, 0
	s_cmp_lg_u32 s26, 0
	s_cselect_b32 s26, s29, s27
	s_cselect_b32 s27, s30, s28
	s_cmp_lg_u32 s25, 0
	s_subb_u32 s23, s23, s24
	s_cmp_ge_u32 s23, s19
	s_cselect_b32 s24, -1, 0
	s_cmp_ge_u32 s22, s18
	s_cselect_b32 s18, -1, 0
	s_cmp_eq_u32 s23, s19
	s_cselect_b32 s18, s18, s24
	s_cmp_lg_u32 s18, 0
	s_cselect_b32 s19, s27, s17
	s_cselect_b32 s18, s26, s15
	s_xor_b64 s[20:21], s[20:21], 0
	s_xor_b64 s[18:19], s[18:19], s[20:21]
	s_sub_u32 s18, s18, s20
	s_andn2_b32 vcc_lo, exec_lo, s16
	s_cbranch_vccnz .LBB48_6
.LBB48_5:
	v_cvt_f32_u32_e32 v1, s9
	s_sub_i32 s16, 0, s9
	v_rcp_iflag_f32_e32 v1, v1
	v_mul_f32_e32 v1, 0x4f7ffffe, v1
	v_cvt_u32_f32_e32 v1, v1
	s_waitcnt lgkmcnt(0)
	v_readfirstlane_b32 s15, v1
	s_mul_i32 s16, s16, s15
	s_mul_hi_u32 s16, s15, s16
	s_add_i32 s15, s15, s16
	s_mul_hi_u32 s15, s11, s15
	s_mul_i32 s16, s15, s9
	s_sub_i32 s11, s11, s16
	s_add_i32 s16, s15, 1
	s_sub_i32 s17, s11, s9
	s_cmp_ge_u32 s11, s9
	s_cselect_b32 s15, s16, s15
	s_cselect_b32 s11, s17, s11
	s_add_i32 s16, s15, 1
	s_cmp_ge_u32 s11, s9
	s_cselect_b32 s18, s16, s15
.LBB48_6:
	s_cmp_eq_u32 s10, s18
	s_waitcnt lgkmcnt(0)
	s_mul_hi_u32 s11, s10, s12
	s_cselect_b32 s15, -1, 0
	s_add_i32 s11, s11, s10
	s_lshr_b32 s11, s11, s13
	s_mul_i32 s16, s11, s14
	s_cmp_eq_u32 s16, s10
	s_mul_hi_u32 s16, s18, s12
	s_cselect_b32 s17, -1, 0
	s_add_i32 s16, s16, s18
	s_lshr_b32 s16, s16, s13
	s_cmp_eq_u32 s11, s16
	s_mul_i32 s16, s16, s14
	s_cselect_b32 s19, -1, 0
	s_cmp_lg_u32 s16, s18
	s_cselect_b32 s16, -1, 0
	s_or_b32 s15, s15, s17
	s_and_b32 s16, s19, s16
	s_or_b32 s15, s15, s16
	s_and_b32 vcc_lo, exec_lo, s15
	s_cbranch_vccnz .LBB48_24
; %bb.7:
	s_clause 0x1
	s_load_dwordx8 s[20:27], s[4:5], 0x20
	s_load_dword s16, s[4:5], 0x40
	s_waitcnt lgkmcnt(0)
	s_mul_hi_u32 s15, s10, s20
	s_add_i32 s15, s15, s10
	s_lshr_b32 s15, s15, s21
	s_mul_i32 s17, s15, s22
	s_sub_i32 s17, s10, s17
	s_mul_hi_u32 s18, s17, s23
	s_add_i32 s18, s17, s18
	s_lshr_b32 s21, s18, s24
	s_mul_i32 s18, s21, s25
	s_sub_i32 s17, s17, s18
	s_mul_hi_u32 s18, s17, s26
	s_add_i32 s18, s17, s18
	s_lshr_b32 s18, s18, s27
	s_mul_i32 s16, s18, s16
	s_lshl_b32 s22, s18, 1
	s_sub_i32 s16, s17, s16
	s_mul_hi_u32 s17, s16, s12
	s_add_i32 s16, s16, s17
	s_lshr_b32 s20, s16, s13
	s_lshl_b32 s16, s20, 1
	s_add_i32 s16, s16, s7
	s_cmp_lt_i32 s16, s0
	s_cselect_b32 s16, -1, 0
	s_add_i32 s22, s22, s8
	s_cmp_lt_i32 s22, s2
	s_cselect_b32 s17, -1, 0
	s_and_b32 s16, s16, s17
	s_andn2_b32 vcc_lo, exec_lo, s16
	s_cbranch_vccnz .LBB48_24
; %bb.8:
	s_load_dwordx4 s[16:19], s[4:5], 0x0
	s_mov_b32 s4, 0
	s_lshl_b32 s24, s9, 4
	s_mov_b32 s25, s4
	s_lshl_b32 s5, s7, 1
	s_lshl_b64 s[24:25], s[24:25], 2
	s_mul_i32 s21, s21, s2
	s_mul_i32 s0, s15, s0
	s_add_i32 s2, s5, s8
	v_cvt_f32_u32_e32 v3, s9
	v_rcp_iflag_f32_e32 v3, v3
	s_waitcnt lgkmcnt(0)
	s_add_u32 s8, s18, s24
	s_addc_u32 s15, s19, s25
	s_add_i32 s0, s0, s7
	s_add_i32 s5, s22, s21
	s_mul_i32 s0, s0, s1
	s_mul_i32 s1, s1, s20
	s_add_i32 s0, s5, s0
	s_mulk_i32 s1, 0xe0
	s_mulk_i32 s0, 0x70
	v_mul_f32_e32 v7, 0x4f7ffffe, v3
	v_add3_u32 v1, s1, s0, v0
	s_lshl_b32 s0, s6, 2
	s_add_i32 s0, s2, s0
	v_ashrrev_i32_e32 v2, 31, v1
	s_ashr_i32 s1, s0, 31
	s_lshl_b64 s[0:1], s[0:1], 3
	v_lshlrev_b64 v[1:2], 2, v[1:2]
	s_add_u32 s0, s18, s0
	s_addc_u32 s1, s19, s1
	s_load_dwordx2 s[0:1], s[0:1], 0x0
	v_add_co_u32 v1, vcc_lo, s16, v1
	v_add_co_ci_u32_e64 v2, null, s17, v2, vcc_lo
	s_add_i32 s17, s6, -1
	v_mad_u64_u32 v[3:4], null, 0x70, s2, v[0:1]
	global_load_dword v5, v[1:2], off
	v_cvt_u32_f32_e32 v0, v7
	s_sub_i32 s16, 0, s9
	s_waitcnt lgkmcnt(0)
	v_mov_b32_e32 v4, s1
	v_mov_b32_e32 v6, s0
.LBB48_9:                               ; =>This Inner Loop Header: Depth=1
	s_mul_hi_i32 s5, s17, s3
	s_mul_i32 s6, s17, s3
	s_cmp_lg_u64 s[4:5], 0
	s_mov_b32 s7, -1
                                        ; implicit-def: $sgpr0_sgpr1
	s_cbranch_scc0 .LBB48_11
; %bb.10:                               ;   in Loop: Header=BB48_9 Depth=1
	s_add_u32 s0, s9, 0
	s_addc_u32 s1, 0, 0
	s_xor_b64 s[0:1], s[0:1], 0
	v_cvt_f32_u32_e32 v7, s0
	v_cvt_f32_u32_e32 v8, s1
	s_sub_u32 s21, 0, s0
	s_subb_u32 s22, 0, s1
	v_fmac_f32_e32 v7, 0x4f800000, v8
	v_rcp_f32_e32 v7, v7
	v_mul_f32_e32 v7, 0x5f7ffffc, v7
	v_mul_f32_e32 v8, 0x2f800000, v7
	v_trunc_f32_e32 v8, v8
	v_fmac_f32_e32 v7, 0xcf800000, v8
	v_cvt_u32_f32_e32 v8, v8
	v_cvt_u32_f32_e32 v7, v7
	v_readfirstlane_b32 s7, v8
	v_readfirstlane_b32 s20, v7
	s_mul_i32 s23, s21, s7
	s_mul_hi_u32 s25, s21, s20
	s_mul_i32 s24, s22, s20
	s_add_i32 s23, s25, s23
	s_mul_i32 s26, s21, s20
	s_add_i32 s23, s23, s24
	s_mul_hi_u32 s25, s20, s26
	s_mul_i32 s28, s20, s23
	s_mul_hi_u32 s27, s7, s26
	s_mul_i32 s24, s7, s26
	s_mul_hi_u32 s26, s20, s23
	s_add_u32 s25, s25, s28
	s_addc_u32 s26, 0, s26
	s_mul_hi_u32 s29, s7, s23
	s_add_u32 s24, s25, s24
	s_mul_i32 s23, s7, s23
	s_addc_u32 s24, s26, s27
	s_addc_u32 s25, s29, 0
	s_add_u32 s23, s24, s23
	s_addc_u32 s24, 0, s25
	s_add_u32 s20, s20, s23
	s_cselect_b32 s23, -1, 0
	s_mul_hi_u32 s25, s21, s20
	s_cmp_lg_u32 s23, 0
	s_mul_i32 s23, s21, s20
	s_addc_u32 s7, s7, s24
	s_mul_i32 s22, s22, s20
	s_mul_i32 s21, s21, s7
	s_mul_hi_u32 s24, s20, s23
	s_add_i32 s21, s25, s21
	s_mul_hi_u32 s25, s7, s23
	s_add_i32 s21, s21, s22
	s_mul_i32 s22, s7, s23
	s_mul_i32 s27, s20, s21
	s_mul_hi_u32 s26, s20, s21
	s_add_u32 s24, s24, s27
	s_addc_u32 s26, 0, s26
	s_mul_hi_u32 s23, s7, s21
	s_add_u32 s22, s24, s22
	s_mul_i32 s21, s7, s21
	s_addc_u32 s22, s26, s25
	s_addc_u32 s23, s23, 0
	s_add_u32 s21, s22, s21
	s_addc_u32 s22, 0, s23
	s_add_u32 s24, s20, s21
	s_cselect_b32 s20, -1, 0
	s_cmp_lg_u32 s20, 0
	s_addc_u32 s7, s7, s22
	s_ashr_i32 s20, s5, 31
	s_add_u32 s22, s6, s20
	s_mov_b32 s21, s20
	s_addc_u32 s23, s5, s20
	s_xor_b64 s[22:23], s[22:23], s[20:21]
	s_mul_i32 s25, s22, s7
	s_mul_hi_u32 s26, s22, s24
	s_mul_hi_u32 s5, s22, s7
	;; [unrolled: 1-line block ×3, first 2 shown]
	s_mul_i32 s24, s23, s24
	s_add_u32 s25, s26, s25
	s_addc_u32 s5, 0, s5
	s_mul_hi_u32 s27, s23, s7
	s_add_u32 s24, s25, s24
	s_mul_i32 s7, s23, s7
	s_addc_u32 s5, s5, s28
	s_addc_u32 s24, s27, 0
	s_add_u32 s5, s5, s7
	s_addc_u32 s7, 0, s24
	s_mul_hi_u32 s24, s0, s5
	s_mul_i32 s25, s0, s7
	s_mul_i32 s26, s1, s5
	s_add_i32 s24, s24, s25
	s_mul_i32 s25, s0, s5
	s_add_i32 s24, s24, s26
	s_sub_i32 s26, s23, s24
	s_sub_u32 s22, s22, s25
	s_cselect_b32 s25, -1, 0
	s_cmp_lg_u32 s25, 0
	s_subb_u32 s26, s26, s1
	s_sub_u32 s27, s22, s0
	s_cselect_b32 s28, -1, 0
	s_cmp_lg_u32 s28, 0
	s_subb_u32 s26, s26, 0
	s_cmp_ge_u32 s26, s1
	s_cselect_b32 s28, -1, 0
	s_cmp_ge_u32 s27, s0
	s_cselect_b32 s27, -1, 0
	s_cmp_eq_u32 s26, s1
	s_cselect_b32 s26, s27, s28
	s_add_u32 s27, s5, 1
	s_addc_u32 s28, s7, 0
	s_add_u32 s29, s5, 2
	s_addc_u32 s30, s7, 0
	s_cmp_lg_u32 s26, 0
	s_cselect_b32 s26, s29, s27
	s_cselect_b32 s27, s30, s28
	s_cmp_lg_u32 s25, 0
	s_subb_u32 s23, s23, s24
	s_cmp_ge_u32 s23, s1
	s_cselect_b32 s24, -1, 0
	s_cmp_ge_u32 s22, s0
	s_cselect_b32 s0, -1, 0
	s_cmp_eq_u32 s23, s1
	s_cselect_b32 s0, s0, s24
	s_cmp_lg_u32 s0, 0
	s_cselect_b32 s1, s27, s7
	s_cselect_b32 s0, s26, s5
	s_xor_b64 s[20:21], s[20:21], 0
	s_mov_b32 s7, 0
	s_xor_b64 s[0:1], s[0:1], s[20:21]
	s_sub_u32 s0, s0, s20
.LBB48_11:                              ;   in Loop: Header=BB48_9 Depth=1
	s_andn2_b32 vcc_lo, exec_lo, s7
	s_cbranch_vccnz .LBB48_13
; %bb.12:                               ;   in Loop: Header=BB48_9 Depth=1
	v_readfirstlane_b32 s0, v0
	s_mul_i32 s1, s16, s0
	s_mul_hi_u32 s1, s0, s1
	s_add_i32 s0, s0, s1
	s_mul_hi_u32 s0, s6, s0
	s_mul_i32 s1, s0, s9
	s_add_i32 s5, s0, 1
	s_sub_i32 s1, s6, s1
	s_sub_i32 s6, s1, s9
	s_cmp_ge_u32 s1, s9
	s_cselect_b32 s0, s5, s0
	s_cselect_b32 s1, s6, s1
	s_add_i32 s5, s0, 1
	s_cmp_ge_u32 s1, s9
	s_cselect_b32 s0, s5, s0
.LBB48_13:                              ;   in Loop: Header=BB48_9 Depth=1
	s_cmp_lg_u32 s10, s0
	s_mov_b32 s6, -1
                                        ; implicit-def: $sgpr5
                                        ; implicit-def: $vgpr8
                                        ; implicit-def: $vgpr7
                                        ; implicit-def: $vgpr9
                                        ; implicit-def: $sgpr1
                                        ; implicit-def: $sgpr20
	s_cbranch_scc0 .LBB48_18
; %bb.14:                               ;   in Loop: Header=BB48_9 Depth=1
	s_add_i32 s1, s17, s9
	s_mov_b32 s7, s4
	s_lshl_b32 s1, s1, 2
	s_mov_b32 s20, s10
	s_add_i32 s6, s1, s2
	s_mul_hi_u32 s1, s0, s12
	s_lshl_b64 s[6:7], s[6:7], 3
	s_add_u32 s6, s18, s6
	s_addc_u32 s7, s19, s7
	s_add_i32 s1, s1, s0
	s_lshr_b32 s1, s1, s13
	s_mul_i32 s5, s1, s14
	s_cmp_eq_u32 s5, s0
	s_cselect_b32 s5, -1, 0
	s_cmp_lt_u32 s1, s11
	s_cselect_b32 s1, -1, 0
	s_or_b32 s1, s1, s5
	s_mov_b32 s5, -1
	s_and_b32 vcc_lo, exec_lo, s1
	s_mov_b32 s1, s17
	s_cbranch_vccnz .LBB48_16
; %bb.15:                               ;   in Loop: Header=BB48_9 Depth=1
	s_add_i32 s1, s17, -1
	s_mov_b32 s5, 0
	s_mov_b32 s20, s0
.LBB48_16:                              ;   in Loop: Header=BB48_9 Depth=1
	v_mad_u64_u32 v[7:8], null, 0x1c0, s17, v[3:4]
	s_load_dwordx2 s[6:7], s[6:7], 0x0
	v_ashrrev_i32_e32 v8, 31, v7
	v_lshlrev_b64 v[7:8], 2, v[7:8]
	v_add_co_u32 v7, vcc_lo, s8, v7
	v_add_co_ci_u32_e64 v8, null, s15, v8, vcc_lo
	s_waitcnt lgkmcnt(0)
	v_max_f32_e64 v9, s6, s6
	global_load_dword v8, v[7:8], off
	v_max_f32_e32 v7, v6, v6
	v_max_f32_e32 v7, v7, v9
	v_sub_f32_e32 v9, s6, v7
	v_sub_f32_e32 v10, v6, v7
	v_mul_f32_e32 v11, 0x3fb8aa3b, v9
	v_mul_f32_e32 v12, 0x3fb8aa3b, v10
	v_cmp_ngt_f32_e32 vcc_lo, 0xc2ce8ed0, v9
	v_fma_f32 v13, 0x3fb8aa3b, v9, -v11
	v_rndne_f32_e32 v14, v11
	v_fma_f32 v15, 0x3fb8aa3b, v10, -v12
	v_rndne_f32_e32 v16, v12
	v_fmac_f32_e32 v13, 0x32a5705f, v9
	v_sub_f32_e32 v11, v11, v14
	v_fmac_f32_e32 v15, 0x32a5705f, v10
	v_sub_f32_e32 v12, v12, v16
	v_add_f32_e32 v11, v11, v13
	v_cvt_i32_f32_e32 v13, v14
	v_add_f32_e32 v12, v12, v15
	v_cvt_i32_f32_e32 v14, v16
	v_exp_f32_e32 v11, v11
	v_exp_f32_e32 v12, v12
	v_ldexp_f32 v11, v11, v13
	v_ldexp_f32 v12, v12, v14
	v_cndmask_b32_e32 v11, 0, v11, vcc_lo
	v_cmp_ngt_f32_e32 vcc_lo, 0xc2ce8ed0, v10
	v_cndmask_b32_e32 v12, 0, v12, vcc_lo
	v_cmp_nlt_f32_e32 vcc_lo, 0x42b17218, v9
	v_cndmask_b32_e32 v11, 0x7f800000, v11, vcc_lo
	v_cmp_nlt_f32_e32 vcc_lo, 0x42b17218, v10
	v_cndmask_b32_e32 v12, 0x7f800000, v12, vcc_lo
	v_cmp_le_f32_e32 vcc_lo, 0xc1a00000, v9
	v_cndmask_b32_e32 v9, 0, v11, vcc_lo
	v_cmp_le_f32_e32 vcc_lo, 0xc1a00000, v10
	v_cndmask_b32_e32 v10, 0, v12, vcc_lo
	s_waitcnt vmcnt(0)
	v_mul_f32_e32 v8, v8, v9
	v_mul_f32_e32 v9, s7, v9
	v_fmac_f32_e32 v8, v5, v10
	v_fmac_f32_e32 v9, v4, v10
	s_cbranch_execz .LBB48_19
.LBB48_17:                              ;   in Loop: Header=BB48_9 Depth=1
	s_andn2_b32 vcc_lo, exec_lo, s5
	s_cbranch_vccnz .LBB48_20
	s_branch .LBB48_23
.LBB48_18:                              ;   in Loop: Header=BB48_9 Depth=1
	s_andn2_b32 vcc_lo, exec_lo, s6
	s_cbranch_vccnz .LBB48_17
.LBB48_19:                              ;   in Loop: Header=BB48_9 Depth=1
	v_mov_b32_e32 v9, v4
	v_mov_b32_e32 v7, v6
	s_waitcnt vmcnt(0)
	v_mov_b32_e32 v8, v5
	s_add_i32 s1, s17, -1
	s_mov_b32 s20, s10
	s_cbranch_execz .LBB48_23
.LBB48_20:                              ;   in Loop: Header=BB48_9 Depth=1
	v_mov_b32_e32 v4, v9
	v_mov_b32_e32 v6, v7
	s_waitcnt vmcnt(0)
	v_mov_b32_e32 v5, v8
	s_mov_b32 s10, s20
	s_mov_b32 s17, s1
	s_branch .LBB48_9
.LBB48_21:
                                        ; implicit-def: $sgpr10_sgpr11
	s_load_dwordx4 s[12:15], s[4:5], 0x44
	s_branch .LBB48_2
.LBB48_22:
                                        ; implicit-def: $sgpr18_sgpr19
	s_branch .LBB48_5
.LBB48_23:
	v_div_scale_f32 v0, null, v9, v9, v8
	v_rcp_f32_e32 v3, v0
	v_fma_f32 v4, -v0, v3, 1.0
	v_fmac_f32_e32 v3, v4, v3
	v_div_scale_f32 v4, vcc_lo, v8, v9, v8
	s_waitcnt vmcnt(0)
	v_mul_f32_e32 v5, v4, v3
	v_fma_f32 v6, -v0, v5, v4
	v_fmac_f32_e32 v5, v6, v3
	v_fma_f32 v0, -v0, v5, v4
	v_div_fmas_f32 v0, v0, v3, v5
	v_div_fixup_f32 v0, v0, v9, v8
	global_store_dword v[1:2], v0, off
.LBB48_24:
	s_endpgm
	.section	.rodata,"a",@progbits
	.p2align	6, 0x0
	.amdhsa_kernel _ZL33flash_attn_stream_k_fixup_generalILi112ELi2ELi2EEvPfPK15HIP_vector_typeIfLj2EEiiiiS1_IjLj3EES5_S5_S5_
		.amdhsa_group_segment_fixed_size 0
		.amdhsa_private_segment_fixed_size 0
		.amdhsa_kernarg_size 336
		.amdhsa_user_sgpr_count 6
		.amdhsa_user_sgpr_private_segment_buffer 1
		.amdhsa_user_sgpr_dispatch_ptr 0
		.amdhsa_user_sgpr_queue_ptr 0
		.amdhsa_user_sgpr_kernarg_segment_ptr 1
		.amdhsa_user_sgpr_dispatch_id 0
		.amdhsa_user_sgpr_flat_scratch_init 0
		.amdhsa_user_sgpr_private_segment_size 0
		.amdhsa_wavefront_size32 1
		.amdhsa_uses_dynamic_stack 0
		.amdhsa_system_sgpr_private_segment_wavefront_offset 0
		.amdhsa_system_sgpr_workgroup_id_x 1
		.amdhsa_system_sgpr_workgroup_id_y 1
		.amdhsa_system_sgpr_workgroup_id_z 1
		.amdhsa_system_sgpr_workgroup_info 0
		.amdhsa_system_vgpr_workitem_id 0
		.amdhsa_next_free_vgpr 17
		.amdhsa_next_free_sgpr 31
		.amdhsa_reserve_vcc 1
		.amdhsa_reserve_flat_scratch 0
		.amdhsa_float_round_mode_32 0
		.amdhsa_float_round_mode_16_64 0
		.amdhsa_float_denorm_mode_32 3
		.amdhsa_float_denorm_mode_16_64 3
		.amdhsa_dx10_clamp 1
		.amdhsa_ieee_mode 1
		.amdhsa_fp16_overflow 0
		.amdhsa_workgroup_processor_mode 1
		.amdhsa_memory_ordered 1
		.amdhsa_forward_progress 1
		.amdhsa_shared_vgpr_count 0
		.amdhsa_exception_fp_ieee_invalid_op 0
		.amdhsa_exception_fp_denorm_src 0
		.amdhsa_exception_fp_ieee_div_zero 0
		.amdhsa_exception_fp_ieee_overflow 0
		.amdhsa_exception_fp_ieee_underflow 0
		.amdhsa_exception_fp_ieee_inexact 0
		.amdhsa_exception_int_div_zero 0
	.end_amdhsa_kernel
	.section	.text._ZL33flash_attn_stream_k_fixup_generalILi112ELi2ELi2EEvPfPK15HIP_vector_typeIfLj2EEiiiiS1_IjLj3EES5_S5_S5_,"axG",@progbits,_ZL33flash_attn_stream_k_fixup_generalILi112ELi2ELi2EEvPfPK15HIP_vector_typeIfLj2EEiiiiS1_IjLj3EES5_S5_S5_,comdat
.Lfunc_end48:
	.size	_ZL33flash_attn_stream_k_fixup_generalILi112ELi2ELi2EEvPfPK15HIP_vector_typeIfLj2EEiiiiS1_IjLj3EES5_S5_S5_, .Lfunc_end48-_ZL33flash_attn_stream_k_fixup_generalILi112ELi2ELi2EEvPfPK15HIP_vector_typeIfLj2EEiiiiS1_IjLj3EES5_S5_S5_
                                        ; -- End function
	.set _ZL33flash_attn_stream_k_fixup_generalILi112ELi2ELi2EEvPfPK15HIP_vector_typeIfLj2EEiiiiS1_IjLj3EES5_S5_S5_.num_vgpr, 17
	.set _ZL33flash_attn_stream_k_fixup_generalILi112ELi2ELi2EEvPfPK15HIP_vector_typeIfLj2EEiiiiS1_IjLj3EES5_S5_S5_.num_agpr, 0
	.set _ZL33flash_attn_stream_k_fixup_generalILi112ELi2ELi2EEvPfPK15HIP_vector_typeIfLj2EEiiiiS1_IjLj3EES5_S5_S5_.numbered_sgpr, 31
	.set _ZL33flash_attn_stream_k_fixup_generalILi112ELi2ELi2EEvPfPK15HIP_vector_typeIfLj2EEiiiiS1_IjLj3EES5_S5_S5_.num_named_barrier, 0
	.set _ZL33flash_attn_stream_k_fixup_generalILi112ELi2ELi2EEvPfPK15HIP_vector_typeIfLj2EEiiiiS1_IjLj3EES5_S5_S5_.private_seg_size, 0
	.set _ZL33flash_attn_stream_k_fixup_generalILi112ELi2ELi2EEvPfPK15HIP_vector_typeIfLj2EEiiiiS1_IjLj3EES5_S5_S5_.uses_vcc, 1
	.set _ZL33flash_attn_stream_k_fixup_generalILi112ELi2ELi2EEvPfPK15HIP_vector_typeIfLj2EEiiiiS1_IjLj3EES5_S5_S5_.uses_flat_scratch, 0
	.set _ZL33flash_attn_stream_k_fixup_generalILi112ELi2ELi2EEvPfPK15HIP_vector_typeIfLj2EEiiiiS1_IjLj3EES5_S5_S5_.has_dyn_sized_stack, 0
	.set _ZL33flash_attn_stream_k_fixup_generalILi112ELi2ELi2EEvPfPK15HIP_vector_typeIfLj2EEiiiiS1_IjLj3EES5_S5_S5_.has_recursion, 0
	.set _ZL33flash_attn_stream_k_fixup_generalILi112ELi2ELi2EEvPfPK15HIP_vector_typeIfLj2EEiiiiS1_IjLj3EES5_S5_S5_.has_indirect_call, 0
	.section	.AMDGPU.csdata,"",@progbits
; Kernel info:
; codeLenInByte = 2948
; TotalNumSgprs: 33
; NumVgprs: 17
; ScratchSize: 0
; MemoryBound: 0
; FloatMode: 240
; IeeeMode: 1
; LDSByteSize: 0 bytes/workgroup (compile time only)
; SGPRBlocks: 0
; VGPRBlocks: 2
; NumSGPRsForWavesPerEU: 33
; NumVGPRsForWavesPerEU: 17
; Occupancy: 16
; WaveLimiterHint : 0
; COMPUTE_PGM_RSRC2:SCRATCH_EN: 0
; COMPUTE_PGM_RSRC2:USER_SGPR: 6
; COMPUTE_PGM_RSRC2:TRAP_HANDLER: 0
; COMPUTE_PGM_RSRC2:TGID_X_EN: 1
; COMPUTE_PGM_RSRC2:TGID_Y_EN: 1
; COMPUTE_PGM_RSRC2:TGID_Z_EN: 1
; COMPUTE_PGM_RSRC2:TIDIG_COMP_CNT: 0
	.section	.text._ZL15flash_attn_tileILi112ELi112ELi1ELi2ELb0EEvPKcS1_S1_S1_S1_PKiPfP15HIP_vector_typeIfLj2EEffffjfiS5_IjLj3EEiiiiiiiiiiiliiliiiiil,"axG",@progbits,_ZL15flash_attn_tileILi112ELi112ELi1ELi2ELb0EEvPKcS1_S1_S1_S1_PKiPfP15HIP_vector_typeIfLj2EEffffjfiS5_IjLj3EEiiiiiiiiiiiliiliiiiil,comdat
	.globl	_ZL15flash_attn_tileILi112ELi112ELi1ELi2ELb0EEvPKcS1_S1_S1_S1_PKiPfP15HIP_vector_typeIfLj2EEffffjfiS5_IjLj3EEiiiiiiiiiiiliiliiiiil ; -- Begin function _ZL15flash_attn_tileILi112ELi112ELi1ELi2ELb0EEvPKcS1_S1_S1_S1_PKiPfP15HIP_vector_typeIfLj2EEffffjfiS5_IjLj3EEiiiiiiiiiiiliiliiiiil
	.p2align	8
	.type	_ZL15flash_attn_tileILi112ELi112ELi1ELi2ELb0EEvPKcS1_S1_S1_S1_PKiPfP15HIP_vector_typeIfLj2EEffffjfiS5_IjLj3EEiiiiiiiiiiiliiliiiiil,@function
_ZL15flash_attn_tileILi112ELi112ELi1ELi2ELb0EEvPKcS1_S1_S1_S1_PKiPfP15HIP_vector_typeIfLj2EEffffjfiS5_IjLj3EEiiiiiiiiiiiliiliiiiil: ; @_ZL15flash_attn_tileILi112ELi112ELi1ELi2ELb0EEvPKcS1_S1_S1_S1_PKiPfP15HIP_vector_typeIfLj2EEffffjfiS5_IjLj3EEiiiiiiiiiiiliiliiiiil
; %bb.0:
	s_clause 0x1
	s_load_dwordx4 s[24:27], s[4:5], 0x5c
	s_load_dwordx2 s[36:37], s[4:5], 0x80
	s_mov_b32 s34, s7
	s_mov_b64 s[38:39], 0
	s_waitcnt lgkmcnt(0)
	s_lshr_b32 s0, s27, 31
	s_add_i32 s0, s27, s0
	s_ashr_i32 s0, s0, 1
	v_cvt_f32_u32_e32 v2, s0
	s_sub_i32 s2, 0, s0
	v_rcp_iflag_f32_e32 v2, v2
	v_mul_f32_e32 v2, 0x4f7ffffe, v2
	v_cvt_u32_f32_e32 v2, v2
	v_readfirstlane_b32 s1, v2
	s_mul_i32 s2, s2, s1
	s_mul_hi_u32 s2, s1, s2
	s_add_i32 s1, s1, s2
	s_mul_hi_u32 s1, s8, s1
	s_mul_i32 s2, s1, s0
	s_add_i32 s3, s1, 1
	s_sub_i32 s2, s8, s2
	s_sub_i32 s7, s2, s0
	s_cmp_ge_u32 s2, s0
	s_cselect_b32 s1, s3, s1
	s_cselect_b32 s2, s7, s2
	s_add_i32 s3, s1, 1
	s_cmp_ge_u32 s2, s0
	s_cselect_b32 s33, s3, s1
	s_abs_i32 s0, s37
	s_abs_i32 s3, s27
	v_cvt_f32_u32_e32 v2, s0
	s_sub_i32 s2, 0, s0
	s_lshl_b32 s28, s8, 1
	s_mul_i32 s29, s33, s27
	v_rcp_iflag_f32_e32 v2, v2
	v_mul_f32_e32 v2, 0x4f7ffffe, v2
	v_cvt_u32_f32_e32 v2, v2
	v_readfirstlane_b32 s1, v2
	s_mul_i32 s2, s2, s1
	s_mul_hi_u32 s2, s1, s2
	s_add_i32 s1, s1, s2
	s_xor_b32 s2, s27, s37
	s_mul_hi_u32 s1, s3, s1
	s_ashr_i32 s2, s2, 31
	s_mul_i32 s7, s1, s0
	s_sub_i32 s3, s3, s7
	s_add_i32 s7, s1, 1
	s_sub_i32 s8, s3, s0
	s_cmp_ge_u32 s3, s0
	s_cselect_b32 s1, s7, s1
	s_cselect_b32 s3, s8, s3
	s_add_i32 s7, s1, 1
	s_cmp_ge_u32 s3, s0
	s_cselect_b32 s0, s7, s1
	s_xor_b32 s0, s0, s2
	s_sub_i32 s3, s0, s2
	s_clause 0x1
	s_load_dwordx16 s[8:23], s[4:5], 0x0
	s_load_dwordx2 s[0:1], s[4:5], 0xb8
	s_abs_i32 s2, s3
	v_cvt_f32_u32_e32 v2, s2
	v_rcp_iflag_f32_e32 v2, v2
	v_mul_f32_e32 v2, 0x4f7ffffe, v2
	s_waitcnt lgkmcnt(0)
	s_cmp_eq_u64 s[14:15], 0
	v_cvt_u32_f32_e32 v2, v2
	v_readfirstlane_b32 s7, v2
	s_cbranch_scc1 .LBB49_2
; %bb.1:
	s_abs_i32 s0, s0
	s_abs_i32 s35, s33
	v_cvt_f32_u32_e32 v2, s0
	s_sub_i32 s31, 0, s0
	v_rcp_iflag_f32_e32 v2, v2
	v_mul_f32_e32 v2, 0x4f7ffffe, v2
	v_cvt_u32_f32_e32 v2, v2
	v_readfirstlane_b32 s30, v2
	s_mul_i32 s31, s31, s30
	s_mul_hi_u32 s31, s30, s31
	s_add_i32 s30, s30, s31
	s_mul_hi_u32 s37, s35, s30
	s_load_dwordx2 s[30:31], s[4:5], 0xc8
	s_mul_i32 s37, s37, s0
	s_sub_i32 s35, s35, s37
	s_ashr_i32 s37, s33, 31
	s_sub_i32 s38, s35, s0
	s_cmp_ge_u32 s35, s0
	s_cselect_b32 s35, s38, s35
	s_sub_i32 s38, s35, s0
	s_cmp_ge_u32 s35, s0
	s_cselect_b32 s0, s38, s35
	s_xor_b32 s0, s0, s37
	s_sub_i32 s0, s0, s37
	s_ashr_i32 s35, s0, 31
	s_waitcnt lgkmcnt(0)
	s_mul_hi_u32 s37, s30, s0
	s_mul_i32 s35, s30, s35
	s_mul_i32 s31, s31, s0
	s_add_i32 s35, s37, s35
	s_mul_i32 s0, s30, s0
	s_add_i32 s35, s35, s31
	s_add_u32 s38, s14, s0
	s_addc_u32 s39, s15, s35
.LBB49_2:
	s_movk_i32 s14, 0xe0
	v_cmp_gt_u32_e64 s0, 28, v0
	v_mad_u32_u24 v61, v1, s14, 0x1040
	v_lshlrev_b32_e32 v62, 3, v0
	v_and_b32_e32 v59, 1, v1
	v_lshrrev_b32_e32 v60, 1, v1
	s_sub_i32 s14, s28, s29
	s_and_saveexec_b32 s15, s0
	s_cbranch_execz .LBB49_4
; %bb.3:
	v_add_nc_u32_e32 v2, s6, v60
	s_load_dwordx4 s[28:31], s[4:5], 0x70
	v_lshlrev_b32_e32 v6, 4, v0
	v_mul_hi_u32 v3, s24, v2
	v_add_nc_u32_e32 v3, v2, v3
	v_lshrrev_b32_e32 v3, s25, v3
	s_waitcnt lgkmcnt(0)
	s_mul_i32 s31, s33, s30
	s_mul_i32 s35, s14, s29
	v_mul_lo_u32 v3, v3, s26
	s_ashr_i32 s37, s31, 31
	s_add_u32 s8, s8, s31
	s_addc_u32 s9, s9, s37
	s_ashr_i32 s31, s35, 31
	s_add_u32 s35, s8, s35
	s_mov_b32 s30, s29
	s_addc_u32 s37, s9, s31
	v_sub_nc_u32_e32 v4, v2, v3
	s_ashr_i32 s31, s29, 31
	s_ashr_i32 s29, s28, 31
	s_lshr_b64 s[8:9], s[28:29], 2
	s_lshr_b32 s28, s29, 2
	v_mad_u64_u32 v[2:3], null, s8, v4, 0
	s_lshr_b64 s[8:9], s[30:31], 2
	s_lshr_b32 s9, s31, 2
	v_mul_lo_u32 v5, s9, v59
	v_mad_u64_u32 v[3:4], null, s28, v4, v[3:4]
	v_mul_lo_u32 v4, s8, v59
	s_load_dword s8, s[4:5], 0x40
	v_lshlrev_b64 v[2:3], 2, v[2:3]
	v_lshlrev_b64 v[4:5], 2, v[4:5]
	v_add_co_u32 v4, vcc_lo, s35, v4
	v_add_co_ci_u32_e64 v5, null, s37, v5, vcc_lo
	v_add_co_u32 v2, vcc_lo, v4, v2
	v_add_co_ci_u32_e64 v3, null, v5, v3, vcc_lo
	;; [unrolled: 2-line block ×3, first 2 shown]
	v_add_nc_u32_e32 v6, v61, v62
	global_load_dwordx4 v[2:5], v[2:3], off
	s_waitcnt vmcnt(0) lgkmcnt(0)
	v_fma_mixlo_f16 v3, s8, v3, 0
	v_fma_mixlo_f16 v2, s8, v2, 0
	;; [unrolled: 1-line block ×4, first 2 shown]
	v_lshlrev_b32_e32 v3, 16, v3
	v_and_b32_e32 v2, 0xffff, v2
	v_and_b32_e32 v4, 0xffff, v4
	v_lshlrev_b32_e32 v5, 16, v5
	v_or_b32_e32 v2, v3, v2
	v_or3_b32 v3, v5, v4, 0
	v_or3_b32 v2, 0, 0, v2
	ds_write_b64 v6, v[2:3]
.LBB49_4:
	s_or_b32 exec_lo, exec_lo, s15
	s_cmp_eq_u64 s[18:19], 0
	s_waitcnt lgkmcnt(0)
	s_barrier
	buffer_gl0_inv
	s_cbranch_scc1 .LBB49_6
; %bb.5:
	s_load_dword s8, s[4:5], 0xd0
	s_mov_b32 s9, 0
	s_waitcnt lgkmcnt(0)
	s_mul_i32 s8, s8, s33
	s_add_i32 s8, s8, s6
	s_lshl_b64 s[8:9], s[8:9], 2
	s_add_u32 s8, s18, s8
	s_addc_u32 s9, s19, s9
	s_load_dword s36, s[8:9], 0x0
.LBB49_6:
	v_mbcnt_lo_u32_b32 v63, -1, 0
	s_lshl_b32 s15, s34, 5
	s_waitcnt lgkmcnt(0)
	s_cmp_lt_i32 s15, s36
	s_cbranch_scc1 .LBB49_9
; %bb.7:
	v_mbcnt_lo_u32_b32 v2, -1, 0
	v_mov_b32_e32 v65, 32
	v_xor_b32_e32 v83, 16, v2
	v_xor_b32_e32 v84, 8, v2
	;; [unrolled: 1-line block ×5, first 2 shown]
	s_cbranch_execz .LBB49_10
; %bb.8:
	v_mov_b32_e32 v73, 0
	v_mov_b32_e32 v89, 0
	;; [unrolled: 1-line block ×4, first 2 shown]
	s_branch .LBB49_22
.LBB49_9:
                                        ; implicit-def: $vgpr2
                                        ; implicit-def: $vgpr65
                                        ; implicit-def: $vgpr83
                                        ; implicit-def: $vgpr84
                                        ; implicit-def: $vgpr85
                                        ; implicit-def: $vgpr86
                                        ; implicit-def: $vgpr87
.LBB49_10:
	v_add_nc_u32_e32 v10, s6, v60
	s_clause 0x1
	s_load_dwordx4 s[28:31], s[4:5], 0x98
	s_load_dwordx2 s[8:9], s[4:5], 0x8c
	s_sub_i32 s18, 0, s2
	v_lshrrev_b32_e32 v2, 1, v0
	s_mul_i32 s18, s18, s7
	v_mul_hi_u32 v3, s24, v10
	s_mul_hi_u32 s18, s7, s18
	s_ashr_i32 s42, s33, 31
	s_abs_i32 s35, s14
	s_add_i32 s7, s7, s18
	v_lshlrev_b32_e32 v11, 2, v0
	s_mul_hi_u32 s7, s35, s7
	v_lshl_add_u32 v13, v1, 4, v2
	v_add_nc_u32_e32 v3, v10, v3
	v_lshrrev_b32_e32 v2, 2, v0
	v_lshrrev_b32_e32 v16, 3, v0
	s_ashr_i32 s37, s14, 31
	s_ashr_i32 s3, s3, 31
	v_lshrrev_b32_e32 v7, s25, v3
	s_load_dwordx2 s[40:41], s[4:5], 0xa8
	s_waitcnt lgkmcnt(0)
	s_ashr_i32 s18, s30, 2
	s_ashr_i32 s19, s8, 2
	s_mul_hi_u32 s8, s28, s33
	v_mul_lo_u32 v12, v7, s26
	s_mul_i32 s30, s28, s42
	s_mul_i32 s29, s29, s33
	s_add_i32 s8, s8, s30
	s_mul_i32 s28, s28, s33
	s_ashr_i32 s1, s1, 1
	s_mul_i32 s43, s7, s2
	s_add_i32 s8, s8, s29
	s_add_u32 s10, s10, s28
	s_addc_u32 s8, s11, s8
	s_sub_i32 s11, s35, s43
	v_lshl_add_u32 v5, v1, 5, v0
	v_and_b32_e32 v18, 4, v11
	v_and_b32_e32 v19, 12, v11
	v_lshl_add_u32 v14, v1, 3, v2
	v_sub_nc_u32_e32 v10, v10, v12
	v_lshl_add_u32 v70, v1, 6, 0x1200
	v_lshl_add_u32 v1, v1, 2, v16
	s_xor_b32 s3, s37, s3
	s_add_i32 s28, s7, 1
	s_sub_i32 s29, s11, s2
	s_cmp_ge_u32 s11, s2
	v_lshlrev_b32_e32 v6, 7, v13
	s_cselect_b32 s7, s28, s7
	s_cselect_b32 s11, s29, s11
	v_lshlrev_b32_e32 v15, 2, v18
	v_lshlrev_b32_e32 v20, 2, v19
	v_mul_lo_u32 v4, s19, v14
	v_mad_u64_u32 v[41:42], null, v10, s1, v[0:1]
	v_mul_lo_u32 v10, s18, v1
	s_add_i32 s28, s7, 1
	s_cmp_ge_u32 s11, s2
	v_and_b32_e32 v21, 28, v11
	v_mul_u32_u24_e32 v11, 0xe0, v13
	s_cselect_b32 s2, s28, s7
	v_mul_lo_u32 v2, s19, v13
	v_or3_b32 v67, v6, v15, 64
	v_lshl_or_b32 v68, v14, 7, v20
	v_mul_lo_u32 v6, s19, v5
	v_mul_lo_u32 v12, s18, v14
	v_mul_u32_u24_e32 v22, 0xe0, v14
	v_mul_lo_u32 v14, s18, v13
	s_xor_b32 s2, s2, s3
	v_lshl_add_u32 v8, s19, 4, v4
	s_sub_i32 s2, s2, s3
	v_lshlrev_b32_e32 v17, 2, v21
	v_lshl_add_u32 v16, s18, 3, v10
	v_or_b32_e32 v15, v11, v15
	s_mul_i32 s9, s2, s9
	s_mul_hi_u32 s7, s40, s33
	s_mul_i32 s28, s40, s42
	s_ashr_i32 s11, s9, 31
	s_add_u32 s10, s10, s9
	v_cmp_gt_u32_e32 vcc_lo, 32, v5
	v_ashrrev_i32_e32 v3, 31, v2
	v_ashrrev_i32_e32 v5, 31, v4
	v_ashrrev_i32_e32 v9, 31, v8
	v_ashrrev_i32_e32 v7, 31, v6
	v_cmp_gt_u32_e64 s1, 16, v13
	v_ashrrev_i32_e32 v13, 31, v12
	v_ashrrev_i32_e32 v11, 31, v10
	v_mad_u32_u24 v74, 0xe0, v1, v17
	v_ashrrev_i32_e32 v17, 31, v16
	v_add_nc_u32_e32 v75, 0xc0, v15
	v_ashrrev_i32_e32 v15, 31, v14
	s_mul_i32 s3, s41, s33
	s_addc_u32 s11, s8, s11
	s_add_i32 s7, s7, s28
	v_lshlrev_b32_e32 v66, 7, v0
	s_mul_i32 s29, s40, s33
	s_mul_i32 s2, s2, s31
	s_add_i32 s7, s7, s3
	s_add_u32 s3, s12, s29
	s_addc_u32 s7, s13, s7
	s_ashr_i32 s8, s2, 31
	v_lshlrev_b64 v[42:43], 2, v[6:7]
	v_lshlrev_b64 v[44:45], 2, v[2:3]
	;; [unrolled: 1-line block ×8, first 2 shown]
	s_add_u32 s12, s3, s2
	v_mov_b32_e32 v64, 0
	v_add_nc_u32_e32 v69, 0x800, v68
	v_or_b32_e32 v71, 0x60, v66
	v_lshl_add_u32 v72, v0, 1, v70
	v_add3_u32 v76, v22, v20, 0x80
	v_add_nc_u32_e32 v77, 0x700, v74
	v_mov_b32_e32 v88, 0xfeffffff
	v_lshlrev_b32_e32 v78, 2, v18
	v_lshlrev_b32_e32 v79, 2, v19
	v_mov_b32_e32 v65, 32
	v_lshlrev_b32_e32 v80, 2, v21
	v_mov_b32_e32 v81, 0x10001
	v_mov_b32_e32 v73, 0
	;; [unrolled: 1-line block ×3, first 2 shown]
	s_addc_u32 s13, s7, s8
	s_add_u32 s8, s4, 0xd0
	s_addc_u32 s9, s5, 0
.LBB49_11:                              ; =>This Inner Loop Header: Depth=1
	s_mul_hi_i32 s3, s15, s19
	s_mul_i32 s2, s15, s19
	s_lshl_b64 s[24:25], s[2:3], 2
	s_add_u32 s3, s10, s24
	s_addc_u32 s7, s11, s25
	s_and_saveexec_b32 s24, vcc_lo
	s_cbranch_execz .LBB49_13
; %bb.12:                               ;   in Loop: Header=BB49_11 Depth=1
	v_add_co_u32 v1, s2, s3, v42
	v_add_co_ci_u32_e64 v2, null, s7, v43, s2
	global_load_dwordx4 v[1:4], v[1:2], off offset:96
	s_waitcnt vmcnt(0)
	ds_write_b128 v71, v[1:4]
.LBB49_13:                              ;   in Loop: Header=BB49_11 Depth=1
	s_or_b32 exec_lo, exec_lo, s24
	v_add_co_u32 v1, s2, s3, v44
	v_add_co_ci_u32_e64 v2, null, s7, v45, s2
	v_add_co_u32 v1, s2, v1, v78
	v_add_co_ci_u32_e64 v2, null, 0, v2, s2
	;; [unrolled: 2-line block ×6, first 2 shown]
	s_clause 0x2
	global_load_dwordx4 v[7:10], v[1:2], off offset:64
	global_load_dwordx4 v[11:14], v[3:4], off
	global_load_dwordx4 v[15:18], v[5:6], off
	s_waitcnt vmcnt(2)
	ds_write_b128 v67, v[7:10]
	s_waitcnt vmcnt(1)
	ds_write_b128 v68, v[11:14]
	;; [unrolled: 2-line block ×3, first 2 shown]
	s_waitcnt lgkmcnt(0)
	s_barrier
	buffer_gl0_inv
	ds_read_b128 v[8:11], v66
	ds_read_b128 v[12:15], v61
	v_mov_b32_e32 v7, 0
	s_waitcnt lgkmcnt(0)
	;;#ASMSTART
	v_dot2_f32_f16 v7, v8, v12, v7
	;;#ASMEND
	;;#ASMSTART
	v_dot2_f32_f16 v7, v9, v13, v7
	;;#ASMEND
	;;#ASMSTART
	v_dot2_f32_f16 v7, v10, v14, v7
	;;#ASMEND
	;;#ASMSTART
	v_dot2_f32_f16 v7, v11, v15, v7
	;;#ASMEND
	ds_read_b128 v[8:11], v66 offset:16
	ds_read_b128 v[12:15], v61 offset:16
	s_waitcnt lgkmcnt(0)
	;;#ASMSTART
	v_dot2_f32_f16 v7, v8, v12, v7
	;;#ASMEND
	;;#ASMSTART
	v_dot2_f32_f16 v7, v9, v13, v7
	;;#ASMEND
	;;#ASMSTART
	v_dot2_f32_f16 v7, v10, v14, v7
	;;#ASMEND
	;;#ASMSTART
	v_dot2_f32_f16 v7, v11, v15, v7
	;;#ASMEND
	ds_read_b128 v[8:11], v66 offset:32
	ds_read_b128 v[12:15], v61 offset:32
	;; [unrolled: 15-line block ×6, first 2 shown]
	s_waitcnt lgkmcnt(0)
	;;#ASMSTART
	v_dot2_f32_f16 v7, v8, v12, v7
	;;#ASMEND
	;;#ASMSTART
	v_dot2_f32_f16 v7, v9, v13, v7
	;;#ASMEND
	;; [unrolled: 3-line block ×4, first 2 shown]
	s_barrier
	buffer_gl0_inv
	s_and_saveexec_b32 s24, vcc_lo
	s_cbranch_execz .LBB49_15
; %bb.14:                               ;   in Loop: Header=BB49_11 Depth=1
	v_add_co_u32 v8, s2, s3, v42
	v_add_co_ci_u32_e64 v9, null, s7, v43, s2
	global_load_dwordx4 v[8:11], v[8:9], off offset:208
	s_waitcnt vmcnt(0)
	ds_write_b128 v71, v[8:11]
.LBB49_15:                              ;   in Loop: Header=BB49_11 Depth=1
	s_or_b32 exec_lo, exec_lo, s24
	s_clause 0x2
	global_load_dwordx4 v[8:11], v[1:2], off offset:176
	global_load_dwordx4 v[1:4], v[3:4], off offset:112
	;; [unrolled: 1-line block ×3, first 2 shown]
	v_add_nc_u32_e32 v5, s15, v41
	v_xor_b32_e32 v83, 16, v63
	v_xor_b32_e32 v84, 8, v63
	;; [unrolled: 1-line block ×4, first 2 shown]
	v_ashrrev_i32_e32 v6, 31, v5
	v_xor_b32_e32 v87, 1, v63
	s_mul_hi_i32 s3, s15, s18
	s_waitcnt vmcnt(2)
	ds_write_b128 v67, v[8:11]
	s_waitcnt vmcnt(1)
	ds_write_b128 v68, v[1:4]
	;; [unrolled: 2-line block ×3, first 2 shown]
	s_waitcnt lgkmcnt(0)
	s_barrier
	buffer_gl0_inv
	ds_read_b128 v[1:4], v66
	ds_read_b128 v[8:11], v61 offset:112
	v_lshlrev_b64 v[5:6], 1, v[5:6]
	s_waitcnt lgkmcnt(0)
	;;#ASMSTART
	v_dot2_f32_f16 v7, v1, v8, v7
	;;#ASMEND
	;;#ASMSTART
	v_dot2_f32_f16 v7, v2, v9, v7
	;;#ASMEND
	;; [unrolled: 3-line block ×4, first 2 shown]
	ds_read_b128 v[1:4], v66 offset:16
	ds_read_b128 v[8:11], v61 offset:128
	v_add_co_u32 v5, s2, s38, v5
	v_add_co_ci_u32_e64 v6, null, s39, v6, s2
	v_cmp_gt_i32_e64 s2, 32, v83
	s_waitcnt lgkmcnt(0)
	;;#ASMSTART
	v_dot2_f32_f16 v7, v1, v8, v7
	;;#ASMEND
	;;#ASMSTART
	v_dot2_f32_f16 v7, v2, v9, v7
	;;#ASMEND
	;;#ASMSTART
	v_dot2_f32_f16 v7, v3, v10, v7
	;;#ASMEND
	;;#ASMSTART
	v_dot2_f32_f16 v7, v4, v11, v7
	;;#ASMEND
	ds_read_b128 v[1:4], v66 offset:32
	ds_read_b128 v[8:11], v61 offset:144
	s_waitcnt lgkmcnt(0)
	;;#ASMSTART
	v_dot2_f32_f16 v7, v1, v8, v7
	;;#ASMEND
	;;#ASMSTART
	v_dot2_f32_f16 v7, v2, v9, v7
	;;#ASMEND
	;;#ASMSTART
	v_dot2_f32_f16 v7, v3, v10, v7
	;;#ASMEND
	;;#ASMSTART
	v_dot2_f32_f16 v7, v4, v11, v7
	;;#ASMEND
	ds_read_b128 v[1:4], v66 offset:48
	ds_read_b128 v[8:11], v61 offset:160
	;; [unrolled: 15-line block ×5, first 2 shown]
	s_waitcnt lgkmcnt(0)
	;;#ASMSTART
	v_dot2_f32_f16 v7, v1, v8, v7
	;;#ASMEND
	;;#ASMSTART
	v_dot2_f32_f16 v7, v2, v9, v7
	;;#ASMEND
	;; [unrolled: 3-line block ×4, first 2 shown]
	global_load_ushort v1, v[5:6], off
	v_max_f32_e32 v2, v88, v88
	v_cndmask_b32_e64 v3, v63, v83, s2
	v_cmp_gt_i32_e64 s2, 32, v84
	s_waitcnt vmcnt(0)
	s_barrier
	buffer_gl0_inv
	v_lshlrev_b32_e32 v3, 2, v3
	v_cvt_f32_f16_e32 v1, v1
	v_add_f32_e32 v1, v7, v1
	v_add_f32_e32 v4, 0x40051340, v1
	v_max_f32_e32 v2, v2, v4
	v_cndmask_b32_e64 v4, v63, v84, s2
	v_cmp_gt_i32_e64 s2, 32, v85
	ds_bpermute_b32 v3, v3, v2
	v_lshlrev_b32_e32 v4, 2, v4
	s_waitcnt lgkmcnt(0)
	v_max_f32_e32 v3, v3, v3
	v_max_f32_e32 v2, v2, v3
	ds_bpermute_b32 v3, v4, v2
	v_cndmask_b32_e64 v4, v63, v85, s2
	v_cmp_gt_i32_e64 s2, 32, v86
	v_lshlrev_b32_e32 v4, 2, v4
	s_waitcnt lgkmcnt(0)
	v_max_f32_e32 v3, v3, v3
	v_max_f32_e32 v2, v2, v3
	ds_bpermute_b32 v3, v4, v2
	v_cndmask_b32_e64 v4, v63, v86, s2
	v_cmp_gt_i32_e64 s2, 32, v87
	v_lshlrev_b32_e32 v4, 2, v4
	s_waitcnt lgkmcnt(0)
	v_max_f32_e32 v3, v3, v3
	v_max_f32_e32 v2, v2, v3
	ds_bpermute_b32 v3, v4, v2
	v_cndmask_b32_e64 v4, v63, v87, s2
	v_lshlrev_b32_e32 v4, 2, v4
	s_waitcnt lgkmcnt(0)
	v_max_f32_e32 v3, v3, v3
	v_max_f32_e32 v2, v2, v3
	ds_bpermute_b32 v3, v4, v2
	s_waitcnt lgkmcnt(0)
	v_max_f32_e32 v3, v3, v3
	v_max_f32_e32 v58, v2, v3
	v_sub_f32_e32 v1, v1, v58
	v_mul_f32_e32 v2, 0x3fb8aa3b, v1
	v_cmp_ngt_f32_e64 s2, 0xc2ce8ed0, v1
	v_fma_f32 v3, 0x3fb8aa3b, v1, -v2
	v_rndne_f32_e32 v4, v2
	v_fmac_f32_e32 v3, 0x32a5705f, v1
	v_sub_f32_e32 v2, v2, v4
	v_add_f32_e32 v2, v2, v3
	v_cvt_i32_f32_e32 v3, v4
	v_exp_f32_e32 v2, v2
	v_ldexp_f32 v2, v2, v3
	v_cndmask_b32_e64 v2, 0, v2, s2
	v_cmp_nlt_f32_e64 s2, 0x42b17218, v1
	v_cndmask_b32_e64 v89, 0x7f800000, v2, s2
	s_mul_i32 s2, s15, s18
	s_lshl_b64 s[24:25], s[2:3], 2
	v_cvt_f16_f32_e32 v1, v89
	s_add_u32 s3, s12, s24
	s_addc_u32 s7, s13, s25
	ds_write_b16 v72, v1
	s_and_saveexec_b32 s24, s1
	s_cbranch_execz .LBB49_17
; %bb.16:                               ;   in Loop: Header=BB49_11 Depth=1
	v_add_co_u32 v1, s2, s3, v50
	v_add_co_ci_u32_e64 v2, null, s7, v51, s2
	v_add_co_u32 v1, s2, v1, v78
	v_add_co_ci_u32_e64 v2, null, 0, v2, s2
	global_load_dwordx4 v[1:4], v[1:2], off offset:192
	s_waitcnt vmcnt(0)
	ds_write_b128 v75, v[1:4]
.LBB49_17:                              ;   in Loop: Header=BB49_11 Depth=1
	s_or_b32 exec_lo, exec_lo, s24
	v_add_co_u32 v1, s2, s3, v52
	v_add_co_ci_u32_e64 v2, null, s7, v53, s2
	v_add_nc_u32_e32 v90, 0x800, v62
	v_add_co_u32 v1, s2, v1, v79
	v_add_co_ci_u32_e64 v2, null, 0, v2, s2
	v_add_co_u32 v3, s2, s3, v54
	v_add_co_ci_u32_e64 v4, null, s7, v55, s2
	;; [unrolled: 2-line block ×5, first 2 shown]
	s_clause 0x2
	global_load_dwordx4 v[1:4], v[1:2], off offset:128
	global_load_dwordx4 v[5:8], v[5:6], off
	global_load_dwordx4 v[9:12], v[9:10], off
	v_sub_f32_e32 v88, v88, v58
	s_or_b32 s7, s15, 16
	s_waitcnt vmcnt(2)
	ds_write_b128 v76, v[1:4]
	s_waitcnt vmcnt(1)
	ds_write_b128 v74, v[5:8]
	;; [unrolled: 2-line block ×3, first 2 shown]
	s_waitcnt lgkmcnt(0)
	s_barrier
	buffer_gl0_inv
	ds_read2_b64 v[37:40], v62 offset1:28
	ds_read_b128 v[25:28], v70
	ds_read_b128 v[5:8], v70 offset:16
	ds_read2_b64 v[33:36], v62 offset0:56 offset1:84
	ds_read2_b64 v[29:32], v62 offset0:112 offset1:140
	;; [unrolled: 1-line block ×7, first 2 shown]
	s_mul_hi_i32 s25, s7, s18
	s_mul_i32 s24, s7, s18
	v_cmp_ngt_f32_e64 s2, 0xc2ce8ed0, v88
	v_cmp_nlt_f32_e64 s3, 0x42b17218, v88
	s_lshl_b64 s[24:25], s[24:25], 2
	s_waitcnt lgkmcnt(0)
	s_add_u32 s24, s12, s24
	s_addc_u32 s25, s13, s25
	s_barrier
	buffer_gl0_inv
	s_and_saveexec_b32 s28, s1
	s_cbranch_execz .LBB49_19
; %bb.18:                               ;   in Loop: Header=BB49_11 Depth=1
	v_add_co_u32 v91, s7, s24, v50
	v_add_co_ci_u32_e64 v92, null, s25, v51, s7
	v_add_co_u32 v91, s7, v91, v78
	v_add_co_ci_u32_e64 v92, null, 0, v92, s7
	global_load_dwordx4 v[91:94], v[91:92], off offset:192
	s_waitcnt vmcnt(0)
	ds_write_b128 v75, v[91:94]
.LBB49_19:                              ;   in Loop: Header=BB49_11 Depth=1
	s_or_b32 exec_lo, exec_lo, s28
	v_add_co_u32 v91, s7, s24, v52
	v_add_co_ci_u32_e64 v92, null, s25, v53, s7
	v_mul_f32_e32 v103, 0x3fb8aa3b, v88
	v_add_co_u32 v91, s7, v91, v79
	v_add_co_ci_u32_e64 v92, null, 0, v92, s7
	v_add_co_u32 v93, s7, s24, v54
	v_add_co_ci_u32_e64 v94, null, s25, v55, s7
	;; [unrolled: 2-line block ×5, first 2 shown]
	s_clause 0x2
	global_load_dwordx4 v[91:94], v[91:92], off offset:128
	global_load_dwordx4 v[95:98], v[95:96], off
	global_load_dwordx4 v[99:102], v[99:100], off
	v_fma_f32 v104, 0x3fb8aa3b, v88, -v103
	v_rndne_f32_e32 v105, v103
	s_waitcnt vmcnt(2)
	ds_write_b128 v76, v[91:94]
	s_waitcnt vmcnt(1)
	ds_write_b128 v74, v[95:98]
	;; [unrolled: 2-line block ×3, first 2 shown]
	v_fmac_f32_e32 v104, 0x32a5705f, v88
	v_sub_f32_e32 v88, v103, v105
	v_cvt_i32_f32_e32 v103, v105
	s_waitcnt lgkmcnt(0)
	s_barrier
	buffer_gl0_inv
	v_add_f32_e32 v88, v88, v104
	v_exp_f32_e32 v88, v88
	v_ldexp_f32 v88, v88, v103
	v_mul_u32_u24_sdwa v103, v25, v81 dst_sel:DWORD dst_unused:UNUSED_PAD src0_sel:WORD_0 src1_sel:DWORD
	v_mul_u32_u24_sdwa v25, v25, v81 dst_sel:DWORD dst_unused:UNUSED_PAD src0_sel:WORD_1 src1_sel:DWORD
	v_cndmask_b32_e64 v88, 0, v88, s2
	v_pk_mul_f16 v37, v37, v103
	v_pk_mul_f16 v38, v38, v103
	v_cndmask_b32_e64 v88, 0x7f800000, v88, s3
	v_cvt_f16_f32_e32 v104, v88
	v_fmac_f32_e32 v89, v82, v88
	v_mul_u32_u24_sdwa v104, v104, v81 dst_sel:DWORD dst_unused:UNUSED_PAD src0_sel:WORD_0 src1_sel:DWORD
	v_pk_fma_f16 v37, v64, v104, v37
	v_pk_fma_f16 v38, v73, v104, v38
	v_mul_u32_u24_sdwa v64, v26, v81 dst_sel:DWORD dst_unused:UNUSED_PAD src0_sel:WORD_0 src1_sel:DWORD
	v_mul_u32_u24_sdwa v26, v26, v81 dst_sel:DWORD dst_unused:UNUSED_PAD src0_sel:WORD_1 src1_sel:DWORD
	v_pk_fma_f16 v37, v39, v25, v37
	v_pk_fma_f16 v25, v40, v25, v38
	v_pk_fma_f16 v33, v33, v64, v37
	v_pk_fma_f16 v25, v34, v64, v25
	v_mul_u32_u24_sdwa v37, v27, v81 dst_sel:DWORD dst_unused:UNUSED_PAD src0_sel:WORD_0 src1_sel:DWORD
	v_mul_u32_u24_sdwa v27, v27, v81 dst_sel:DWORD dst_unused:UNUSED_PAD src0_sel:WORD_1 src1_sel:DWORD
	v_pk_fma_f16 v33, v35, v26, v33
	v_pk_fma_f16 v25, v36, v26, v25
	;; [unrolled: 6-line block ×4, first 2 shown]
	v_pk_fma_f16 v17, v17, v26, v21
	v_pk_fma_f16 v18, v18, v26, v22
	v_mul_u32_u24_sdwa v21, v6, v81 dst_sel:DWORD dst_unused:UNUSED_PAD src0_sel:WORD_0 src1_sel:DWORD
	v_mul_u32_u24_sdwa v6, v6, v81 dst_sel:DWORD dst_unused:UNUSED_PAD src0_sel:WORD_1 src1_sel:DWORD
	v_mul_u32_u24_sdwa v22, v7, v81 dst_sel:DWORD dst_unused:UNUSED_PAD src0_sel:WORD_0 src1_sel:DWORD
	v_pk_fma_f16 v17, v19, v5, v17
	v_pk_fma_f16 v5, v20, v5, v18
	;; [unrolled: 1-line block ×4, first 2 shown]
	ds_read_b128 v[17:20], v70 offset:32
	v_mul_u32_u24_sdwa v21, v8, v81 dst_sel:DWORD dst_unused:UNUSED_PAD src0_sel:WORD_1 src1_sel:DWORD
	v_pk_fma_f16 v13, v15, v6, v13
	v_pk_fma_f16 v5, v16, v6, v5
	v_mul_u32_u24_sdwa v6, v7, v81 dst_sel:DWORD dst_unused:UNUSED_PAD src0_sel:WORD_1 src1_sel:DWORD
	v_pk_fma_f16 v7, v9, v22, v13
	ds_read2_b64 v[13:16], v62 offset1:28
	v_pk_fma_f16 v5, v10, v22, v5
	v_mul_u32_u24_sdwa v9, v8, v81 dst_sel:DWORD dst_unused:UNUSED_PAD src0_sel:WORD_0 src1_sel:DWORD
	v_pk_fma_f16 v7, v11, v6, v7
	v_pk_fma_f16 v10, v12, v6, v5
	;; [unrolled: 1-line block ×3, first 2 shown]
	ds_read2_b64 v[5:8], v62 offset0:56 offset1:84
	v_pk_fma_f16 v2, v2, v9, v10
	ds_read_b128 v[9:12], v70 offset:48
	s_waitcnt lgkmcnt(3)
	v_mul_u32_u24_sdwa v23, v17, v81 dst_sel:DWORD dst_unused:UNUSED_PAD src0_sel:WORD_0 src1_sel:DWORD
	v_pk_fma_f16 v22, v3, v21, v1
	v_mul_u32_u24_sdwa v17, v17, v81 dst_sel:DWORD dst_unused:UNUSED_PAD src0_sel:WORD_1 src1_sel:DWORD
	v_pk_fma_f16 v21, v4, v21, v2
	ds_read2_b64 v[1:4], v62 offset0:112 offset1:140
	s_waitcnt lgkmcnt(3)
	v_pk_fma_f16 v13, v13, v23, v22
	v_pk_fma_f16 v14, v14, v23, v21
	v_mul_u32_u24_sdwa v21, v18, v81 dst_sel:DWORD dst_unused:UNUSED_PAD src0_sel:WORD_0 src1_sel:DWORD
	v_mul_u32_u24_sdwa v18, v18, v81 dst_sel:DWORD dst_unused:UNUSED_PAD src0_sel:WORD_1 src1_sel:DWORD
	v_pk_fma_f16 v22, v15, v17, v13
	v_pk_fma_f16 v17, v16, v17, v14
	ds_read2_b64 v[13:16], v62 offset0:168 offset1:196
	s_waitcnt lgkmcnt(3)
	v_pk_fma_f16 v5, v5, v21, v22
	v_pk_fma_f16 v6, v6, v21, v17
	v_mul_u32_u24_sdwa v17, v19, v81 dst_sel:DWORD dst_unused:UNUSED_PAD src0_sel:WORD_0 src1_sel:DWORD
	v_mul_u32_u24_sdwa v19, v19, v81 dst_sel:DWORD dst_unused:UNUSED_PAD src0_sel:WORD_1 src1_sel:DWORD
	v_pk_fma_f16 v21, v7, v18, v5
	v_pk_fma_f16 v18, v8, v18, v6
	ds_read2_b64 v[5:8], v62 offset0:224 offset1:252
	s_waitcnt lgkmcnt(2)
	v_pk_fma_f16 v1, v1, v17, v21
	v_pk_fma_f16 v2, v2, v17, v18
	v_mul_u32_u24_sdwa v17, v20, v81 dst_sel:DWORD dst_unused:UNUSED_PAD src0_sel:WORD_0 src1_sel:DWORD
	v_mul_u32_u24_sdwa v20, v20, v81 dst_sel:DWORD dst_unused:UNUSED_PAD src0_sel:WORD_1 src1_sel:DWORD
	v_mul_u32_u24_sdwa v21, v10, v81 dst_sel:DWORD dst_unused:UNUSED_PAD src0_sel:WORD_0 src1_sel:DWORD
	v_pk_fma_f16 v18, v3, v19, v1
	v_pk_fma_f16 v19, v4, v19, v2
	ds_read2_b64 v[1:4], v90 offset0:24 offset1:52
	s_waitcnt lgkmcnt(2)
	v_pk_fma_f16 v13, v13, v17, v18
	v_pk_fma_f16 v14, v14, v17, v19
	v_mul_u32_u24_sdwa v17, v9, v81 dst_sel:DWORD dst_unused:UNUSED_PAD src0_sel:WORD_0 src1_sel:DWORD
	v_mul_u32_u24_sdwa v9, v9, v81 dst_sel:DWORD dst_unused:UNUSED_PAD src0_sel:WORD_1 src1_sel:DWORD
	v_pk_fma_f16 v18, v15, v20, v13
	v_pk_fma_f16 v19, v16, v20, v14
	ds_read2_b64 v[13:16], v90 offset0:80 offset1:108
	s_waitcnt lgkmcnt(2)
	v_pk_fma_f16 v5, v5, v17, v18
	v_pk_fma_f16 v6, v6, v17, v19
	ds_read2_b64 v[17:20], v90 offset0:136 offset1:164
	s_waitcnt lgkmcnt(0)
	s_barrier
	v_pk_fma_f16 v5, v7, v9, v5
	v_pk_fma_f16 v6, v8, v9, v6
	v_mul_u32_u24_sdwa v7, v10, v81 dst_sel:DWORD dst_unused:UNUSED_PAD src0_sel:WORD_1 src1_sel:DWORD
	buffer_gl0_inv
	s_load_dword s2, s[8:9], 0x4
	v_pk_fma_f16 v1, v1, v21, v5
	v_pk_fma_f16 v2, v2, v21, v6
	v_mul_u32_u24_sdwa v5, v11, v81 dst_sel:DWORD dst_unused:UNUSED_PAD src0_sel:WORD_0 src1_sel:DWORD
	v_pk_fma_f16 v1, v3, v7, v1
	v_pk_fma_f16 v2, v4, v7, v2
	v_mul_u32_u24_sdwa v3, v11, v81 dst_sel:DWORD dst_unused:UNUSED_PAD src0_sel:WORD_1 src1_sel:DWORD
	v_mul_u32_u24_sdwa v4, v12, v81 dst_sel:DWORD dst_unused:UNUSED_PAD src0_sel:WORD_0 src1_sel:DWORD
	v_pk_fma_f16 v1, v13, v5, v1
	v_pk_fma_f16 v2, v14, v5, v2
	;; [unrolled: 1-line block ×4, first 2 shown]
	v_mul_u32_u24_sdwa v3, v12, v81 dst_sel:DWORD dst_unused:UNUSED_PAD src0_sel:WORD_1 src1_sel:DWORD
	s_waitcnt lgkmcnt(0)
	s_lshl_b32 s2, s2, 5
	v_pk_fma_f16 v1, v17, v4, v1
	v_pk_fma_f16 v2, v18, v4, v2
	s_add_i32 s15, s2, s15
	s_cmp_ge_i32 s15, s36
	v_pk_fma_f16 v64, v19, v3, v1
	v_pk_fma_f16 v73, v20, v3, v2
	s_cbranch_scc1 .LBB49_21
; %bb.20:                               ;   in Loop: Header=BB49_11 Depth=1
	v_mov_b32_e32 v88, v58
	v_mov_b32_e32 v82, v89
	s_branch .LBB49_11
.LBB49_21:
	v_mov_b32_e32 v2, v63
.LBB49_22:
	v_cmp_lt_i32_e32 vcc_lo, v83, v65
	s_cmp_lg_u64 s[16:17], 0
	s_cselect_b32 s1, -1, 0
	s_cmp_eq_u32 s34, 0
	v_cndmask_b32_e32 v1, v2, v83, vcc_lo
	v_cmp_lt_i32_e32 vcc_lo, v84, v65
	s_cselect_b32 s2, -1, 0
	s_and_b32 s1, s2, s1
	v_lshlrev_b32_e32 v1, 2, v1
	v_cndmask_b32_e32 v3, v2, v84, vcc_lo
	v_cmp_lt_i32_e32 vcc_lo, v85, v65
	ds_bpermute_b32 v1, v1, v89
	v_lshlrev_b32_e32 v3, 2, v3
	v_cndmask_b32_e32 v4, v2, v85, vcc_lo
	v_cmp_lt_i32_e32 vcc_lo, v86, v65
	v_lshlrev_b32_e32 v4, 2, v4
	s_waitcnt lgkmcnt(0)
	v_add_f32_e32 v1, v89, v1
	ds_bpermute_b32 v3, v3, v1
	s_waitcnt lgkmcnt(0)
	v_add_f32_e32 v1, v1, v3
	ds_bpermute_b32 v3, v4, v1
	v_cndmask_b32_e32 v4, v2, v86, vcc_lo
	v_cmp_lt_i32_e32 vcc_lo, v87, v65
	v_lshlrev_b32_e32 v4, 2, v4
	v_cndmask_b32_e32 v2, v2, v87, vcc_lo
	s_and_b32 vcc_lo, exec_lo, s1
	v_lshlrev_b32_e32 v2, 2, v2
	s_waitcnt lgkmcnt(0)
	v_add_f32_e32 v1, v1, v3
	ds_bpermute_b32 v3, v4, v1
	s_waitcnt lgkmcnt(0)
	v_add_f32_e32 v3, v1, v3
	v_add_nc_u32_e32 v1, s14, v59
	ds_bpermute_b32 v2, v2, v3
	s_waitcnt lgkmcnt(0)
	v_add_f32_e32 v59, v3, v2
	s_cbranch_vccz .LBB49_24
; %bb.23:
	v_ashrrev_i32_e32 v2, 31, v1
	v_lshlrev_b64 v[2:3], 2, v[1:2]
	v_add_co_u32 v2, vcc_lo, s16, v2
	v_add_co_ci_u32_e64 v3, null, s17, v3, vcc_lo
	global_load_dword v2, v[2:3], off
	v_max_f32_e32 v3, v58, v58
	s_waitcnt vmcnt(0)
	v_max_f32_e32 v4, v2, v2
	v_max_f32_e32 v3, v3, v4
	v_sub_f32_e32 v4, v58, v3
	v_sub_f32_e32 v2, v2, v3
	v_mov_b32_e32 v58, v3
	v_mul_f32_e32 v5, 0x3fb8aa3b, v4
	v_mul_f32_e32 v6, 0x3fb8aa3b, v2
	v_cmp_ngt_f32_e32 vcc_lo, 0xc2ce8ed0, v4
	v_fma_f32 v7, 0x3fb8aa3b, v4, -v5
	v_rndne_f32_e32 v8, v5
	v_fma_f32 v9, 0x3fb8aa3b, v2, -v6
	v_rndne_f32_e32 v10, v6
	v_fmac_f32_e32 v7, 0x32a5705f, v4
	v_sub_f32_e32 v5, v5, v8
	v_fmac_f32_e32 v9, 0x32a5705f, v2
	v_sub_f32_e32 v6, v6, v10
	v_add_f32_e32 v5, v5, v7
	v_cvt_i32_f32_e32 v7, v8
	v_add_f32_e32 v6, v6, v9
	v_cvt_i32_f32_e32 v8, v10
	v_exp_f32_e32 v5, v5
	v_exp_f32_e32 v6, v6
	v_ldexp_f32 v5, v5, v7
	v_ldexp_f32 v6, v6, v8
	v_cndmask_b32_e32 v5, 0, v5, vcc_lo
	v_cmp_ngt_f32_e32 vcc_lo, 0xc2ce8ed0, v2
	v_cndmask_b32_e32 v6, 0, v6, vcc_lo
	v_cmp_nlt_f32_e32 vcc_lo, 0x42b17218, v4
	v_cndmask_b32_e32 v4, 0x7f800000, v5, vcc_lo
	v_cmp_nlt_f32_e32 vcc_lo, 0x42b17218, v2
	v_mov_b32_e32 v5, 0x10001
	v_cndmask_b32_e32 v2, 0x7f800000, v6, vcc_lo
	v_cvt_f16_f32_e32 v6, v4
	v_fmac_f32_e32 v2, v59, v4
	v_mul_u32_u24_sdwa v4, v6, v5 dst_sel:DWORD dst_unused:UNUSED_PAD src0_sel:WORD_0 src1_sel:DWORD
	v_mov_b32_e32 v59, v2
	v_pk_mul_f16 v64, v64, v4
	v_pk_mul_f16 v73, v73, v4
.LBB49_24:
	s_load_dword s1, s[4:5], 0xd4
	s_mul_i32 s33, s33, s26
	v_add3_u32 v2, s33, s6, v60
	v_mad_u64_u32 v[1:2], null, v2, s27, v[1:2]
	s_waitcnt lgkmcnt(0)
	v_mad_u64_u32 v[1:2], null, s1, v1, s[34:35]
	s_cmp_lg_u32 s1, 1
	s_cselect_b32 s1, -1, 0
	s_and_saveexec_b32 s2, s0
	s_cbranch_execz .LBB49_26
; %bb.25:
	v_div_scale_f32 v2, null, v59, v59, 1.0
	v_div_scale_f32 v5, vcc_lo, 1.0, v59, 1.0
	v_mul_lo_u32 v7, 0x70, v1
	v_rcp_f32_e32 v4, v2
	v_cvt_f32_f16_e32 v8, v73
	v_cvt_f32_f16_sdwa v9, v64 dst_sel:DWORD dst_unused:UNUSED_PAD src0_sel:WORD_1
	v_cvt_f32_f16_e32 v10, v64
	v_fma_f32 v3, -v2, v4, 1.0
	v_fmac_f32_e32 v4, v3, v4
	v_mul_f32_e32 v6, v5, v4
	v_fma_f32 v3, -v2, v6, v5
	v_fmac_f32_e32 v6, v3, v4
	v_mov_b32_e32 v3, 0
	v_fma_f32 v2, -v2, v6, v5
	v_cvt_f32_f16_sdwa v5, v73 dst_sel:DWORD dst_unused:UNUSED_PAD src0_sel:WORD_1
	v_div_fmas_f32 v4, v2, v4, v6
	v_lshl_add_u32 v2, v0, 2, v7
	v_div_fixup_f32 v4, v4, v59, 1.0
	v_lshlrev_b64 v[2:3], 2, v[2:3]
	v_cndmask_b32_e64 v11, v4, 1.0, s1
	v_add_co_u32 v6, vcc_lo, s20, v2
	v_add_co_ci_u32_e64 v7, null, s21, v3, vcc_lo
	v_mul_f32_e32 v5, v11, v5
	v_mul_f32_e32 v4, v11, v8
	;; [unrolled: 1-line block ×4, first 2 shown]
	global_store_dwordx4 v[6:7], v[2:5], off
.LBB49_26:
	s_or_b32 exec_lo, exec_lo, s2
	v_cmp_eq_u32_e32 vcc_lo, 0, v0
	s_and_b32 s0, vcc_lo, s1
	s_and_saveexec_b32 s1, s0
	s_cbranch_execz .LBB49_28
; %bb.27:
	v_ashrrev_i32_e32 v2, 31, v1
	v_lshlrev_b64 v[0:1], 3, v[1:2]
	v_add_co_u32 v0, vcc_lo, s22, v0
	v_add_co_ci_u32_e64 v1, null, s23, v1, vcc_lo
	global_store_dwordx2 v[0:1], v[58:59], off
.LBB49_28:
	s_endpgm
	.section	.rodata,"a",@progbits
	.p2align	6, 0x0
	.amdhsa_kernel _ZL15flash_attn_tileILi112ELi112ELi1ELi2ELb0EEvPKcS1_S1_S1_S1_PKiPfP15HIP_vector_typeIfLj2EEffffjfiS5_IjLj3EEiiiiiiiiiiiliiliiiiil
		.amdhsa_group_segment_fixed_size 4736
		.amdhsa_private_segment_fixed_size 0
		.amdhsa_kernarg_size 464
		.amdhsa_user_sgpr_count 6
		.amdhsa_user_sgpr_private_segment_buffer 1
		.amdhsa_user_sgpr_dispatch_ptr 0
		.amdhsa_user_sgpr_queue_ptr 0
		.amdhsa_user_sgpr_kernarg_segment_ptr 1
		.amdhsa_user_sgpr_dispatch_id 0
		.amdhsa_user_sgpr_flat_scratch_init 0
		.amdhsa_user_sgpr_private_segment_size 0
		.amdhsa_wavefront_size32 1
		.amdhsa_uses_dynamic_stack 0
		.amdhsa_system_sgpr_private_segment_wavefront_offset 0
		.amdhsa_system_sgpr_workgroup_id_x 1
		.amdhsa_system_sgpr_workgroup_id_y 1
		.amdhsa_system_sgpr_workgroup_id_z 1
		.amdhsa_system_sgpr_workgroup_info 0
		.amdhsa_system_vgpr_workitem_id 1
		.amdhsa_next_free_vgpr 106
		.amdhsa_next_free_sgpr 44
		.amdhsa_reserve_vcc 1
		.amdhsa_reserve_flat_scratch 0
		.amdhsa_float_round_mode_32 0
		.amdhsa_float_round_mode_16_64 0
		.amdhsa_float_denorm_mode_32 3
		.amdhsa_float_denorm_mode_16_64 3
		.amdhsa_dx10_clamp 1
		.amdhsa_ieee_mode 1
		.amdhsa_fp16_overflow 0
		.amdhsa_workgroup_processor_mode 1
		.amdhsa_memory_ordered 1
		.amdhsa_forward_progress 1
		.amdhsa_shared_vgpr_count 0
		.amdhsa_exception_fp_ieee_invalid_op 0
		.amdhsa_exception_fp_denorm_src 0
		.amdhsa_exception_fp_ieee_div_zero 0
		.amdhsa_exception_fp_ieee_overflow 0
		.amdhsa_exception_fp_ieee_underflow 0
		.amdhsa_exception_fp_ieee_inexact 0
		.amdhsa_exception_int_div_zero 0
	.end_amdhsa_kernel
	.section	.text._ZL15flash_attn_tileILi112ELi112ELi1ELi2ELb0EEvPKcS1_S1_S1_S1_PKiPfP15HIP_vector_typeIfLj2EEffffjfiS5_IjLj3EEiiiiiiiiiiiliiliiiiil,"axG",@progbits,_ZL15flash_attn_tileILi112ELi112ELi1ELi2ELb0EEvPKcS1_S1_S1_S1_PKiPfP15HIP_vector_typeIfLj2EEffffjfiS5_IjLj3EEiiiiiiiiiiiliiliiiiil,comdat
.Lfunc_end49:
	.size	_ZL15flash_attn_tileILi112ELi112ELi1ELi2ELb0EEvPKcS1_S1_S1_S1_PKiPfP15HIP_vector_typeIfLj2EEffffjfiS5_IjLj3EEiiiiiiiiiiiliiliiiiil, .Lfunc_end49-_ZL15flash_attn_tileILi112ELi112ELi1ELi2ELb0EEvPKcS1_S1_S1_S1_PKiPfP15HIP_vector_typeIfLj2EEffffjfiS5_IjLj3EEiiiiiiiiiiiliiliiiiil
                                        ; -- End function
	.set _ZL15flash_attn_tileILi112ELi112ELi1ELi2ELb0EEvPKcS1_S1_S1_S1_PKiPfP15HIP_vector_typeIfLj2EEffffjfiS5_IjLj3EEiiiiiiiiiiiliiliiiiil.num_vgpr, 106
	.set _ZL15flash_attn_tileILi112ELi112ELi1ELi2ELb0EEvPKcS1_S1_S1_S1_PKiPfP15HIP_vector_typeIfLj2EEffffjfiS5_IjLj3EEiiiiiiiiiiiliiliiiiil.num_agpr, 0
	.set _ZL15flash_attn_tileILi112ELi112ELi1ELi2ELb0EEvPKcS1_S1_S1_S1_PKiPfP15HIP_vector_typeIfLj2EEffffjfiS5_IjLj3EEiiiiiiiiiiiliiliiiiil.numbered_sgpr, 44
	.set _ZL15flash_attn_tileILi112ELi112ELi1ELi2ELb0EEvPKcS1_S1_S1_S1_PKiPfP15HIP_vector_typeIfLj2EEffffjfiS5_IjLj3EEiiiiiiiiiiiliiliiiiil.num_named_barrier, 0
	.set _ZL15flash_attn_tileILi112ELi112ELi1ELi2ELb0EEvPKcS1_S1_S1_S1_PKiPfP15HIP_vector_typeIfLj2EEffffjfiS5_IjLj3EEiiiiiiiiiiiliiliiiiil.private_seg_size, 0
	.set _ZL15flash_attn_tileILi112ELi112ELi1ELi2ELb0EEvPKcS1_S1_S1_S1_PKiPfP15HIP_vector_typeIfLj2EEffffjfiS5_IjLj3EEiiiiiiiiiiiliiliiiiil.uses_vcc, 1
	.set _ZL15flash_attn_tileILi112ELi112ELi1ELi2ELb0EEvPKcS1_S1_S1_S1_PKiPfP15HIP_vector_typeIfLj2EEffffjfiS5_IjLj3EEiiiiiiiiiiiliiliiiiil.uses_flat_scratch, 0
	.set _ZL15flash_attn_tileILi112ELi112ELi1ELi2ELb0EEvPKcS1_S1_S1_S1_PKiPfP15HIP_vector_typeIfLj2EEffffjfiS5_IjLj3EEiiiiiiiiiiiliiliiiiil.has_dyn_sized_stack, 0
	.set _ZL15flash_attn_tileILi112ELi112ELi1ELi2ELb0EEvPKcS1_S1_S1_S1_PKiPfP15HIP_vector_typeIfLj2EEffffjfiS5_IjLj3EEiiiiiiiiiiiliiliiiiil.has_recursion, 0
	.set _ZL15flash_attn_tileILi112ELi112ELi1ELi2ELb0EEvPKcS1_S1_S1_S1_PKiPfP15HIP_vector_typeIfLj2EEffffjfiS5_IjLj3EEiiiiiiiiiiiliiliiiiil.has_indirect_call, 0
	.section	.AMDGPU.csdata,"",@progbits
; Kernel info:
; codeLenInByte = 6292
; TotalNumSgprs: 46
; NumVgprs: 106
; ScratchSize: 0
; MemoryBound: 0
; FloatMode: 240
; IeeeMode: 1
; LDSByteSize: 4736 bytes/workgroup (compile time only)
; SGPRBlocks: 0
; VGPRBlocks: 13
; NumSGPRsForWavesPerEU: 46
; NumVGPRsForWavesPerEU: 106
; Occupancy: 9
; WaveLimiterHint : 1
; COMPUTE_PGM_RSRC2:SCRATCH_EN: 0
; COMPUTE_PGM_RSRC2:USER_SGPR: 6
; COMPUTE_PGM_RSRC2:TRAP_HANDLER: 0
; COMPUTE_PGM_RSRC2:TGID_X_EN: 1
; COMPUTE_PGM_RSRC2:TGID_Y_EN: 1
; COMPUTE_PGM_RSRC2:TGID_Z_EN: 1
; COMPUTE_PGM_RSRC2:TIDIG_COMP_CNT: 1
	.section	.text._ZL33flash_attn_stream_k_fixup_uniformILi112ELi1ELi2EEvPfPK15HIP_vector_typeIfLj2EEiiiiiiS1_IjLj3EES5_S5_,"axG",@progbits,_ZL33flash_attn_stream_k_fixup_uniformILi112ELi1ELi2EEvPfPK15HIP_vector_typeIfLj2EEiiiiiiS1_IjLj3EES5_S5_,comdat
	.globl	_ZL33flash_attn_stream_k_fixup_uniformILi112ELi1ELi2EEvPfPK15HIP_vector_typeIfLj2EEiiiiiiS1_IjLj3EES5_S5_ ; -- Begin function _ZL33flash_attn_stream_k_fixup_uniformILi112ELi1ELi2EEvPfPK15HIP_vector_typeIfLj2EEiiiiiiS1_IjLj3EES5_S5_
	.p2align	8
	.type	_ZL33flash_attn_stream_k_fixup_uniformILi112ELi1ELi2EEvPfPK15HIP_vector_typeIfLj2EEiiiiiiS1_IjLj3EES5_S5_,@function
_ZL33flash_attn_stream_k_fixup_uniformILi112ELi1ELi2EEvPfPK15HIP_vector_typeIfLj2EEiiiiiiS1_IjLj3EES5_S5_: ; @_ZL33flash_attn_stream_k_fixup_uniformILi112ELi1ELi2EEvPfPK15HIP_vector_typeIfLj2EEiiiiiiS1_IjLj3EES5_S5_
; %bb.0:
	s_clause 0x1
	s_load_dwordx8 s[12:19], s[4:5], 0x1c
	s_load_dwordx4 s[20:23], s[4:5], 0x3c
	s_waitcnt lgkmcnt(0)
	s_mul_hi_u32 s0, s15, s6
	s_add_i32 s0, s6, s0
	s_lshr_b32 s2, s0, s16
	s_mul_i32 s0, s2, s17
	s_sub_i32 s9, s6, s0
	s_load_dwordx2 s[0:1], s[4:5], 0x10
	s_mul_hi_u32 s3, s9, s18
	s_add_i32 s3, s9, s3
	s_lshr_b32 s3, s3, s19
	s_mul_i32 s10, s3, s20
	s_sub_i32 s9, s9, s10
	s_mul_hi_u32 s10, s9, s21
	s_add_i32 s10, s9, s10
	s_lshr_b32 s10, s10, s22
	s_mul_i32 s11, s10, s23
	s_lshl_b32 s10, s10, 1
	s_sub_i32 s9, s9, s11
	s_add_i32 s9, s9, s7
	s_waitcnt lgkmcnt(0)
	s_cmp_lt_i32 s9, s0
	s_cselect_b32 s11, -1, 0
	s_add_i32 s10, s10, s8
	s_cmp_lt_i32 s10, s13
	s_cselect_b32 s15, -1, 0
	s_and_b32 s11, s11, s15
	s_andn2_b32 vcc_lo, exec_lo, s11
	s_cbranch_vccnz .LBB50_6
; %bb.1:
	s_mul_i32 s2, s2, s0
	s_mul_i32 s3, s3, s13
	s_add_i32 s0, s9, s2
	s_add_i32 s9, s10, s3
	s_mul_i32 s10, s0, s1
	s_load_dwordx4 s[0:3], s[4:5], 0x0
	s_add_i32 s9, s9, s10
	s_mul_i32 s4, s14, s6
	v_mad_u64_u32 v[1:2], null, 0x70, s9, v[0:1]
	s_add_i32 s10, s4, s14
	v_ashrrev_i32_e32 v2, 31, v1
	v_lshlrev_b64 v[1:2], 2, v[1:2]
	s_waitcnt lgkmcnt(0)
	v_add_co_u32 v1, vcc_lo, s0, v1
	v_add_co_ci_u32_e64 v2, null, s1, v2, vcc_lo
	s_add_i32 s0, s7, s10
	s_lshl_b32 s0, s0, 1
	global_load_dword v5, v[1:2], off
	s_add_i32 s0, s0, s8
	s_add_i32 s0, s0, -2
	s_ashr_i32 s1, s0, 31
	s_lshl_b64 s[0:1], s[0:1], 3
	s_add_u32 s0, s2, s0
	s_addc_u32 s1, s3, s1
	s_add_i32 s5, s10, -2
	s_load_dword s11, s[0:1], 0x4
	s_cmp_lt_i32 s5, s4
	s_cbranch_scc1 .LBB50_4
; %bb.2:
	s_load_dword s13, s[0:1], 0x0
	s_lshl_b32 s16, s12, 3
	s_waitcnt lgkmcnt(0)
	v_mov_b32_e32 v6, s11
	s_ashr_i32 s17, s16, 31
	s_lshl_b64 s[0:1], s[16:17], 2
	s_add_u32 s5, s2, s0
	s_addc_u32 s9, s3, s1
	s_add_i32 s6, s6, 1
	s_mul_i32 s1, s7, 0xe0
	s_mul_i32 s0, s14, s6
	;; [unrolled: 1-line block ×3, first 2 shown]
	s_mulk_i32 s0, 0xe0
	s_add_i32 s1, s6, s1
	s_add_i32 s6, s7, s12
	;; [unrolled: 1-line block ×4, first 2 shown]
	v_add3_u32 v3, s1, v0, 0xfffffe40
	s_lshl_b32 s0, s6, 1
	v_mov_b32_e32 v0, s13
	s_add_i32 s0, s8, s0
	s_add_i32 s6, s10, -1
	s_add_i32 s0, s0, -4
.LBB50_3:                               ; =>This Inner Loop Header: Depth=1
	v_ashrrev_i32_e32 v4, 31, v3
	s_ashr_i32 s1, s0, 31
	s_lshl_b64 s[10:11], s[0:1], 3
	s_add_u32 s10, s2, s10
	v_lshlrev_b64 v[7:8], 2, v[3:4]
	s_addc_u32 s11, s3, s11
	v_add_nc_u32_e32 v3, 0xffffff20, v3
	s_add_i32 s6, s6, -1
	s_add_i32 s0, s0, -2
	s_cmp_le_i32 s6, s4
	v_add_co_u32 v7, vcc_lo, s5, v7
	v_add_co_ci_u32_e64 v8, null, s9, v8, vcc_lo
	s_load_dwordx2 s[10:11], s[10:11], 0x0
	global_load_dword v4, v[7:8], off
	v_max_f32_e32 v7, v0, v0
	s_waitcnt lgkmcnt(0)
	v_max_f32_e64 v8, s10, s10
	v_max_f32_e32 v7, v7, v8
	v_sub_f32_e32 v8, s10, v7
	v_sub_f32_e32 v0, v0, v7
	v_mul_f32_e32 v9, 0x3fb8aa3b, v8
	v_mul_f32_e32 v12, 0x3fb8aa3b, v0
	v_cmp_ngt_f32_e32 vcc_lo, 0xc2ce8ed0, v8
	v_fma_f32 v10, 0x3fb8aa3b, v8, -v9
	v_rndne_f32_e32 v11, v9
	v_fma_f32 v13, 0x3fb8aa3b, v0, -v12
	v_rndne_f32_e32 v14, v12
	v_fmac_f32_e32 v10, 0x32a5705f, v8
	v_sub_f32_e32 v9, v9, v11
	v_fmac_f32_e32 v13, 0x32a5705f, v0
	v_cvt_i32_f32_e32 v11, v11
	v_add_f32_e32 v9, v9, v10
	v_sub_f32_e32 v10, v12, v14
	v_exp_f32_e32 v9, v9
	v_add_f32_e32 v10, v10, v13
	v_exp_f32_e32 v10, v10
	v_ldexp_f32 v9, v9, v11
	v_cvt_i32_f32_e32 v11, v14
	v_cndmask_b32_e32 v9, 0, v9, vcc_lo
	v_cmp_nlt_f32_e32 vcc_lo, 0x42b17218, v8
	v_ldexp_f32 v10, v10, v11
	v_mov_b32_e32 v11, v6
	v_cndmask_b32_e32 v9, 0x7f800000, v9, vcc_lo
	v_cmp_ngt_f32_e32 vcc_lo, 0xc2ce8ed0, v0
	v_cndmask_b32_e32 v10, 0, v10, vcc_lo
	v_cmp_le_f32_e32 vcc_lo, 0xc1a00000, v8
	v_cndmask_b32_e32 v8, 0, v9, vcc_lo
	v_cmp_nlt_f32_e32 vcc_lo, 0x42b17218, v0
	s_waitcnt vmcnt(1)
	v_mov_b32_e32 v9, v5
	v_cndmask_b32_e32 v5, 0x7f800000, v10, vcc_lo
	v_mul_f32_e32 v10, s11, v8
	v_cmp_le_f32_e32 vcc_lo, 0xc1a00000, v0
	v_mov_b32_e32 v0, v7
	v_mov_b32_e32 v6, v10
	v_cndmask_b32_e32 v12, 0, v5, vcc_lo
	v_fmac_f32_e32 v6, v11, v12
	s_waitcnt vmcnt(0)
	v_mul_f32_e32 v5, v4, v8
	v_fmac_f32_e32 v5, v9, v12
	s_cbranch_scc0 .LBB50_3
	s_branch .LBB50_5
.LBB50_4:
	s_waitcnt lgkmcnt(0)
	v_mov_b32_e32 v6, s11
.LBB50_5:
	s_waitcnt vmcnt(0)
	v_div_scale_f32 v0, null, v6, v6, v5
	v_rcp_f32_e32 v3, v0
	v_fma_f32 v4, -v0, v3, 1.0
	v_fmac_f32_e32 v3, v4, v3
	v_div_scale_f32 v4, vcc_lo, v5, v6, v5
	v_mul_f32_e32 v7, v4, v3
	v_fma_f32 v8, -v0, v7, v4
	v_fmac_f32_e32 v7, v8, v3
	v_fma_f32 v0, -v0, v7, v4
	v_div_fmas_f32 v0, v0, v3, v7
	v_div_fixup_f32 v0, v0, v6, v5
	global_store_dword v[1:2], v0, off
.LBB50_6:
	s_endpgm
	.section	.rodata,"a",@progbits
	.p2align	6, 0x0
	.amdhsa_kernel _ZL33flash_attn_stream_k_fixup_uniformILi112ELi1ELi2EEvPfPK15HIP_vector_typeIfLj2EEiiiiiiS1_IjLj3EES5_S5_
		.amdhsa_group_segment_fixed_size 0
		.amdhsa_private_segment_fixed_size 0
		.amdhsa_kernarg_size 76
		.amdhsa_user_sgpr_count 6
		.amdhsa_user_sgpr_private_segment_buffer 1
		.amdhsa_user_sgpr_dispatch_ptr 0
		.amdhsa_user_sgpr_queue_ptr 0
		.amdhsa_user_sgpr_kernarg_segment_ptr 1
		.amdhsa_user_sgpr_dispatch_id 0
		.amdhsa_user_sgpr_flat_scratch_init 0
		.amdhsa_user_sgpr_private_segment_size 0
		.amdhsa_wavefront_size32 1
		.amdhsa_uses_dynamic_stack 0
		.amdhsa_system_sgpr_private_segment_wavefront_offset 0
		.amdhsa_system_sgpr_workgroup_id_x 1
		.amdhsa_system_sgpr_workgroup_id_y 1
		.amdhsa_system_sgpr_workgroup_id_z 1
		.amdhsa_system_sgpr_workgroup_info 0
		.amdhsa_system_vgpr_workitem_id 0
		.amdhsa_next_free_vgpr 15
		.amdhsa_next_free_sgpr 24
		.amdhsa_reserve_vcc 1
		.amdhsa_reserve_flat_scratch 0
		.amdhsa_float_round_mode_32 0
		.amdhsa_float_round_mode_16_64 0
		.amdhsa_float_denorm_mode_32 3
		.amdhsa_float_denorm_mode_16_64 3
		.amdhsa_dx10_clamp 1
		.amdhsa_ieee_mode 1
		.amdhsa_fp16_overflow 0
		.amdhsa_workgroup_processor_mode 1
		.amdhsa_memory_ordered 1
		.amdhsa_forward_progress 1
		.amdhsa_shared_vgpr_count 0
		.amdhsa_exception_fp_ieee_invalid_op 0
		.amdhsa_exception_fp_denorm_src 0
		.amdhsa_exception_fp_ieee_div_zero 0
		.amdhsa_exception_fp_ieee_overflow 0
		.amdhsa_exception_fp_ieee_underflow 0
		.amdhsa_exception_fp_ieee_inexact 0
		.amdhsa_exception_int_div_zero 0
	.end_amdhsa_kernel
	.section	.text._ZL33flash_attn_stream_k_fixup_uniformILi112ELi1ELi2EEvPfPK15HIP_vector_typeIfLj2EEiiiiiiS1_IjLj3EES5_S5_,"axG",@progbits,_ZL33flash_attn_stream_k_fixup_uniformILi112ELi1ELi2EEvPfPK15HIP_vector_typeIfLj2EEiiiiiiS1_IjLj3EES5_S5_,comdat
.Lfunc_end50:
	.size	_ZL33flash_attn_stream_k_fixup_uniformILi112ELi1ELi2EEvPfPK15HIP_vector_typeIfLj2EEiiiiiiS1_IjLj3EES5_S5_, .Lfunc_end50-_ZL33flash_attn_stream_k_fixup_uniformILi112ELi1ELi2EEvPfPK15HIP_vector_typeIfLj2EEiiiiiiS1_IjLj3EES5_S5_
                                        ; -- End function
	.set _ZL33flash_attn_stream_k_fixup_uniformILi112ELi1ELi2EEvPfPK15HIP_vector_typeIfLj2EEiiiiiiS1_IjLj3EES5_S5_.num_vgpr, 15
	.set _ZL33flash_attn_stream_k_fixup_uniformILi112ELi1ELi2EEvPfPK15HIP_vector_typeIfLj2EEiiiiiiS1_IjLj3EES5_S5_.num_agpr, 0
	.set _ZL33flash_attn_stream_k_fixup_uniformILi112ELi1ELi2EEvPfPK15HIP_vector_typeIfLj2EEiiiiiiS1_IjLj3EES5_S5_.numbered_sgpr, 24
	.set _ZL33flash_attn_stream_k_fixup_uniformILi112ELi1ELi2EEvPfPK15HIP_vector_typeIfLj2EEiiiiiiS1_IjLj3EES5_S5_.num_named_barrier, 0
	.set _ZL33flash_attn_stream_k_fixup_uniformILi112ELi1ELi2EEvPfPK15HIP_vector_typeIfLj2EEiiiiiiS1_IjLj3EES5_S5_.private_seg_size, 0
	.set _ZL33flash_attn_stream_k_fixup_uniformILi112ELi1ELi2EEvPfPK15HIP_vector_typeIfLj2EEiiiiiiS1_IjLj3EES5_S5_.uses_vcc, 1
	.set _ZL33flash_attn_stream_k_fixup_uniformILi112ELi1ELi2EEvPfPK15HIP_vector_typeIfLj2EEiiiiiiS1_IjLj3EES5_S5_.uses_flat_scratch, 0
	.set _ZL33flash_attn_stream_k_fixup_uniformILi112ELi1ELi2EEvPfPK15HIP_vector_typeIfLj2EEiiiiiiS1_IjLj3EES5_S5_.has_dyn_sized_stack, 0
	.set _ZL33flash_attn_stream_k_fixup_uniformILi112ELi1ELi2EEvPfPK15HIP_vector_typeIfLj2EEiiiiiiS1_IjLj3EES5_S5_.has_recursion, 0
	.set _ZL33flash_attn_stream_k_fixup_uniformILi112ELi1ELi2EEvPfPK15HIP_vector_typeIfLj2EEiiiiiiS1_IjLj3EES5_S5_.has_indirect_call, 0
	.section	.AMDGPU.csdata,"",@progbits
; Kernel info:
; codeLenInByte = 836
; TotalNumSgprs: 26
; NumVgprs: 15
; ScratchSize: 0
; MemoryBound: 0
; FloatMode: 240
; IeeeMode: 1
; LDSByteSize: 0 bytes/workgroup (compile time only)
; SGPRBlocks: 0
; VGPRBlocks: 1
; NumSGPRsForWavesPerEU: 26
; NumVGPRsForWavesPerEU: 15
; Occupancy: 16
; WaveLimiterHint : 0
; COMPUTE_PGM_RSRC2:SCRATCH_EN: 0
; COMPUTE_PGM_RSRC2:USER_SGPR: 6
; COMPUTE_PGM_RSRC2:TRAP_HANDLER: 0
; COMPUTE_PGM_RSRC2:TGID_X_EN: 1
; COMPUTE_PGM_RSRC2:TGID_Y_EN: 1
; COMPUTE_PGM_RSRC2:TGID_Z_EN: 1
; COMPUTE_PGM_RSRC2:TIDIG_COMP_CNT: 0
	.section	.text._ZL33flash_attn_stream_k_fixup_generalILi112ELi1ELi2EEvPfPK15HIP_vector_typeIfLj2EEiiiiS1_IjLj3EES5_S5_S5_,"axG",@progbits,_ZL33flash_attn_stream_k_fixup_generalILi112ELi1ELi2EEvPfPK15HIP_vector_typeIfLj2EEiiiiS1_IjLj3EES5_S5_S5_,comdat
	.globl	_ZL33flash_attn_stream_k_fixup_generalILi112ELi1ELi2EEvPfPK15HIP_vector_typeIfLj2EEiiiiS1_IjLj3EES5_S5_S5_ ; -- Begin function _ZL33flash_attn_stream_k_fixup_generalILi112ELi1ELi2EEvPfPK15HIP_vector_typeIfLj2EEiiiiS1_IjLj3EES5_S5_S5_
	.p2align	8
	.type	_ZL33flash_attn_stream_k_fixup_generalILi112ELi1ELi2EEvPfPK15HIP_vector_typeIfLj2EEiiiiS1_IjLj3EES5_S5_S5_,@function
_ZL33flash_attn_stream_k_fixup_generalILi112ELi1ELi2EEvPfPK15HIP_vector_typeIfLj2EEiiiiS1_IjLj3EES5_S5_S5_: ; @_ZL33flash_attn_stream_k_fixup_generalILi112ELi1ELi2EEvPfPK15HIP_vector_typeIfLj2EEiiiiS1_IjLj3EES5_S5_S5_
; %bb.0:
	s_clause 0x1
	s_load_dwordx4 s[0:3], s[4:5], 0x10
	s_load_dword s9, s[4:5], 0x50
	s_mov_b32 s16, 0
	s_waitcnt lgkmcnt(0)
	s_mul_hi_i32 s17, s3, s6
	s_mul_i32 s18, s3, s6
	s_cmp_lg_u64 s[16:17], 0
	s_cbranch_scc0 .LBB51_21
; %bb.1:
	s_add_u32 s10, s9, 0
	s_addc_u32 s11, 0, 0
	s_xor_b64 s[10:11], s[10:11], 0
	v_cvt_f32_u32_e32 v1, s10
	v_cvt_f32_u32_e32 v2, s11
	s_sub_u32 s14, 0, s10
	s_subb_u32 s15, 0, s11
	v_fmamk_f32 v1, v2, 0x4f800000, v1
	v_rcp_f32_e32 v1, v1
	v_mul_f32_e32 v1, 0x5f7ffffc, v1
	v_mul_f32_e32 v2, 0x2f800000, v1
	v_trunc_f32_e32 v2, v2
	v_fmamk_f32 v1, v2, 0xcf800000, v1
	v_cvt_u32_f32_e32 v2, v2
	v_cvt_u32_f32_e32 v1, v1
	v_readfirstlane_b32 s12, v2
	v_readfirstlane_b32 s13, v1
	s_mul_i32 s19, s14, s12
	s_mul_hi_u32 s21, s14, s13
	s_mul_i32 s20, s15, s13
	s_add_i32 s19, s21, s19
	s_mul_i32 s22, s14, s13
	s_add_i32 s19, s19, s20
	s_mul_hi_u32 s21, s13, s22
	s_mul_i32 s24, s13, s19
	s_mul_hi_u32 s23, s12, s22
	s_mul_i32 s20, s12, s22
	s_mul_hi_u32 s22, s13, s19
	s_add_u32 s21, s21, s24
	s_addc_u32 s22, 0, s22
	s_mul_hi_u32 s25, s12, s19
	s_add_u32 s20, s21, s20
	s_mul_i32 s19, s12, s19
	s_addc_u32 s20, s22, s23
	s_addc_u32 s21, s25, 0
	s_add_u32 s19, s20, s19
	s_addc_u32 s20, 0, s21
	s_add_u32 s13, s13, s19
	s_cselect_b32 s19, -1, 0
	s_mul_hi_u32 s21, s14, s13
	s_cmp_lg_u32 s19, 0
	s_mul_i32 s19, s14, s13
	s_addc_u32 s12, s12, s20
	s_mul_i32 s15, s15, s13
	s_mul_i32 s14, s14, s12
	s_mul_hi_u32 s20, s13, s19
	s_add_i32 s14, s21, s14
	s_mul_hi_u32 s21, s12, s19
	s_add_i32 s14, s14, s15
	s_mul_i32 s15, s12, s19
	s_mul_i32 s23, s13, s14
	s_mul_hi_u32 s22, s13, s14
	s_add_u32 s20, s20, s23
	s_addc_u32 s22, 0, s22
	s_mul_hi_u32 s19, s12, s14
	s_add_u32 s15, s20, s15
	s_mul_i32 s14, s12, s14
	s_addc_u32 s15, s22, s21
	s_addc_u32 s19, s19, 0
	s_add_u32 s14, s15, s14
	s_addc_u32 s15, 0, s19
	s_add_u32 s19, s13, s14
	s_cselect_b32 s13, -1, 0
	s_cmp_lg_u32 s13, 0
	s_addc_u32 s20, s12, s15
	s_ashr_i32 s12, s17, 31
	s_add_u32 s14, s18, s12
	s_mov_b32 s13, s12
	s_addc_u32 s15, s17, s12
	s_xor_b64 s[14:15], s[14:15], s[12:13]
	s_mul_i32 s21, s14, s20
	s_mul_hi_u32 s22, s14, s19
	s_mul_hi_u32 s17, s14, s20
	;; [unrolled: 1-line block ×3, first 2 shown]
	s_mul_i32 s19, s15, s19
	s_add_u32 s21, s22, s21
	s_addc_u32 s17, 0, s17
	s_mul_hi_u32 s23, s15, s20
	s_add_u32 s19, s21, s19
	s_mul_i32 s20, s15, s20
	s_addc_u32 s17, s17, s24
	s_addc_u32 s19, s23, 0
	s_add_u32 s17, s17, s20
	s_addc_u32 s19, 0, s19
	s_mul_hi_u32 s20, s10, s17
	s_mul_i32 s21, s10, s19
	s_mul_i32 s22, s11, s17
	s_add_i32 s20, s20, s21
	s_mul_i32 s21, s10, s17
	s_add_i32 s20, s20, s22
	s_sub_i32 s22, s15, s20
	s_sub_u32 s14, s14, s21
	s_cselect_b32 s21, -1, 0
	s_cmp_lg_u32 s21, 0
	s_subb_u32 s22, s22, s11
	s_sub_u32 s23, s14, s10
	s_cselect_b32 s24, -1, 0
	s_cmp_lg_u32 s24, 0
	s_subb_u32 s22, s22, 0
	s_cmp_ge_u32 s22, s11
	s_cselect_b32 s24, -1, 0
	s_cmp_ge_u32 s23, s10
	s_cselect_b32 s23, -1, 0
	s_cmp_eq_u32 s22, s11
	s_cselect_b32 s22, s23, s24
	s_add_u32 s23, s17, 1
	s_addc_u32 s24, s19, 0
	s_add_u32 s25, s17, 2
	s_addc_u32 s26, s19, 0
	s_cmp_lg_u32 s22, 0
	s_cselect_b32 s22, s25, s23
	s_cselect_b32 s23, s26, s24
	s_cmp_lg_u32 s21, 0
	s_subb_u32 s15, s15, s20
	s_cmp_ge_u32 s15, s11
	s_cselect_b32 s20, -1, 0
	s_cmp_ge_u32 s14, s10
	s_cselect_b32 s10, -1, 0
	s_cmp_eq_u32 s15, s11
	s_cselect_b32 s10, s10, s20
	s_cmp_lg_u32 s10, 0
	s_cselect_b32 s11, s23, s19
	s_cselect_b32 s10, s22, s17
	s_xor_b64 s[12:13], s[12:13], 0
	s_xor_b64 s[10:11], s[10:11], s[12:13]
	s_sub_u32 s10, s10, s12
	s_load_dwordx4 s[12:15], s[4:5], 0x44
	s_andn2_b32 vcc_lo, exec_lo, s16
	s_cbranch_vccnz .LBB51_3
.LBB51_2:
	v_cvt_f32_u32_e32 v1, s9
	s_sub_i32 s11, 0, s9
	v_rcp_iflag_f32_e32 v1, v1
	v_mul_f32_e32 v1, 0x4f7ffffe, v1
	v_cvt_u32_f32_e32 v1, v1
	v_readfirstlane_b32 s10, v1
	s_mul_i32 s11, s11, s10
	s_mul_hi_u32 s11, s10, s11
	s_add_i32 s10, s10, s11
	s_mul_hi_u32 s10, s18, s10
	s_mul_i32 s11, s10, s9
	s_waitcnt lgkmcnt(0)
	s_add_i32 s15, s10, 1
	s_sub_i32 s11, s18, s11
	s_sub_i32 s16, s11, s9
	s_cmp_ge_u32 s11, s9
	s_cselect_b32 s10, s15, s10
	s_cselect_b32 s11, s16, s11
	s_add_i32 s15, s10, 1
	s_cmp_ge_u32 s11, s9
	s_cselect_b32 s10, s15, s10
.LBB51_3:
	s_add_i32 s11, s6, 1
	s_mov_b32 s16, 0
	s_mul_hi_i32 s17, s3, s11
	s_mul_i32 s11, s3, s11
	s_cmp_lg_u64 s[16:17], 0
	s_cbranch_scc0 .LBB51_22
; %bb.4:
	s_add_u32 s18, s9, 0
	s_addc_u32 s19, 0, 0
	s_xor_b64 s[18:19], s[18:19], 0
	v_cvt_f32_u32_e32 v1, s18
	v_cvt_f32_u32_e32 v2, s19
	s_sub_u32 s21, 0, s18
	s_subb_u32 s22, 0, s19
	v_fmamk_f32 v1, v2, 0x4f800000, v1
	v_rcp_f32_e32 v1, v1
	v_mul_f32_e32 v1, 0x5f7ffffc, v1
	v_mul_f32_e32 v2, 0x2f800000, v1
	v_trunc_f32_e32 v2, v2
	v_fmamk_f32 v1, v2, 0xcf800000, v1
	v_cvt_u32_f32_e32 v2, v2
	v_cvt_u32_f32_e32 v1, v1
	s_waitcnt lgkmcnt(0)
	v_readfirstlane_b32 s15, v2
	v_readfirstlane_b32 s20, v1
	s_mul_i32 s23, s21, s15
	s_mul_hi_u32 s25, s21, s20
	s_mul_i32 s24, s22, s20
	s_add_i32 s23, s25, s23
	s_mul_i32 s26, s21, s20
	s_add_i32 s23, s23, s24
	s_mul_hi_u32 s25, s20, s26
	s_mul_i32 s28, s20, s23
	s_mul_hi_u32 s27, s15, s26
	s_mul_i32 s24, s15, s26
	s_mul_hi_u32 s26, s20, s23
	s_add_u32 s25, s25, s28
	s_addc_u32 s26, 0, s26
	s_mul_hi_u32 s29, s15, s23
	s_add_u32 s24, s25, s24
	s_mul_i32 s23, s15, s23
	s_addc_u32 s24, s26, s27
	s_addc_u32 s25, s29, 0
	s_add_u32 s23, s24, s23
	s_addc_u32 s24, 0, s25
	s_add_u32 s20, s20, s23
	s_cselect_b32 s23, -1, 0
	s_mul_hi_u32 s25, s21, s20
	s_cmp_lg_u32 s23, 0
	s_mul_i32 s23, s21, s20
	s_addc_u32 s15, s15, s24
	s_mul_i32 s22, s22, s20
	s_mul_i32 s21, s21, s15
	s_mul_hi_u32 s24, s20, s23
	s_add_i32 s21, s25, s21
	s_mul_hi_u32 s25, s15, s23
	s_add_i32 s21, s21, s22
	s_mul_i32 s22, s15, s23
	s_mul_i32 s27, s20, s21
	s_mul_hi_u32 s26, s20, s21
	s_add_u32 s24, s24, s27
	s_addc_u32 s26, 0, s26
	s_mul_hi_u32 s23, s15, s21
	s_add_u32 s22, s24, s22
	s_mul_i32 s21, s15, s21
	s_addc_u32 s22, s26, s25
	s_addc_u32 s23, s23, 0
	s_add_u32 s21, s22, s21
	s_addc_u32 s22, 0, s23
	s_add_u32 s24, s20, s21
	s_cselect_b32 s20, -1, 0
	s_cmp_lg_u32 s20, 0
	s_addc_u32 s15, s15, s22
	s_ashr_i32 s20, s17, 31
	s_add_u32 s22, s11, s20
	s_mov_b32 s21, s20
	s_addc_u32 s23, s17, s20
	s_xor_b64 s[22:23], s[22:23], s[20:21]
	s_mul_i32 s25, s22, s15
	s_mul_hi_u32 s26, s22, s24
	s_mul_hi_u32 s17, s22, s15
	;; [unrolled: 1-line block ×3, first 2 shown]
	s_mul_i32 s24, s23, s24
	s_add_u32 s25, s26, s25
	s_addc_u32 s17, 0, s17
	s_mul_hi_u32 s27, s23, s15
	s_add_u32 s24, s25, s24
	s_mul_i32 s15, s23, s15
	s_addc_u32 s17, s17, s28
	s_addc_u32 s24, s27, 0
	s_add_u32 s15, s17, s15
	s_addc_u32 s17, 0, s24
	s_mul_hi_u32 s24, s18, s15
	s_mul_i32 s25, s18, s17
	s_mul_i32 s26, s19, s15
	s_add_i32 s24, s24, s25
	s_mul_i32 s25, s18, s15
	s_add_i32 s24, s24, s26
	s_sub_i32 s26, s23, s24
	s_sub_u32 s22, s22, s25
	s_cselect_b32 s25, -1, 0
	s_cmp_lg_u32 s25, 0
	s_subb_u32 s26, s26, s19
	s_sub_u32 s27, s22, s18
	s_cselect_b32 s28, -1, 0
	s_cmp_lg_u32 s28, 0
	s_subb_u32 s26, s26, 0
	s_cmp_ge_u32 s26, s19
	s_cselect_b32 s28, -1, 0
	s_cmp_ge_u32 s27, s18
	s_cselect_b32 s27, -1, 0
	s_cmp_eq_u32 s26, s19
	s_cselect_b32 s26, s27, s28
	s_add_u32 s27, s15, 1
	s_addc_u32 s28, s17, 0
	s_add_u32 s29, s15, 2
	s_addc_u32 s30, s17, 0
	s_cmp_lg_u32 s26, 0
	s_cselect_b32 s26, s29, s27
	s_cselect_b32 s27, s30, s28
	s_cmp_lg_u32 s25, 0
	s_subb_u32 s23, s23, s24
	s_cmp_ge_u32 s23, s19
	s_cselect_b32 s24, -1, 0
	s_cmp_ge_u32 s22, s18
	s_cselect_b32 s18, -1, 0
	s_cmp_eq_u32 s23, s19
	s_cselect_b32 s18, s18, s24
	s_cmp_lg_u32 s18, 0
	s_cselect_b32 s19, s27, s17
	s_cselect_b32 s18, s26, s15
	s_xor_b64 s[20:21], s[20:21], 0
	s_xor_b64 s[18:19], s[18:19], s[20:21]
	s_sub_u32 s18, s18, s20
	s_andn2_b32 vcc_lo, exec_lo, s16
	s_cbranch_vccnz .LBB51_6
.LBB51_5:
	v_cvt_f32_u32_e32 v1, s9
	s_sub_i32 s16, 0, s9
	v_rcp_iflag_f32_e32 v1, v1
	v_mul_f32_e32 v1, 0x4f7ffffe, v1
	v_cvt_u32_f32_e32 v1, v1
	s_waitcnt lgkmcnt(0)
	v_readfirstlane_b32 s15, v1
	s_mul_i32 s16, s16, s15
	s_mul_hi_u32 s16, s15, s16
	s_add_i32 s15, s15, s16
	s_mul_hi_u32 s15, s11, s15
	s_mul_i32 s16, s15, s9
	s_sub_i32 s11, s11, s16
	s_add_i32 s16, s15, 1
	s_sub_i32 s17, s11, s9
	s_cmp_ge_u32 s11, s9
	s_cselect_b32 s15, s16, s15
	s_cselect_b32 s11, s17, s11
	s_add_i32 s16, s15, 1
	s_cmp_ge_u32 s11, s9
	s_cselect_b32 s18, s16, s15
.LBB51_6:
	s_cmp_eq_u32 s10, s18
	s_waitcnt lgkmcnt(0)
	s_mul_hi_u32 s11, s10, s12
	s_cselect_b32 s15, -1, 0
	s_add_i32 s11, s11, s10
	s_lshr_b32 s11, s11, s13
	s_mul_i32 s16, s11, s14
	s_cmp_eq_u32 s16, s10
	s_mul_hi_u32 s16, s18, s12
	s_cselect_b32 s17, -1, 0
	s_add_i32 s16, s16, s18
	s_lshr_b32 s16, s16, s13
	s_cmp_eq_u32 s11, s16
	s_mul_i32 s16, s16, s14
	s_cselect_b32 s19, -1, 0
	s_cmp_lg_u32 s16, s18
	s_cselect_b32 s16, -1, 0
	s_or_b32 s15, s15, s17
	s_and_b32 s16, s19, s16
	s_or_b32 s15, s15, s16
	s_and_b32 vcc_lo, exec_lo, s15
	s_cbranch_vccnz .LBB51_24
; %bb.7:
	s_load_dwordx8 s[16:23], s[4:5], 0x20
	s_waitcnt lgkmcnt(0)
	s_mul_hi_u32 s15, s10, s16
	s_load_dword s16, s[4:5], 0x40
	s_add_i32 s15, s15, s10
	s_lshr_b32 s15, s15, s17
	s_mul_i32 s17, s15, s18
	s_sub_i32 s17, s10, s17
	s_mul_hi_u32 s18, s17, s19
	s_add_i32 s18, s17, s18
	s_lshr_b32 s20, s18, s20
	s_mul_i32 s18, s20, s21
	s_sub_i32 s17, s17, s18
	s_mul_hi_u32 s18, s17, s22
	s_add_i32 s18, s17, s18
	s_lshr_b32 s18, s18, s23
	s_waitcnt lgkmcnt(0)
	s_mul_i32 s16, s18, s16
	s_lshl_b32 s22, s18, 1
	s_sub_i32 s16, s17, s16
	s_mul_hi_u32 s17, s16, s12
	s_add_i32 s16, s16, s17
	s_lshr_b32 s21, s16, s13
	s_add_i32 s21, s21, s7
	s_cmp_lt_i32 s21, s0
	s_cselect_b32 s16, -1, 0
	s_add_i32 s22, s22, s8
	s_cmp_lt_i32 s22, s2
	s_cselect_b32 s17, -1, 0
	s_and_b32 s16, s16, s17
	s_andn2_b32 vcc_lo, exec_lo, s16
	s_cbranch_vccnz .LBB51_24
; %bb.8:
	s_load_dwordx4 s[16:19], s[4:5], 0x0
	s_mov_b32 s4, 0
	s_lshl_b32 s24, s9, 3
	s_mov_b32 s25, s4
	s_lshl_b32 s5, s7, 1
	s_lshl_b64 s[24:25], s[24:25], 2
	s_mul_i32 s0, s15, s0
	s_add_i32 s5, s5, s8
	s_mul_i32 s20, s20, s2
	v_cvt_f32_u32_e32 v3, s9
	v_rcp_iflag_f32_e32 v3, v3
	s_waitcnt lgkmcnt(0)
	s_add_u32 s2, s18, s24
	s_addc_u32 s15, s19, s25
	s_add_i32 s0, s21, s0
	s_add_i32 s20, s22, s20
	s_mul_i32 s0, s0, s1
	v_mul_f32_e32 v7, 0x4f7ffffe, v3
	s_add_i32 s20, s20, s0
	s_add_i32 s0, s7, s6
	v_mad_u64_u32 v[1:2], null, 0x70, s20, v[0:1]
	s_lshl_b32 s0, s0, 1
	s_add_i32 s0, s0, s8
	s_ashr_i32 s1, s0, 31
	v_ashrrev_i32_e32 v2, 31, v1
	s_lshl_b64 s[0:1], s[0:1], 3
	s_add_u32 s0, s18, s0
	s_addc_u32 s1, s19, s1
	v_lshlrev_b64 v[1:2], 2, v[1:2]
	s_load_dwordx2 s[0:1], s[0:1], 0x0
	v_add_co_u32 v1, vcc_lo, s16, v1
	v_add_co_ci_u32_e64 v2, null, s17, v2, vcc_lo
	s_add_i32 s17, s6, -1
	v_mad_u64_u32 v[3:4], null, 0x70, s5, v[0:1]
	global_load_dword v5, v[1:2], off
	v_cvt_u32_f32_e32 v0, v7
	s_add_i32 s16, s9, s7
	s_waitcnt lgkmcnt(0)
	v_mov_b32_e32 v4, s1
	v_mov_b32_e32 v6, s0
.LBB51_9:                               ; =>This Inner Loop Header: Depth=1
	s_mul_hi_i32 s5, s17, s3
	s_mul_i32 s6, s17, s3
	s_cmp_lg_u64 s[4:5], 0
	s_mov_b32 s7, -1
                                        ; implicit-def: $sgpr0_sgpr1
	s_cbranch_scc0 .LBB51_11
; %bb.10:                               ;   in Loop: Header=BB51_9 Depth=1
	s_add_u32 s0, s9, 0
	s_addc_u32 s1, 0, 0
	s_xor_b64 s[0:1], s[0:1], 0
	v_cvt_f32_u32_e32 v7, s0
	v_cvt_f32_u32_e32 v8, s1
	s_sub_u32 s21, 0, s0
	s_subb_u32 s22, 0, s1
	v_fmac_f32_e32 v7, 0x4f800000, v8
	v_rcp_f32_e32 v7, v7
	v_mul_f32_e32 v7, 0x5f7ffffc, v7
	v_mul_f32_e32 v8, 0x2f800000, v7
	v_trunc_f32_e32 v8, v8
	v_fmac_f32_e32 v7, 0xcf800000, v8
	v_cvt_u32_f32_e32 v8, v8
	v_cvt_u32_f32_e32 v7, v7
	v_readfirstlane_b32 s7, v8
	v_readfirstlane_b32 s20, v7
	s_mul_i32 s23, s21, s7
	s_mul_hi_u32 s25, s21, s20
	s_mul_i32 s24, s22, s20
	s_add_i32 s23, s25, s23
	s_mul_i32 s26, s21, s20
	s_add_i32 s23, s23, s24
	s_mul_hi_u32 s25, s20, s26
	s_mul_i32 s28, s20, s23
	s_mul_hi_u32 s27, s7, s26
	s_mul_i32 s24, s7, s26
	s_mul_hi_u32 s26, s20, s23
	s_add_u32 s25, s25, s28
	s_addc_u32 s26, 0, s26
	s_mul_hi_u32 s29, s7, s23
	s_add_u32 s24, s25, s24
	s_mul_i32 s23, s7, s23
	s_addc_u32 s24, s26, s27
	s_addc_u32 s25, s29, 0
	s_add_u32 s23, s24, s23
	s_addc_u32 s24, 0, s25
	s_add_u32 s20, s20, s23
	s_cselect_b32 s23, -1, 0
	s_mul_hi_u32 s25, s21, s20
	s_cmp_lg_u32 s23, 0
	s_mul_i32 s23, s21, s20
	s_addc_u32 s7, s7, s24
	s_mul_i32 s22, s22, s20
	s_mul_i32 s21, s21, s7
	s_mul_hi_u32 s24, s20, s23
	s_add_i32 s21, s25, s21
	s_mul_hi_u32 s25, s7, s23
	s_add_i32 s21, s21, s22
	s_mul_i32 s22, s7, s23
	s_mul_i32 s27, s20, s21
	s_mul_hi_u32 s26, s20, s21
	s_add_u32 s24, s24, s27
	s_addc_u32 s26, 0, s26
	s_mul_hi_u32 s23, s7, s21
	s_add_u32 s22, s24, s22
	s_mul_i32 s21, s7, s21
	s_addc_u32 s22, s26, s25
	s_addc_u32 s23, s23, 0
	s_add_u32 s21, s22, s21
	s_addc_u32 s22, 0, s23
	s_add_u32 s24, s20, s21
	s_cselect_b32 s20, -1, 0
	s_cmp_lg_u32 s20, 0
	s_addc_u32 s7, s7, s22
	s_ashr_i32 s20, s5, 31
	s_add_u32 s22, s6, s20
	s_mov_b32 s21, s20
	s_addc_u32 s23, s5, s20
	s_xor_b64 s[22:23], s[22:23], s[20:21]
	s_mul_i32 s25, s22, s7
	s_mul_hi_u32 s26, s22, s24
	s_mul_hi_u32 s5, s22, s7
	;; [unrolled: 1-line block ×3, first 2 shown]
	s_mul_i32 s24, s23, s24
	s_add_u32 s25, s26, s25
	s_addc_u32 s5, 0, s5
	s_mul_hi_u32 s27, s23, s7
	s_add_u32 s24, s25, s24
	s_mul_i32 s7, s23, s7
	s_addc_u32 s5, s5, s28
	s_addc_u32 s24, s27, 0
	s_add_u32 s5, s5, s7
	s_addc_u32 s7, 0, s24
	s_mul_hi_u32 s24, s0, s5
	s_mul_i32 s25, s0, s7
	s_mul_i32 s26, s1, s5
	s_add_i32 s24, s24, s25
	s_mul_i32 s25, s0, s5
	s_add_i32 s24, s24, s26
	s_sub_i32 s26, s23, s24
	s_sub_u32 s22, s22, s25
	s_cselect_b32 s25, -1, 0
	s_cmp_lg_u32 s25, 0
	s_subb_u32 s26, s26, s1
	s_sub_u32 s27, s22, s0
	s_cselect_b32 s28, -1, 0
	s_cmp_lg_u32 s28, 0
	s_subb_u32 s26, s26, 0
	s_cmp_ge_u32 s26, s1
	s_cselect_b32 s28, -1, 0
	s_cmp_ge_u32 s27, s0
	s_cselect_b32 s27, -1, 0
	s_cmp_eq_u32 s26, s1
	s_cselect_b32 s26, s27, s28
	s_add_u32 s27, s5, 1
	s_addc_u32 s28, s7, 0
	s_add_u32 s29, s5, 2
	s_addc_u32 s30, s7, 0
	s_cmp_lg_u32 s26, 0
	s_cselect_b32 s26, s29, s27
	s_cselect_b32 s27, s30, s28
	s_cmp_lg_u32 s25, 0
	s_subb_u32 s23, s23, s24
	s_cmp_ge_u32 s23, s1
	s_cselect_b32 s24, -1, 0
	s_cmp_ge_u32 s22, s0
	s_cselect_b32 s0, -1, 0
	s_cmp_eq_u32 s23, s1
	s_cselect_b32 s0, s0, s24
	s_cmp_lg_u32 s0, 0
	s_cselect_b32 s1, s27, s7
	s_cselect_b32 s0, s26, s5
	s_xor_b64 s[20:21], s[20:21], 0
	s_mov_b32 s7, 0
	s_xor_b64 s[0:1], s[0:1], s[20:21]
	s_sub_u32 s0, s0, s20
.LBB51_11:                              ;   in Loop: Header=BB51_9 Depth=1
	s_andn2_b32 vcc_lo, exec_lo, s7
	s_cbranch_vccnz .LBB51_13
; %bb.12:                               ;   in Loop: Header=BB51_9 Depth=1
	v_readfirstlane_b32 s0, v0
	s_sub_i32 s1, 0, s9
	s_mul_i32 s1, s1, s0
	s_mul_hi_u32 s1, s0, s1
	s_add_i32 s0, s0, s1
	s_mul_hi_u32 s0, s6, s0
	s_mul_i32 s1, s0, s9
	s_add_i32 s5, s0, 1
	s_sub_i32 s1, s6, s1
	s_sub_i32 s6, s1, s9
	s_cmp_ge_u32 s1, s9
	s_cselect_b32 s0, s5, s0
	s_cselect_b32 s1, s6, s1
	s_add_i32 s5, s0, 1
	s_cmp_ge_u32 s1, s9
	s_cselect_b32 s0, s5, s0
.LBB51_13:                              ;   in Loop: Header=BB51_9 Depth=1
	s_cmp_lg_u32 s10, s0
	s_mov_b32 s6, -1
                                        ; implicit-def: $sgpr5
                                        ; implicit-def: $vgpr8
                                        ; implicit-def: $vgpr7
                                        ; implicit-def: $vgpr9
                                        ; implicit-def: $sgpr1
                                        ; implicit-def: $sgpr20
	s_cbranch_scc0 .LBB51_18
; %bb.14:                               ;   in Loop: Header=BB51_9 Depth=1
	s_add_i32 s1, s16, s17
	s_mov_b32 s7, s4
	s_lshl_b32 s1, s1, 1
	s_mov_b32 s20, s10
	s_add_i32 s6, s1, s8
	s_mul_hi_u32 s1, s0, s12
	s_lshl_b64 s[6:7], s[6:7], 3
	s_add_u32 s6, s18, s6
	s_addc_u32 s7, s19, s7
	s_add_i32 s1, s1, s0
	s_lshr_b32 s1, s1, s13
	s_mul_i32 s5, s1, s14
	s_cmp_eq_u32 s5, s0
	s_cselect_b32 s5, -1, 0
	s_cmp_lt_u32 s1, s11
	s_cselect_b32 s1, -1, 0
	s_or_b32 s1, s1, s5
	s_mov_b32 s5, -1
	s_and_b32 vcc_lo, exec_lo, s1
	s_mov_b32 s1, s17
	s_cbranch_vccnz .LBB51_16
; %bb.15:                               ;   in Loop: Header=BB51_9 Depth=1
	s_add_i32 s1, s17, -1
	s_mov_b32 s5, 0
	s_mov_b32 s20, s0
.LBB51_16:                              ;   in Loop: Header=BB51_9 Depth=1
	v_mad_u64_u32 v[7:8], null, 0xe0, s17, v[3:4]
	s_load_dwordx2 s[6:7], s[6:7], 0x0
	v_ashrrev_i32_e32 v8, 31, v7
	v_lshlrev_b64 v[7:8], 2, v[7:8]
	v_add_co_u32 v7, vcc_lo, s2, v7
	v_add_co_ci_u32_e64 v8, null, s15, v8, vcc_lo
	s_waitcnt lgkmcnt(0)
	v_max_f32_e64 v9, s6, s6
	global_load_dword v8, v[7:8], off
	v_max_f32_e32 v7, v6, v6
	v_max_f32_e32 v7, v7, v9
	v_sub_f32_e32 v9, s6, v7
	v_sub_f32_e32 v10, v6, v7
	v_mul_f32_e32 v11, 0x3fb8aa3b, v9
	v_mul_f32_e32 v12, 0x3fb8aa3b, v10
	v_cmp_ngt_f32_e32 vcc_lo, 0xc2ce8ed0, v9
	v_fma_f32 v13, 0x3fb8aa3b, v9, -v11
	v_rndne_f32_e32 v14, v11
	v_fma_f32 v15, 0x3fb8aa3b, v10, -v12
	v_rndne_f32_e32 v16, v12
	v_fmac_f32_e32 v13, 0x32a5705f, v9
	v_sub_f32_e32 v11, v11, v14
	v_fmac_f32_e32 v15, 0x32a5705f, v10
	v_sub_f32_e32 v12, v12, v16
	v_add_f32_e32 v11, v11, v13
	v_cvt_i32_f32_e32 v13, v14
	v_add_f32_e32 v12, v12, v15
	v_cvt_i32_f32_e32 v14, v16
	v_exp_f32_e32 v11, v11
	v_exp_f32_e32 v12, v12
	v_ldexp_f32 v11, v11, v13
	v_ldexp_f32 v12, v12, v14
	v_cndmask_b32_e32 v11, 0, v11, vcc_lo
	v_cmp_ngt_f32_e32 vcc_lo, 0xc2ce8ed0, v10
	v_cndmask_b32_e32 v12, 0, v12, vcc_lo
	v_cmp_nlt_f32_e32 vcc_lo, 0x42b17218, v9
	v_cndmask_b32_e32 v11, 0x7f800000, v11, vcc_lo
	v_cmp_nlt_f32_e32 vcc_lo, 0x42b17218, v10
	v_cndmask_b32_e32 v12, 0x7f800000, v12, vcc_lo
	v_cmp_le_f32_e32 vcc_lo, 0xc1a00000, v9
	v_cndmask_b32_e32 v9, 0, v11, vcc_lo
	v_cmp_le_f32_e32 vcc_lo, 0xc1a00000, v10
	v_cndmask_b32_e32 v10, 0, v12, vcc_lo
	s_waitcnt vmcnt(0)
	v_mul_f32_e32 v8, v8, v9
	v_mul_f32_e32 v9, s7, v9
	v_fmac_f32_e32 v8, v5, v10
	v_fmac_f32_e32 v9, v4, v10
	s_cbranch_execz .LBB51_19
.LBB51_17:                              ;   in Loop: Header=BB51_9 Depth=1
	s_andn2_b32 vcc_lo, exec_lo, s5
	s_cbranch_vccnz .LBB51_20
	s_branch .LBB51_23
.LBB51_18:                              ;   in Loop: Header=BB51_9 Depth=1
	s_andn2_b32 vcc_lo, exec_lo, s6
	s_cbranch_vccnz .LBB51_17
.LBB51_19:                              ;   in Loop: Header=BB51_9 Depth=1
	v_mov_b32_e32 v9, v4
	v_mov_b32_e32 v7, v6
	s_waitcnt vmcnt(0)
	v_mov_b32_e32 v8, v5
	s_add_i32 s1, s17, -1
	s_mov_b32 s20, s10
	s_cbranch_execz .LBB51_23
.LBB51_20:                              ;   in Loop: Header=BB51_9 Depth=1
	v_mov_b32_e32 v4, v9
	v_mov_b32_e32 v6, v7
	s_waitcnt vmcnt(0)
	v_mov_b32_e32 v5, v8
	s_mov_b32 s10, s20
	s_mov_b32 s17, s1
	s_branch .LBB51_9
.LBB51_21:
                                        ; implicit-def: $sgpr10_sgpr11
	s_load_dwordx4 s[12:15], s[4:5], 0x44
	s_branch .LBB51_2
.LBB51_22:
                                        ; implicit-def: $sgpr18_sgpr19
	s_branch .LBB51_5
.LBB51_23:
	v_div_scale_f32 v0, null, v9, v9, v8
	v_rcp_f32_e32 v3, v0
	v_fma_f32 v4, -v0, v3, 1.0
	v_fmac_f32_e32 v3, v4, v3
	v_div_scale_f32 v4, vcc_lo, v8, v9, v8
	s_waitcnt vmcnt(0)
	v_mul_f32_e32 v5, v4, v3
	v_fma_f32 v6, -v0, v5, v4
	v_fmac_f32_e32 v5, v6, v3
	v_fma_f32 v0, -v0, v5, v4
	v_div_fmas_f32 v0, v0, v3, v5
	v_div_fixup_f32 v0, v0, v9, v8
	global_store_dword v[1:2], v0, off
.LBB51_24:
	s_endpgm
	.section	.rodata,"a",@progbits
	.p2align	6, 0x0
	.amdhsa_kernel _ZL33flash_attn_stream_k_fixup_generalILi112ELi1ELi2EEvPfPK15HIP_vector_typeIfLj2EEiiiiS1_IjLj3EES5_S5_S5_
		.amdhsa_group_segment_fixed_size 0
		.amdhsa_private_segment_fixed_size 0
		.amdhsa_kernarg_size 336
		.amdhsa_user_sgpr_count 6
		.amdhsa_user_sgpr_private_segment_buffer 1
		.amdhsa_user_sgpr_dispatch_ptr 0
		.amdhsa_user_sgpr_queue_ptr 0
		.amdhsa_user_sgpr_kernarg_segment_ptr 1
		.amdhsa_user_sgpr_dispatch_id 0
		.amdhsa_user_sgpr_flat_scratch_init 0
		.amdhsa_user_sgpr_private_segment_size 0
		.amdhsa_wavefront_size32 1
		.amdhsa_uses_dynamic_stack 0
		.amdhsa_system_sgpr_private_segment_wavefront_offset 0
		.amdhsa_system_sgpr_workgroup_id_x 1
		.amdhsa_system_sgpr_workgroup_id_y 1
		.amdhsa_system_sgpr_workgroup_id_z 1
		.amdhsa_system_sgpr_workgroup_info 0
		.amdhsa_system_vgpr_workitem_id 0
		.amdhsa_next_free_vgpr 17
		.amdhsa_next_free_sgpr 31
		.amdhsa_reserve_vcc 1
		.amdhsa_reserve_flat_scratch 0
		.amdhsa_float_round_mode_32 0
		.amdhsa_float_round_mode_16_64 0
		.amdhsa_float_denorm_mode_32 3
		.amdhsa_float_denorm_mode_16_64 3
		.amdhsa_dx10_clamp 1
		.amdhsa_ieee_mode 1
		.amdhsa_fp16_overflow 0
		.amdhsa_workgroup_processor_mode 1
		.amdhsa_memory_ordered 1
		.amdhsa_forward_progress 1
		.amdhsa_shared_vgpr_count 0
		.amdhsa_exception_fp_ieee_invalid_op 0
		.amdhsa_exception_fp_denorm_src 0
		.amdhsa_exception_fp_ieee_div_zero 0
		.amdhsa_exception_fp_ieee_overflow 0
		.amdhsa_exception_fp_ieee_underflow 0
		.amdhsa_exception_fp_ieee_inexact 0
		.amdhsa_exception_int_div_zero 0
	.end_amdhsa_kernel
	.section	.text._ZL33flash_attn_stream_k_fixup_generalILi112ELi1ELi2EEvPfPK15HIP_vector_typeIfLj2EEiiiiS1_IjLj3EES5_S5_S5_,"axG",@progbits,_ZL33flash_attn_stream_k_fixup_generalILi112ELi1ELi2EEvPfPK15HIP_vector_typeIfLj2EEiiiiS1_IjLj3EES5_S5_S5_,comdat
.Lfunc_end51:
	.size	_ZL33flash_attn_stream_k_fixup_generalILi112ELi1ELi2EEvPfPK15HIP_vector_typeIfLj2EEiiiiS1_IjLj3EES5_S5_S5_, .Lfunc_end51-_ZL33flash_attn_stream_k_fixup_generalILi112ELi1ELi2EEvPfPK15HIP_vector_typeIfLj2EEiiiiS1_IjLj3EES5_S5_S5_
                                        ; -- End function
	.set _ZL33flash_attn_stream_k_fixup_generalILi112ELi1ELi2EEvPfPK15HIP_vector_typeIfLj2EEiiiiS1_IjLj3EES5_S5_S5_.num_vgpr, 17
	.set _ZL33flash_attn_stream_k_fixup_generalILi112ELi1ELi2EEvPfPK15HIP_vector_typeIfLj2EEiiiiS1_IjLj3EES5_S5_S5_.num_agpr, 0
	.set _ZL33flash_attn_stream_k_fixup_generalILi112ELi1ELi2EEvPfPK15HIP_vector_typeIfLj2EEiiiiS1_IjLj3EES5_S5_S5_.numbered_sgpr, 31
	.set _ZL33flash_attn_stream_k_fixup_generalILi112ELi1ELi2EEvPfPK15HIP_vector_typeIfLj2EEiiiiS1_IjLj3EES5_S5_S5_.num_named_barrier, 0
	.set _ZL33flash_attn_stream_k_fixup_generalILi112ELi1ELi2EEvPfPK15HIP_vector_typeIfLj2EEiiiiS1_IjLj3EES5_S5_S5_.private_seg_size, 0
	.set _ZL33flash_attn_stream_k_fixup_generalILi112ELi1ELi2EEvPfPK15HIP_vector_typeIfLj2EEiiiiS1_IjLj3EES5_S5_S5_.uses_vcc, 1
	.set _ZL33flash_attn_stream_k_fixup_generalILi112ELi1ELi2EEvPfPK15HIP_vector_typeIfLj2EEiiiiS1_IjLj3EES5_S5_S5_.uses_flat_scratch, 0
	.set _ZL33flash_attn_stream_k_fixup_generalILi112ELi1ELi2EEvPfPK15HIP_vector_typeIfLj2EEiiiiS1_IjLj3EES5_S5_S5_.has_dyn_sized_stack, 0
	.set _ZL33flash_attn_stream_k_fixup_generalILi112ELi1ELi2EEvPfPK15HIP_vector_typeIfLj2EEiiiiS1_IjLj3EES5_S5_S5_.has_recursion, 0
	.set _ZL33flash_attn_stream_k_fixup_generalILi112ELi1ELi2EEvPfPK15HIP_vector_typeIfLj2EEiiiiS1_IjLj3EES5_S5_S5_.has_indirect_call, 0
	.section	.AMDGPU.csdata,"",@progbits
; Kernel info:
; codeLenInByte = 2944
; TotalNumSgprs: 33
; NumVgprs: 17
; ScratchSize: 0
; MemoryBound: 0
; FloatMode: 240
; IeeeMode: 1
; LDSByteSize: 0 bytes/workgroup (compile time only)
; SGPRBlocks: 0
; VGPRBlocks: 2
; NumSGPRsForWavesPerEU: 33
; NumVGPRsForWavesPerEU: 17
; Occupancy: 16
; WaveLimiterHint : 0
; COMPUTE_PGM_RSRC2:SCRATCH_EN: 0
; COMPUTE_PGM_RSRC2:USER_SGPR: 6
; COMPUTE_PGM_RSRC2:TRAP_HANDLER: 0
; COMPUTE_PGM_RSRC2:TGID_X_EN: 1
; COMPUTE_PGM_RSRC2:TGID_Y_EN: 1
; COMPUTE_PGM_RSRC2:TGID_Z_EN: 1
; COMPUTE_PGM_RSRC2:TIDIG_COMP_CNT: 0
	.section	.text._ZL15flash_attn_tileILi112ELi112ELi64ELi1ELb0EEvPKcS1_S1_S1_S1_PKiPfP15HIP_vector_typeIfLj2EEffffjfiS5_IjLj3EEiiiiiiiiiiiliiliiiiil,"axG",@progbits,_ZL15flash_attn_tileILi112ELi112ELi64ELi1ELb0EEvPKcS1_S1_S1_S1_PKiPfP15HIP_vector_typeIfLj2EEffffjfiS5_IjLj3EEiiiiiiiiiiiliiliiiiil,comdat
	.globl	_ZL15flash_attn_tileILi112ELi112ELi64ELi1ELb0EEvPKcS1_S1_S1_S1_PKiPfP15HIP_vector_typeIfLj2EEffffjfiS5_IjLj3EEiiiiiiiiiiiliiliiiiil ; -- Begin function _ZL15flash_attn_tileILi112ELi112ELi64ELi1ELb0EEvPKcS1_S1_S1_S1_PKiPfP15HIP_vector_typeIfLj2EEffffjfiS5_IjLj3EEiiiiiiiiiiiliiliiiiil
	.p2align	8
	.type	_ZL15flash_attn_tileILi112ELi112ELi64ELi1ELb0EEvPKcS1_S1_S1_S1_PKiPfP15HIP_vector_typeIfLj2EEffffjfiS5_IjLj3EEiiiiiiiiiiiliiliiiiil,@function
_ZL15flash_attn_tileILi112ELi112ELi64ELi1ELb0EEvPKcS1_S1_S1_S1_PKiPfP15HIP_vector_typeIfLj2EEffffjfiS5_IjLj3EEiiiiiiiiiiiliiliiiiil: ; @_ZL15flash_attn_tileILi112ELi112ELi64ELi1ELb0EEvPKcS1_S1_S1_S1_PKiPfP15HIP_vector_typeIfLj2EEffffjfiS5_IjLj3EEiiiiiiiiiiiliiliiiiil
; %bb.0:
	s_add_u32 s6, s6, s11
	s_addc_u32 s7, s7, 0
	s_setreg_b32 hwreg(HW_REG_FLAT_SCR_LO), s6
	s_setreg_b32 hwreg(HW_REG_FLAT_SCR_HI), s7
	s_clause 0x1
	s_load_dwordx4 s[52:55], s[4:5], 0x5c
	s_load_dwordx2 s[58:59], s[4:5], 0x80
	s_add_u32 s0, s0, s11
	s_addc_u32 s1, s1, 0
	s_mov_b32 s30, s9
	s_clause 0x1
	s_load_dwordx16 s[36:51], s[4:5], 0x0
	s_load_dwordx2 s[16:17], s[4:5], 0xb8
	s_mov_b64 s[56:57], 0
	s_waitcnt lgkmcnt(0)
	v_cvt_f32_u32_e32 v2, s55
	s_sub_i32 s7, 0, s55
	v_rcp_iflag_f32_e32 v2, v2
	v_mul_f32_e32 v2, 0x4f7ffffe, v2
	v_cvt_u32_f32_e32 v2, v2
	v_readfirstlane_b32 s6, v2
	s_mul_i32 s7, s7, s6
	s_mul_hi_u32 s7, s6, s7
	s_add_i32 s6, s6, s7
	s_mul_hi_u32 s6, s10, s6
	s_mul_i32 s7, s6, s55
	s_add_i32 s9, s6, 1
	s_sub_i32 s7, s10, s7
	s_sub_i32 s11, s7, s55
	s_cmp_ge_u32 s7, s55
	s_cselect_b32 s6, s9, s6
	s_cselect_b32 s7, s11, s7
	s_add_i32 s9, s6, 1
	s_cmp_ge_u32 s7, s55
	s_cselect_b32 s33, s9, s6
	s_abs_i32 s6, s59
	s_abs_i32 s11, s55
	v_cvt_f32_u32_e32 v2, s6
	s_sub_i32 s9, 0, s6
	v_rcp_iflag_f32_e32 v2, v2
	v_mul_f32_e32 v2, 0x4f7ffffe, v2
	v_cvt_u32_f32_e32 v2, v2
	v_readfirstlane_b32 s7, v2
	s_mul_i32 s9, s9, s7
	s_mul_hi_u32 s9, s7, s9
	s_add_i32 s7, s7, s9
	s_xor_b32 s9, s55, s59
	s_mul_hi_u32 s7, s11, s7
	s_ashr_i32 s9, s9, 31
	s_mul_i32 s12, s7, s6
	s_sub_i32 s11, s11, s12
	s_add_i32 s12, s7, 1
	s_sub_i32 s13, s11, s6
	s_cmp_ge_u32 s11, s6
	s_cselect_b32 s7, s12, s7
	s_cselect_b32 s11, s13, s11
	s_add_i32 s12, s7, 1
	s_cmp_ge_u32 s11, s6
	s_cselect_b32 s6, s12, s7
	s_xor_b32 s6, s6, s9
	s_sub_i32 s19, s6, s9
	s_mul_i32 s6, s33, s55
	s_abs_i32 s18, s19
	s_cmp_eq_u64 s[42:43], 0
	v_cvt_f32_u32_e32 v2, s18
	v_rcp_iflag_f32_e32 v2, v2
	v_mul_f32_e32 v2, 0x4f7ffffe, v2
	v_cvt_u32_f32_e32 v2, v2
	v_readfirstlane_b32 s20, v2
	s_cbranch_scc1 .LBB52_2
; %bb.1:
	s_abs_i32 s7, s16
	s_abs_i32 s14, s33
	v_cvt_f32_u32_e32 v2, s7
	s_sub_i32 s11, 0, s7
	s_load_dwordx2 s[12:13], s[4:5], 0xc8
	v_rcp_iflag_f32_e32 v2, v2
	v_mul_f32_e32 v2, 0x4f7ffffe, v2
	v_cvt_u32_f32_e32 v2, v2
	v_readfirstlane_b32 s9, v2
	s_mul_i32 s11, s11, s9
	s_mul_hi_u32 s11, s9, s11
	s_add_i32 s9, s9, s11
	s_ashr_i32 s11, s33, 31
	s_mul_hi_u32 s9, s14, s9
	s_mul_i32 s9, s9, s7
	s_sub_i32 s9, s14, s9
	s_sub_i32 s14, s9, s7
	s_cmp_ge_u32 s9, s7
	s_cselect_b32 s9, s14, s9
	s_sub_i32 s14, s9, s7
	s_cmp_ge_u32 s9, s7
	s_cselect_b32 s7, s14, s9
	s_xor_b32 s7, s7, s11
	s_sub_i32 s7, s7, s11
	s_ashr_i32 s9, s7, 31
	s_waitcnt lgkmcnt(0)
	s_mul_hi_u32 s11, s12, s7
	s_mul_i32 s9, s12, s9
	s_add_i32 s9, s11, s9
	s_mul_i32 s11, s13, s7
	s_mul_i32 s7, s12, s7
	s_add_i32 s9, s9, s11
	s_add_u32 s56, s42, s7
	s_addc_u32 s57, s43, s9
.LBB52_2:
	s_clause 0x1
	s_load_dwordx4 s[12:15], s[4:5], 0x40
	s_load_dword s7, s[4:5], 0x50
	v_mov_b32_e32 v148, 1.0
	s_sub_i32 s34, s10, s6
	s_waitcnt lgkmcnt(0)
	v_cmp_le_f32_e64 s9, s13, 0
	s_and_b32 vcc_lo, exec_lo, s9
	s_cbranch_vccnz .LBB52_4
; %bb.3:
	v_sub_co_u32 v3, vcc_lo, s34, s7
	v_mov_b32_e32 v2, s14
	s_add_i32 s6, s34, 1
	v_lshlrev_b32_e32 v3, 1, v3
	v_cndmask_b32_e32 v2, s15, v2, vcc_lo
	v_or_b32_e32 v3, 1, v3
	v_cndmask_b32_e64 v3, v3, s6, vcc_lo
	v_cmp_neq_f32_e32 vcc_lo, 1.0, v2
	s_mov_b32 s6, 0x3e76c4e1
	v_cvt_f32_i32_e32 v3, v3
	v_cndmask_b32_e32 v4, 1.0, v3, vcc_lo
	v_cmp_neq_f32_e32 vcc_lo, 0, v4
	v_cndmask_b32_e32 v5, 1.0, v2, vcc_lo
	v_frexp_mant_f32_e64 v2, |v5|
	v_cmp_eq_f32_e64 s9, 0, v5
	v_cmp_gt_f32_e32 vcc_lo, 0x3f2aaaab, v2
	v_cndmask_b32_e64 v3, 1.0, 2.0, vcc_lo
	v_mul_f32_e32 v2, v2, v3
	v_add_f32_e32 v3, 1.0, v2
	v_add_f32_e32 v7, -1.0, v2
	v_rcp_f32_e32 v6, v3
	v_add_f32_e32 v9, -1.0, v3
	v_sub_f32_e32 v2, v2, v9
	v_mul_f32_e32 v8, v7, v6
	v_mul_f32_e32 v10, v3, v8
	v_fma_f32 v3, v8, v3, -v10
	v_fmac_f32_e32 v3, v8, v2
	v_add_f32_e32 v2, v10, v3
	v_sub_f32_e32 v9, v7, v2
	v_sub_f32_e32 v10, v2, v10
	;; [unrolled: 1-line block ×5, first 2 shown]
	v_add_f32_e32 v2, v3, v2
	v_add_f32_e32 v2, v9, v2
	v_mul_f32_e32 v2, v6, v2
	v_add_f32_e32 v6, v8, v2
	v_sub_f32_e32 v3, v6, v8
	v_mul_f32_e32 v7, v6, v6
	v_sub_f32_e32 v8, v2, v3
	v_fma_f32 v2, v6, v6, -v7
	v_add_f32_e32 v3, v8, v8
	v_fmac_f32_e32 v2, v6, v3
	v_add_f32_e32 v9, v7, v2
	v_fmaak_f32 v3, s6, v9, 0x3e91f4c4
	v_sub_f32_e32 v7, v9, v7
	v_mul_f32_e32 v14, v6, v9
	v_fmaak_f32 v3, v9, v3, 0x3ecccdef
	v_sub_f32_e32 v7, v2, v7
	v_fma_f32 v15, v9, v6, -v14
	v_mul_f32_e32 v10, v9, v3
	v_fmac_f32_e32 v15, v9, v8
	v_ldexp_f32 v8, v8, 1
	v_fma_f32 v11, v9, v3, -v10
	v_fmac_f32_e32 v15, v7, v6
	v_fmac_f32_e32 v11, v7, v3
	v_cvt_f64_f32_e64 v[2:3], |v5|
	v_add_f32_e32 v12, v10, v11
	v_sub_f32_e32 v10, v12, v10
	v_add_f32_e32 v13, 0x3f2aaaaa, v12
	v_sub_f32_e32 v10, v11, v10
	v_add_f32_e32 v11, 0xbf2aaaaa, v13
	v_add_f32_e32 v10, 0x31739010, v10
	v_sub_f32_e32 v11, v12, v11
	v_frexp_exp_i32_f64_e32 v2, v[2:3]
	v_add_f32_e32 v9, v10, v11
	v_add_f32_e32 v10, v14, v15
	;; [unrolled: 1-line block ×3, first 2 shown]
	v_sub_f32_e32 v12, v10, v14
	v_sub_f32_e32 v3, v13, v7
	v_mul_f32_e32 v11, v10, v7
	v_sub_f32_e32 v12, v15, v12
	v_add_f32_e32 v3, v9, v3
	v_fma_f32 v9, v10, v7, -v11
	v_subrev_co_ci_u32_e64 v2, null, 0, v2, vcc_lo
	v_fmac_f32_e32 v9, v10, v3
	v_ldexp_f32 v3, v6, 1
	v_cvt_f32_i32_e32 v2, v2
	v_fmac_f32_e32 v9, v12, v7
	v_add_f32_e32 v6, v11, v9
	v_add_f32_e32 v7, v3, v6
	v_sub_f32_e32 v10, v6, v11
	v_mul_f32_e32 v11, 0x3f317218, v2
	v_sub_f32_e32 v3, v7, v3
	v_sub_f32_e32 v9, v9, v10
	v_fma_f32 v10, 0x3f317218, v2, -v11
	v_sub_f32_e32 v3, v6, v3
	v_add_f32_e32 v6, v8, v9
	v_fmamk_f32 v2, v2, 0xb102e308, v10
	v_add_f32_e32 v3, v6, v3
	v_add_f32_e32 v6, v11, v2
	;; [unrolled: 1-line block ×3, first 2 shown]
	v_sub_f32_e32 v11, v6, v11
	v_add_f32_e32 v9, v6, v8
	v_sub_f32_e32 v7, v8, v7
	v_sub_f32_e32 v2, v2, v11
	;; [unrolled: 1-line block ×6, first 2 shown]
	v_add_f32_e32 v8, v2, v3
	v_sub_f32_e32 v6, v6, v12
	v_add_f32_e32 v6, v7, v6
	v_sub_f32_e32 v7, v8, v2
	;; [unrolled: 2-line block ×3, first 2 shown]
	v_sub_f32_e32 v3, v3, v7
	v_add_f32_e32 v10, v9, v6
	v_sub_f32_e32 v2, v2, v8
	v_sub_f32_e32 v7, v10, v9
	v_add_f32_e32 v2, v3, v2
	v_sub_f32_e32 v3, v6, v7
	v_add_f32_e32 v2, v2, v3
	v_add_f32_e32 v3, v10, v2
	v_sub_f32_e32 v6, v3, v10
	v_mul_f32_e32 v7, v4, v3
	v_sub_f32_e32 v2, v2, v6
	v_fma_f32 v3, v4, v3, -v7
	v_cmp_class_f32_e64 vcc_lo, v7, 0x204
	v_fmac_f32_e32 v3, v4, v2
	v_add_f32_e32 v2, v7, v3
	v_cndmask_b32_e32 v6, v2, v7, vcc_lo
	v_sub_f32_e32 v2, v2, v7
	v_cmp_eq_f32_e32 vcc_lo, 0x42b17218, v6
	v_sub_f32_e32 v2, v3, v2
	v_cndmask_b32_e64 v8, 0, 0x37000000, vcc_lo
	v_cmp_neq_f32_e64 vcc_lo, 0x7f800000, |v6|
	v_sub_f32_e32 v9, v6, v8
	v_cndmask_b32_e32 v2, 0, v2, vcc_lo
	v_trunc_f32_e32 v6, v4
	v_mul_f32_e32 v10, 0x3fb8aa3b, v9
	v_cmp_ngt_f32_e32 vcc_lo, 0xc2ce8ed0, v9
	v_add_f32_e32 v2, v8, v2
	v_fma_f32 v11, 0x3fb8aa3b, v9, -v10
	v_rndne_f32_e32 v12, v10
	v_fmamk_f32 v11, v9, 0x32a5705f, v11
	v_sub_f32_e32 v10, v10, v12
	v_cvt_i32_f32_e32 v7, v12
	v_add_f32_e32 v10, v10, v11
	v_exp_f32_e32 v10, v10
	v_ldexp_f32 v3, v10, v7
	v_mul_f32_e32 v7, 0.5, v4
	v_cndmask_b32_e32 v3, 0, v3, vcc_lo
	v_cmp_nlt_f32_e32 vcc_lo, 0x42b17218, v9
	v_trunc_f32_e32 v10, v7
	v_cndmask_b32_e32 v3, 0x7f800000, v3, vcc_lo
	v_cmp_eq_f32_e32 vcc_lo, v6, v4
	v_cmp_neq_f32_e64 s6, v10, v7
	v_fma_f32 v2, v3, v2, v3
	v_cmp_class_f32_e64 s7, v3, 0x204
	s_and_b32 s6, vcc_lo, s6
	v_cndmask_b32_e64 v6, 1.0, v5, s6
	v_cndmask_b32_e64 v2, v2, v3, s7
	v_cmp_gt_f32_e64 s7, 0, v4
	v_bfi_b32 v2, 0x7fffffff, v2, v6
	s_xor_b32 s7, s7, s9
	v_cndmask_b32_e64 v6, 0, v5, s6
	v_cndmask_b32_e64 v3, 0x7f800000, 0, s7
	v_cmp_class_f32_e64 s6, v5, 0x204
	v_cndmask_b32_e32 v4, 0x7fc00000, v2, vcc_lo
	v_cmp_gt_f32_e32 vcc_lo, 0, v5
	v_bfi_b32 v3, 0x7fffffff, v3, v6
	v_cndmask_b32_e32 v2, v2, v4, vcc_lo
	s_or_b32 vcc_lo, s9, s6
	v_cndmask_b32_e32 v2, v2, v3, vcc_lo
	v_cmp_o_f32_e32 vcc_lo, v5, v5
	v_cndmask_b32_e32 v148, 0x7fc00000, v2, vcc_lo
.LBB52_4:
	s_load_dwordx4 s[24:27], s[4:5], 0x70
	s_lshl_b32 s31, s8, 6
	v_lshlrev_b32_e32 v2, 4, v0
	v_lshlrev_b32_e32 v126, 3, v1
	v_cmp_gt_u32_e64 s6, 28, v0
	v_lshlrev_b32_e32 v129, 3, v0
	v_add_nc_u32_e32 v128, s31, v126
	s_waitcnt lgkmcnt(0)
	s_mul_i32 s7, s33, s26
	s_mul_i32 s9, s34, s25
	s_ashr_i32 s10, s7, 31
	s_add_u32 s7, s36, s7
	s_addc_u32 s10, s37, s10
	s_ashr_i32 s11, s9, 31
	s_add_u32 s7, s7, s9
	s_addc_u32 s9, s10, s11
	v_add_co_u32 v3, s7, s7, v2
	v_add_co_ci_u32_e64 v4, null, s9, 0, s7
	s_ashr_i32 s25, s24, 31
	s_lshr_b64 s[10:11], s[24:25], 2
	s_and_saveexec_b32 s7, s6
	s_cbranch_execz .LBB52_6
; %bb.5:
	v_mul_hi_u32 v5, v128, s52
	v_mad_u32_u24 v9, 0x700, v1, v129
	v_add_nc_u32_e32 v5, v128, v5
	v_lshrrev_b32_e32 v5, s53, v5
	v_mul_lo_u32 v5, v5, s54
	v_sub_nc_u32_e32 v7, v128, v5
	v_mad_u64_u32 v[5:6], null, s10, v7, 0
	v_mad_u64_u32 v[6:7], null, s11, v7, v[6:7]
	v_lshlrev_b64 v[5:6], 2, v[5:6]
	v_add_co_u32 v5, vcc_lo, v3, v5
	v_add_co_ci_u32_e64 v6, null, v4, v6, vcc_lo
	global_load_dwordx4 v[5:8], v[5:6], off
	s_waitcnt vmcnt(0)
	v_fma_mixlo_f16 v6, s12, v6, 0
	v_fma_mixlo_f16 v5, s12, v5, 0
	;; [unrolled: 1-line block ×4, first 2 shown]
	v_lshlrev_b32_e32 v6, 16, v6
	v_and_b32_e32 v5, 0xffff, v5
	v_and_b32_e32 v7, 0xffff, v7
	v_lshlrev_b32_e32 v8, 16, v8
	v_or_b32_e32 v5, v6, v5
	v_or3_b32 v6, v8, v7, 0
	v_or3_b32 v5, 0, 0, v5
	ds_write_b64 v9, v[5:6]
.LBB52_6:
	s_or_b32 exec_lo, exec_lo, s7
	v_or_b32_e32 v125, 1, v126
	v_add_nc_u32_e32 v127, s31, v125
	s_and_saveexec_b32 s7, s6
	s_cbranch_execz .LBB52_8
; %bb.7:
	v_mul_hi_u32 v5, v127, s52
	v_mad_u32_u24 v9, 0xe0, v125, v129
	v_add_nc_u32_e32 v5, v127, v5
	v_lshrrev_b32_e32 v5, s53, v5
	v_mul_lo_u32 v5, v5, s54
	v_sub_nc_u32_e32 v7, v127, v5
	v_mad_u64_u32 v[5:6], null, s10, v7, 0
	v_mad_u64_u32 v[6:7], null, s11, v7, v[6:7]
	v_lshlrev_b64 v[5:6], 2, v[5:6]
	v_add_co_u32 v5, vcc_lo, v3, v5
	v_add_co_ci_u32_e64 v6, null, v4, v6, vcc_lo
	global_load_dwordx4 v[5:8], v[5:6], off
	s_waitcnt vmcnt(0)
	v_fma_mixlo_f16 v6, s12, v6, 0
	v_fma_mixlo_f16 v5, s12, v5, 0
	;; [unrolled: 1-line block ×4, first 2 shown]
	v_lshlrev_b32_e32 v6, 16, v6
	v_and_b32_e32 v5, 0xffff, v5
	v_and_b32_e32 v7, 0xffff, v7
	v_lshlrev_b32_e32 v8, 16, v8
	v_or_b32_e32 v5, v6, v5
	v_or3_b32 v6, v8, v7, 0
	v_or3_b32 v5, 0, 0, v5
	ds_write_b64 v9, v[5:6]
.LBB52_8:
	s_or_b32 exec_lo, exec_lo, s7
	v_or_b32_e32 v124, 2, v126
	s_and_saveexec_b32 s7, s6
	s_cbranch_execz .LBB52_10
; %bb.9:
	v_add_nc_u32_e32 v5, s31, v124
	v_mad_u32_u24 v9, 0xe0, v124, v129
	v_mul_hi_u32 v6, v5, s52
	v_add_nc_u32_e32 v6, v5, v6
	v_lshrrev_b32_e32 v6, s53, v6
	v_mul_lo_u32 v6, v6, s54
	v_sub_nc_u32_e32 v7, v5, v6
	v_mad_u64_u32 v[5:6], null, s10, v7, 0
	v_mad_u64_u32 v[6:7], null, s11, v7, v[6:7]
	v_lshlrev_b64 v[5:6], 2, v[5:6]
	v_add_co_u32 v5, vcc_lo, v3, v5
	v_add_co_ci_u32_e64 v6, null, v4, v6, vcc_lo
	global_load_dwordx4 v[5:8], v[5:6], off
	s_waitcnt vmcnt(0)
	v_fma_mixlo_f16 v6, s12, v6, 0
	v_fma_mixlo_f16 v5, s12, v5, 0
	;; [unrolled: 1-line block ×4, first 2 shown]
	v_lshlrev_b32_e32 v6, 16, v6
	v_and_b32_e32 v5, 0xffff, v5
	v_and_b32_e32 v7, 0xffff, v7
	v_lshlrev_b32_e32 v8, 16, v8
	v_or_b32_e32 v5, v6, v5
	v_or3_b32 v6, v8, v7, 0
	v_or3_b32 v5, 0, 0, v5
	ds_write_b64 v9, v[5:6]
.LBB52_10:
	s_or_b32 exec_lo, exec_lo, s7
	v_or_b32_e32 v123, 3, v126
	s_sub_i32 s7, 0, s18
	s_and_saveexec_b32 s9, s6
	s_cbranch_execz .LBB52_12
; %bb.11:
	v_add_nc_u32_e32 v5, s31, v123
	v_mad_u32_u24 v9, 0xe0, v123, v129
	v_mul_hi_u32 v6, v5, s52
	v_add_nc_u32_e32 v6, v5, v6
	v_lshrrev_b32_e32 v6, s53, v6
	v_mul_lo_u32 v6, v6, s54
	v_sub_nc_u32_e32 v7, v5, v6
	v_mad_u64_u32 v[5:6], null, s10, v7, 0
	v_mad_u64_u32 v[6:7], null, s11, v7, v[6:7]
	v_lshlrev_b64 v[5:6], 2, v[5:6]
	v_add_co_u32 v5, vcc_lo, v3, v5
	v_add_co_ci_u32_e64 v6, null, v4, v6, vcc_lo
	global_load_dwordx4 v[5:8], v[5:6], off
	s_waitcnt vmcnt(0)
	v_fma_mixlo_f16 v6, s12, v6, 0
	v_fma_mixlo_f16 v5, s12, v5, 0
	;; [unrolled: 1-line block ×4, first 2 shown]
	v_lshlrev_b32_e32 v6, 16, v6
	v_and_b32_e32 v5, 0xffff, v5
	v_and_b32_e32 v7, 0xffff, v7
	v_lshlrev_b32_e32 v8, 16, v8
	v_or_b32_e32 v5, v6, v5
	v_or3_b32 v6, v8, v7, 0
	v_or3_b32 v5, 0, 0, v5
	ds_write_b64 v9, v[5:6]
.LBB52_12:
	s_or_b32 exec_lo, exec_lo, s9
	v_or_b32_e32 v122, 4, v126
	s_mul_i32 s7, s7, s20
	s_and_saveexec_b32 s9, s6
	s_cbranch_execz .LBB52_14
; %bb.13:
	v_add_nc_u32_e32 v5, s31, v122
	v_mad_u32_u24 v9, 0xe0, v122, v129
	v_mul_hi_u32 v6, v5, s52
	v_add_nc_u32_e32 v6, v5, v6
	v_lshrrev_b32_e32 v6, s53, v6
	v_mul_lo_u32 v6, v6, s54
	v_sub_nc_u32_e32 v7, v5, v6
	v_mad_u64_u32 v[5:6], null, s10, v7, 0
	v_mad_u64_u32 v[6:7], null, s11, v7, v[6:7]
	v_lshlrev_b64 v[5:6], 2, v[5:6]
	v_add_co_u32 v5, vcc_lo, v3, v5
	v_add_co_ci_u32_e64 v6, null, v4, v6, vcc_lo
	global_load_dwordx4 v[5:8], v[5:6], off
	s_waitcnt vmcnt(0)
	v_fma_mixlo_f16 v6, s12, v6, 0
	v_fma_mixlo_f16 v5, s12, v5, 0
	;; [unrolled: 1-line block ×4, first 2 shown]
	v_lshlrev_b32_e32 v6, 16, v6
	v_and_b32_e32 v5, 0xffff, v5
	v_and_b32_e32 v7, 0xffff, v7
	v_lshlrev_b32_e32 v8, 16, v8
	v_or_b32_e32 v5, v6, v5
	v_or3_b32 v6, v8, v7, 0
	v_or3_b32 v5, 0, 0, v5
	ds_write_b64 v9, v[5:6]
.LBB52_14:
	s_or_b32 exec_lo, exec_lo, s9
	v_or_b32_e32 v121, 5, v126
	s_mul_hi_u32 s9, s20, s7
	s_and_saveexec_b32 s7, s6
	s_cbranch_execz .LBB52_16
; %bb.15:
	v_add_nc_u32_e32 v5, s31, v121
	v_mad_u32_u24 v9, 0xe0, v121, v129
	v_mul_hi_u32 v6, v5, s52
	v_add_nc_u32_e32 v6, v5, v6
	v_lshrrev_b32_e32 v6, s53, v6
	v_mul_lo_u32 v6, v6, s54
	v_sub_nc_u32_e32 v7, v5, v6
	v_mad_u64_u32 v[5:6], null, s10, v7, 0
	v_mad_u64_u32 v[6:7], null, s11, v7, v[6:7]
	v_lshlrev_b64 v[5:6], 2, v[5:6]
	v_add_co_u32 v5, vcc_lo, v3, v5
	v_add_co_ci_u32_e64 v6, null, v4, v6, vcc_lo
	global_load_dwordx4 v[5:8], v[5:6], off
	s_waitcnt vmcnt(0)
	v_fma_mixlo_f16 v6, s12, v6, 0
	v_fma_mixlo_f16 v5, s12, v5, 0
	;; [unrolled: 1-line block ×4, first 2 shown]
	v_lshlrev_b32_e32 v6, 16, v6
	v_and_b32_e32 v5, 0xffff, v5
	v_and_b32_e32 v7, 0xffff, v7
	v_lshlrev_b32_e32 v8, 16, v8
	v_or_b32_e32 v5, v6, v5
	v_or3_b32 v6, v8, v7, 0
	v_or3_b32 v5, 0, 0, v5
	ds_write_b64 v9, v[5:6]
.LBB52_16:
	s_or_b32 exec_lo, exec_lo, s7
	v_or_b32_e32 v120, 6, v126
	s_abs_i32 s7, s34
	s_add_i32 s20, s20, s9
	s_and_saveexec_b32 s9, s6
	s_cbranch_execz .LBB52_18
; %bb.17:
	v_add_nc_u32_e32 v5, s31, v120
	v_mad_u32_u24 v9, 0xe0, v120, v129
	v_mul_hi_u32 v6, v5, s52
	v_add_nc_u32_e32 v6, v5, v6
	v_lshrrev_b32_e32 v6, s53, v6
	v_mul_lo_u32 v6, v6, s54
	v_sub_nc_u32_e32 v7, v5, v6
	v_mad_u64_u32 v[5:6], null, s10, v7, 0
	v_mad_u64_u32 v[6:7], null, s11, v7, v[6:7]
	v_lshlrev_b64 v[5:6], 2, v[5:6]
	v_add_co_u32 v5, vcc_lo, v3, v5
	v_add_co_ci_u32_e64 v6, null, v4, v6, vcc_lo
	global_load_dwordx4 v[5:8], v[5:6], off
	s_waitcnt vmcnt(0)
	v_fma_mixlo_f16 v6, s12, v6, 0
	v_fma_mixlo_f16 v5, s12, v5, 0
	;; [unrolled: 1-line block ×4, first 2 shown]
	v_lshlrev_b32_e32 v6, 16, v6
	v_and_b32_e32 v5, 0xffff, v5
	v_and_b32_e32 v7, 0xffff, v7
	v_lshlrev_b32_e32 v8, 16, v8
	v_or_b32_e32 v5, v6, v5
	v_or3_b32 v6, v8, v7, 0
	v_or3_b32 v5, 0, 0, v5
	ds_write_b64 v9, v[5:6]
.LBB52_18:
	s_or_b32 exec_lo, exec_lo, s9
	v_or_b32_e32 v119, 7, v126
	s_mul_hi_u32 s13, s7, s20
	s_and_saveexec_b32 s9, s6
	s_cbranch_execz .LBB52_20
; %bb.19:
	v_add_nc_u32_e32 v5, s31, v119
	v_mul_hi_u32 v6, v5, s52
	v_add_nc_u32_e32 v6, v5, v6
	v_lshrrev_b32_e32 v6, s53, v6
	v_mul_lo_u32 v6, v6, s54
	v_sub_nc_u32_e32 v7, v5, v6
	v_mad_u64_u32 v[5:6], null, s10, v7, 0
	v_mad_u64_u32 v[6:7], null, s11, v7, v[6:7]
	v_mad_u32_u24 v7, 0xe0, v119, v129
	v_lshlrev_b64 v[5:6], 2, v[5:6]
	v_add_co_u32 v3, vcc_lo, v3, v5
	v_add_co_ci_u32_e64 v4, null, v4, v6, vcc_lo
	global_load_dwordx4 v[3:6], v[3:4], off
	s_waitcnt vmcnt(0)
	v_fma_mixlo_f16 v4, s12, v4, 0
	v_fma_mixlo_f16 v3, s12, v3, 0
	;; [unrolled: 1-line block ×4, first 2 shown]
	v_lshlrev_b32_e32 v4, 16, v4
	v_and_b32_e32 v3, 0xffff, v3
	v_and_b32_e32 v5, 0xffff, v5
	v_lshlrev_b32_e32 v6, 16, v6
	v_or_b32_e32 v3, v4, v3
	v_or3_b32 v4, v6, v5, 0
	v_or3_b32 v3, 0, 0, v3
	ds_write_b64 v7, v[3:4]
.LBB52_20:
	s_or_b32 exec_lo, exec_lo, s9
	s_ashr_i32 s35, s34, 31
	s_ashr_i32 s12, s19, 31
	s_cmp_eq_u64 s[46:47], 0
	s_waitcnt lgkmcnt(0)
	s_barrier
	buffer_gl0_inv
	s_cbranch_scc1 .LBB52_22
; %bb.21:
	s_load_dword s9, s[4:5], 0xd0
	s_waitcnt lgkmcnt(0)
	s_mul_i32 s9, s9, s33
	s_add_i32 s8, s9, s8
	s_mov_b32 s9, 0
	s_lshl_b64 s[8:9], s[8:9], 2
	s_add_u32 s8, s46, s8
	s_addc_u32 s9, s47, s9
	s_load_dword s58, s[8:9], 0x0
.LBB52_22:
	s_clause 0x1
	s_load_dwordx2 s[14:15], s[4:5], 0x8c
	s_load_dwordx4 s[8:11], s[4:5], 0x98
	s_ashr_i32 s16, s33, 31
	s_load_dwordx2 s[20:21], s[4:5], 0xa8
	s_ashr_i32 s43, s17, 1
	s_mul_i32 s17, s13, s18
	v_lshlrev_b32_e32 v106, 2, v0
	v_lshl_add_u32 v165, v1, 5, v0
	v_lshrrev_b32_e32 v164, 1, v0
	v_lshrrev_b32_e32 v162, 2, v0
	v_lshlrev_b32_e32 v161, 7, v0
	v_mul_u32_u24_e32 v152, 0x700, v1
	v_and_b32_e32 v151, 4, v106
	v_and_b32_e32 v163, 12, v106
	v_lshl_add_u32 v131, v1, 9, 0x4840
	v_lshrrev_b32_e32 v150, 3, v0
	v_and_b32_e32 v149, 28, v106
	v_mbcnt_lo_u32_b32 v130, -1, 0
	s_waitcnt lgkmcnt(0)
	s_ashr_i32 s46, s14, 2
	s_ashr_i32 s42, s10, 2
	s_mul_hi_u32 s10, s8, s33
	s_mul_i32 s14, s8, s16
	s_mul_i32 s9, s9, s33
	s_add_i32 s10, s10, s14
	s_mul_i32 s8, s8, s33
	s_add_i32 s10, s10, s9
	s_add_u32 s8, s38, s8
	s_addc_u32 s9, s39, s10
	s_sub_i32 s7, s7, s17
	s_xor_b32 s10, s35, s12
	s_add_i32 s12, s13, 1
	s_sub_i32 s14, s7, s18
	s_cmp_ge_u32 s7, s18
	s_cselect_b32 s12, s12, s13
	s_cselect_b32 s7, s14, s7
	s_add_i32 s13, s12, 1
	s_cmp_ge_u32 s7, s18
	s_cselect_b32 s7, s13, s12
	s_mul_hi_u32 s12, s20, s33
	s_xor_b32 s7, s7, s10
	s_mul_i32 s13, s20, s16
	s_sub_i32 s7, s7, s10
	s_mul_i32 s10, s21, s33
	s_mul_i32 s14, s7, s15
	;; [unrolled: 1-line block ×3, first 2 shown]
	s_ashr_i32 s16, s14, 31
	s_add_u32 s47, s8, s14
	s_addc_u32 s59, s9, s16
	s_add_i32 s8, s12, s13
	s_mul_i32 s7, s7, s11
	s_add_i32 s8, s8, s10
	s_add_u32 s9, s40, s15
	s_addc_u32 s8, s41, s8
	s_ashr_i32 s10, s7, 31
	s_add_u32 s38, s9, s7
	s_addc_u32 s39, s8, s10
	s_lshl_b32 s40, s30, 5
	s_sub_i32 s41, s58, 32
	s_cmp_ge_i32 s40, s41
	s_cbranch_scc1 .LBB52_66
; %bb.23:
	v_or_b32_e32 v12, 1, v128
	v_or_b32_e32 v13, 2, v128
	v_mul_hi_u32 v8, s52, v128
	v_add_nc_u32_e32 v10, v162, v126
	v_lshlrev_b32_e32 v15, 2, v163
	v_mul_hi_u32 v14, s52, v12
	v_mul_hi_u32 v16, s52, v13
	v_or_b32_e32 v18, 3, v128
	v_or_b32_e32 v19, 4, v128
	v_lshl_or_b32 v17, v10, 7, v15
	v_add_nc_u32_e32 v8, v128, v8
	v_or_b32_e32 v20, 5, v128
	v_mul_hi_u32 v22, s52, v18
	v_add_nc_u32_e32 v14, v12, v14
	v_add_nc_u32_e32 v16, v13, v16
	v_or_b32_e32 v23, 7, v128
	v_add_nc_u32_e32 v169, 0x3800, v17
	v_lshrrev_b32_e32 v17, s53, v8
	v_lshrrev_b32_e32 v14, s53, v14
	;; [unrolled: 1-line block ×3, first 2 shown]
	v_mul_hi_u32 v24, s52, v19
	v_mul_hi_u32 v25, s52, v20
	;; [unrolled: 1-line block ×3, first 2 shown]
	v_mul_lo_u32 v14, v14, s54
	v_mul_lo_u32 v16, v16, s54
	v_or_b32_e32 v21, 6, v128
	v_mul_lo_u32 v17, v17, s54
	v_lshl_add_u32 v9, v1, 4, v164
	v_lshlrev_b32_e32 v11, 2, v151
	v_mul_lo_u32 v3, s46, v165
	v_mul_hi_u32 v26, s52, v21
	v_sub_nc_u32_e32 v12, v12, v14
	v_add_nc_u32_e32 v14, v18, v22
	v_sub_nc_u32_e32 v13, v13, v16
	v_add_nc_u32_e32 v16, v19, v24
	v_add_nc_u32_e32 v22, v20, v25
	;; [unrolled: 1-line block ×3, first 2 shown]
	v_lshrrev_b32_e32 v14, s53, v14
	v_sub_nc_u32_e32 v17, v128, v17
	v_lshrrev_b32_e32 v16, s53, v16
	v_add_nc_u32_e32 v24, v21, v26
	v_lshrrev_b32_e32 v25, s53, v25
	v_mul_lo_u32 v14, v14, s54
	v_lshrrev_b32_e32 v22, s53, v22
	v_mul_lo_u32 v16, v16, s54
	v_mul_lo_u32 v170, v17, s43
	;; [unrolled: 1-line block ×3, first 2 shown]
	v_lshrrev_b32_e32 v24, s53, v24
	v_mul_lo_u32 v171, v12, s43
	v_mul_lo_u32 v22, v22, s54
	v_sub_nc_u32_e32 v12, v18, v14
	v_mul_lo_u32 v172, v13, s43
	v_mul_lo_u32 v24, v24, s54
	v_sub_nc_u32_e32 v13, v19, v16
	v_cmp_gt_u32_e64 s8, 32, v9
	v_mul_lo_u32 v173, v12, s43
	v_sub_nc_u32_e32 v12, v23, v17
	v_sub_nc_u32_e32 v14, v20, v22
	v_mul_lo_u32 v174, v13, s43
	v_lshl_add_u32 v13, v1, 2, v150
	v_sub_nc_u32_e32 v16, v21, v24
	v_mul_lo_u32 v177, v12, s43
	v_mul_u32_u24_e32 v12, 0xe0, v9
	v_lshl_or_b32 v6, v9, 7, v11
	v_mul_lo_u32 v5, s46, v9
	v_mul_lo_u32 v7, s46, v10
	v_mul_lo_u32 v175, v14, s43
	v_cmp_gt_u32_e64 s10, 16, v9
	v_mul_lo_u32 v9, s42, v9
	v_or_b32_e32 v11, v12, v11
	v_mul_lo_u32 v12, s42, v10
	v_mul_lo_u32 v14, s42, v13
	;; [unrolled: 1-line block ×3, first 2 shown]
	v_mul_u32_u24_e32 v16, 0xe0, v10
	v_cmp_gt_u32_e64 s9, 32, v10
	v_ashrrev_i32_e32 v4, 31, v3
	v_add_nc_u32_e32 v168, 0x3840, v6
	v_ashrrev_i32_e32 v6, 31, v5
	v_ashrrev_i32_e32 v8, 31, v7
	v_cmp_gt_u32_e64 s11, 16, v10
	v_cmp_gt_u32_e64 s12, 16, v13
	v_mul_u32_u24_e32 v17, 0xe0, v13
	v_ashrrev_i32_e32 v10, 31, v9
	v_add3_u32 v179, v16, v15, 0x3880
	v_ashrrev_i32_e32 v13, 31, v12
	v_ashrrev_i32_e32 v15, 31, v14
	v_lshlrev_b32_e32 v18, 2, v149
	v_lshlrev_b64 v[107:108], 2, v[3:4]
	v_lshlrev_b64 v[109:110], 2, v[5:6]
	;; [unrolled: 1-line block ×6, first 2 shown]
	v_cmp_gt_u32_e64 s7, 32, v165
	v_add_nc_u32_e32 v166, 0x3800, v161
	v_add_nc_u32_e32 v167, 0x3860, v161
	v_mov_b32_e32 v132, 0
	s_cmp_lg_u64 s[56:57], 0
	v_add_nc_u32_e32 v178, 0x38c0, v11
	v_add3_u32 v180, v17, v18, 0x3800
	v_mov_b32_e32 v11, 0xfeffffff
	v_add_nc_u32_e32 v181, v131, v2
	v_lshlrev_b32_e32 v182, 2, v151
	v_lshlrev_b32_e32 v183, 2, v163
	v_mbcnt_lo_u32_b32 v184, -1, 0
	v_mov_b32_e32 v185, 0x10001
	v_mov_b32_e32 v133, 0
	;; [unrolled: 1-line block ×31, first 2 shown]
	s_cselect_b32 s60, -1, 0
	s_add_u32 s36, s4, 0xd0
	s_addc_u32 s37, s5, 0
.LBB52_24:                              ; =>This Inner Loop Header: Depth=1
	s_mul_hi_i32 s15, s40, s46
	s_mul_i32 s14, s40, s46
	s_lshl_b64 s[14:15], s[14:15], 2
	s_add_u32 s13, s47, s14
	s_addc_u32 s14, s59, s15
	s_and_saveexec_b32 s15, s7
	s_cbranch_execnz .LBB52_58
; %bb.25:                               ;   in Loop: Header=BB52_24 Depth=1
	s_or_b32 exec_lo, exec_lo, s15
	s_and_saveexec_b32 s15, s8
	s_cbranch_execnz .LBB52_59
.LBB52_26:                              ;   in Loop: Header=BB52_24 Depth=1
	s_or_b32 exec_lo, exec_lo, s15
	s_and_saveexec_b32 s15, s9
	s_cbranch_execz .LBB52_28
.LBB52_27:                              ;   in Loop: Header=BB52_24 Depth=1
	v_add_co_u32 v2, vcc_lo, s13, v111
	v_add_co_ci_u32_e64 v3, null, s14, v112, vcc_lo
	v_add_co_u32 v2, vcc_lo, v2, v183
	v_add_co_ci_u32_e64 v3, null, 0, v3, vcc_lo
	global_load_dwordx4 v[2:5], v[2:3], off
	s_waitcnt vmcnt(0)
	ds_write_b128 v169, v[2:5]
.LBB52_28:                              ;   in Loop: Header=BB52_24 Depth=1
	s_or_b32 exec_lo, exec_lo, s15
	s_waitcnt lgkmcnt(0)
	s_barrier
	buffer_gl0_inv
	ds_read_b128 v[18:21], v166
	ds_read_b128 v[22:25], v152
	ds_read_b128 v[26:29], v152 offset:224
	ds_read_b128 v[30:33], v152 offset:448
	;; [unrolled: 1-line block ×7, first 2 shown]
	v_mov_b32_e32 v9, 0
	v_mov_b32_e32 v8, 0
	;; [unrolled: 1-line block ×8, first 2 shown]
	s_waitcnt lgkmcnt(7)
	;;#ASMSTART
	v_dot2_f32_f16 v9, v18, v22, v9
	;;#ASMEND
	;;#ASMSTART
	v_dot2_f32_f16 v9, v19, v23, v9
	;;#ASMEND
	;;#ASMSTART
	v_dot2_f32_f16 v9, v20, v24, v9
	;;#ASMEND
	;;#ASMSTART
	v_dot2_f32_f16 v9, v21, v25, v9
	;;#ASMEND
	s_waitcnt lgkmcnt(6)
	;;#ASMSTART
	v_dot2_f32_f16 v8, v18, v26, v8
	;;#ASMEND
	;;#ASMSTART
	v_dot2_f32_f16 v8, v19, v27, v8
	;;#ASMEND
	;;#ASMSTART
	v_dot2_f32_f16 v8, v20, v28, v8
	;;#ASMEND
	;;#ASMSTART
	v_dot2_f32_f16 v8, v21, v29, v8
	;;#ASMEND
	;; [unrolled: 13-line block ×8, first 2 shown]
	ds_read_b128 v[18:21], v166 offset:16
	ds_read_b128 v[22:25], v152 offset:16
	;; [unrolled: 1-line block ×9, first 2 shown]
	s_waitcnt lgkmcnt(7)
	;;#ASMSTART
	v_dot2_f32_f16 v9, v18, v22, v9
	;;#ASMEND
	;;#ASMSTART
	v_dot2_f32_f16 v9, v19, v23, v9
	;;#ASMEND
	;;#ASMSTART
	v_dot2_f32_f16 v9, v20, v24, v9
	;;#ASMEND
	;;#ASMSTART
	v_dot2_f32_f16 v9, v21, v25, v9
	;;#ASMEND
	s_waitcnt lgkmcnt(6)
	;;#ASMSTART
	v_dot2_f32_f16 v8, v18, v26, v8
	;;#ASMEND
	;;#ASMSTART
	v_dot2_f32_f16 v8, v19, v27, v8
	;;#ASMEND
	;;#ASMSTART
	v_dot2_f32_f16 v8, v20, v28, v8
	;;#ASMEND
	;;#ASMSTART
	v_dot2_f32_f16 v8, v21, v29, v8
	;;#ASMEND
	s_waitcnt lgkmcnt(5)
	;;#ASMSTART
	v_dot2_f32_f16 v7, v18, v30, v7
	;;#ASMEND
	;;#ASMSTART
	v_dot2_f32_f16 v7, v19, v31, v7
	;;#ASMEND
	;;#ASMSTART
	v_dot2_f32_f16 v7, v20, v32, v7
	;;#ASMEND
	;;#ASMSTART
	v_dot2_f32_f16 v7, v21, v33, v7
	;;#ASMEND
	s_waitcnt lgkmcnt(4)
	;;#ASMSTART
	v_dot2_f32_f16 v6, v18, v34, v6
	;;#ASMEND
	;;#ASMSTART
	v_dot2_f32_f16 v6, v19, v35, v6
	;;#ASMEND
	;;#ASMSTART
	v_dot2_f32_f16 v6, v20, v36, v6
	;;#ASMEND
	;;#ASMSTART
	v_dot2_f32_f16 v6, v21, v37, v6
	;;#ASMEND
	s_waitcnt lgkmcnt(3)
	;;#ASMSTART
	v_dot2_f32_f16 v5, v18, v38, v5
	;;#ASMEND
	;;#ASMSTART
	v_dot2_f32_f16 v5, v19, v39, v5
	;;#ASMEND
	;;#ASMSTART
	v_dot2_f32_f16 v5, v20, v40, v5
	;;#ASMEND
	;;#ASMSTART
	v_dot2_f32_f16 v5, v21, v41, v5
	;;#ASMEND
	s_waitcnt lgkmcnt(2)
	;;#ASMSTART
	v_dot2_f32_f16 v4, v18, v42, v4
	;;#ASMEND
	;;#ASMSTART
	v_dot2_f32_f16 v4, v19, v43, v4
	;;#ASMEND
	;;#ASMSTART
	v_dot2_f32_f16 v4, v20, v44, v4
	;;#ASMEND
	;;#ASMSTART
	v_dot2_f32_f16 v4, v21, v45, v4
	;;#ASMEND
	s_waitcnt lgkmcnt(1)
	;;#ASMSTART
	v_dot2_f32_f16 v3, v18, v46, v3
	;;#ASMEND
	;;#ASMSTART
	v_dot2_f32_f16 v3, v19, v47, v3
	;;#ASMEND
	;;#ASMSTART
	v_dot2_f32_f16 v3, v20, v48, v3
	;;#ASMEND
	;;#ASMSTART
	v_dot2_f32_f16 v3, v21, v49, v3
	;;#ASMEND
	s_waitcnt lgkmcnt(0)
	;;#ASMSTART
	v_dot2_f32_f16 v2, v18, v50, v2
	;;#ASMEND
	;;#ASMSTART
	v_dot2_f32_f16 v2, v19, v51, v2
	;;#ASMEND
	;;#ASMSTART
	v_dot2_f32_f16 v2, v20, v52, v2
	;;#ASMEND
	;;#ASMSTART
	v_dot2_f32_f16 v2, v21, v53, v2
	;;#ASMEND
	ds_read_b128 v[18:21], v166 offset:32
	ds_read_b128 v[22:25], v152 offset:32
	;; [unrolled: 1-line block ×9, first 2 shown]
	s_waitcnt lgkmcnt(7)
	;;#ASMSTART
	v_dot2_f32_f16 v9, v18, v22, v9
	;;#ASMEND
	;;#ASMSTART
	v_dot2_f32_f16 v9, v19, v23, v9
	;;#ASMEND
	;;#ASMSTART
	v_dot2_f32_f16 v9, v20, v24, v9
	;;#ASMEND
	;;#ASMSTART
	v_dot2_f32_f16 v9, v21, v25, v9
	;;#ASMEND
	s_waitcnt lgkmcnt(6)
	;;#ASMSTART
	v_dot2_f32_f16 v8, v18, v26, v8
	;;#ASMEND
	;;#ASMSTART
	v_dot2_f32_f16 v8, v19, v27, v8
	;;#ASMEND
	;;#ASMSTART
	v_dot2_f32_f16 v8, v20, v28, v8
	;;#ASMEND
	;;#ASMSTART
	v_dot2_f32_f16 v8, v21, v29, v8
	;;#ASMEND
	;; [unrolled: 13-line block ×8, first 2 shown]
	ds_read_b128 v[18:21], v166 offset:48
	ds_read_b128 v[22:25], v152 offset:48
	;; [unrolled: 1-line block ×9, first 2 shown]
	s_waitcnt lgkmcnt(7)
	;;#ASMSTART
	v_dot2_f32_f16 v9, v18, v22, v9
	;;#ASMEND
	;;#ASMSTART
	v_dot2_f32_f16 v9, v19, v23, v9
	;;#ASMEND
	;;#ASMSTART
	v_dot2_f32_f16 v9, v20, v24, v9
	;;#ASMEND
	;;#ASMSTART
	v_dot2_f32_f16 v9, v21, v25, v9
	;;#ASMEND
	s_waitcnt lgkmcnt(6)
	;;#ASMSTART
	v_dot2_f32_f16 v8, v18, v26, v8
	;;#ASMEND
	;;#ASMSTART
	v_dot2_f32_f16 v8, v19, v27, v8
	;;#ASMEND
	;;#ASMSTART
	v_dot2_f32_f16 v8, v20, v28, v8
	;;#ASMEND
	;;#ASMSTART
	v_dot2_f32_f16 v8, v21, v29, v8
	;;#ASMEND
	;; [unrolled: 13-line block ×8, first 2 shown]
	ds_read_b128 v[18:21], v166 offset:64
	ds_read_b128 v[22:25], v152 offset:64
	;; [unrolled: 1-line block ×9, first 2 shown]
	s_waitcnt lgkmcnt(7)
	;;#ASMSTART
	v_dot2_f32_f16 v9, v18, v22, v9
	;;#ASMEND
	;;#ASMSTART
	v_dot2_f32_f16 v9, v19, v23, v9
	;;#ASMEND
	;;#ASMSTART
	v_dot2_f32_f16 v9, v20, v24, v9
	;;#ASMEND
	;;#ASMSTART
	v_dot2_f32_f16 v9, v21, v25, v9
	;;#ASMEND
	s_waitcnt lgkmcnt(6)
	;;#ASMSTART
	v_dot2_f32_f16 v8, v18, v26, v8
	;;#ASMEND
	;;#ASMSTART
	v_dot2_f32_f16 v8, v19, v27, v8
	;;#ASMEND
	;;#ASMSTART
	v_dot2_f32_f16 v8, v20, v28, v8
	;;#ASMEND
	;;#ASMSTART
	v_dot2_f32_f16 v8, v21, v29, v8
	;;#ASMEND
	s_waitcnt lgkmcnt(5)
	;;#ASMSTART
	v_dot2_f32_f16 v7, v18, v30, v7
	;;#ASMEND
	;;#ASMSTART
	v_dot2_f32_f16 v7, v19, v31, v7
	;;#ASMEND
	;;#ASMSTART
	v_dot2_f32_f16 v7, v20, v32, v7
	;;#ASMEND
	;;#ASMSTART
	v_dot2_f32_f16 v7, v21, v33, v7
	;;#ASMEND
	s_waitcnt lgkmcnt(4)
	;;#ASMSTART
	v_dot2_f32_f16 v6, v18, v34, v6
	;;#ASMEND
	;;#ASMSTART
	v_dot2_f32_f16 v6, v19, v35, v6
	;;#ASMEND
	;;#ASMSTART
	v_dot2_f32_f16 v6, v20, v36, v6
	;;#ASMEND
	;;#ASMSTART
	v_dot2_f32_f16 v6, v21, v37, v6
	;;#ASMEND
	s_waitcnt lgkmcnt(3)
	;;#ASMSTART
	v_dot2_f32_f16 v5, v18, v38, v5
	;;#ASMEND
	;;#ASMSTART
	v_dot2_f32_f16 v5, v19, v39, v5
	;;#ASMEND
	;;#ASMSTART
	v_dot2_f32_f16 v5, v20, v40, v5
	;;#ASMEND
	;;#ASMSTART
	v_dot2_f32_f16 v5, v21, v41, v5
	;;#ASMEND
	s_waitcnt lgkmcnt(2)
	;;#ASMSTART
	v_dot2_f32_f16 v4, v18, v42, v4
	;;#ASMEND
	;;#ASMSTART
	v_dot2_f32_f16 v4, v19, v43, v4
	;;#ASMEND
	;;#ASMSTART
	v_dot2_f32_f16 v4, v20, v44, v4
	;;#ASMEND
	;;#ASMSTART
	v_dot2_f32_f16 v4, v21, v45, v4
	;;#ASMEND
	s_waitcnt lgkmcnt(1)
	;;#ASMSTART
	v_dot2_f32_f16 v3, v18, v46, v3
	;;#ASMEND
	;;#ASMSTART
	v_dot2_f32_f16 v3, v19, v47, v3
	;;#ASMEND
	;;#ASMSTART
	v_dot2_f32_f16 v3, v20, v48, v3
	;;#ASMEND
	;;#ASMSTART
	v_dot2_f32_f16 v3, v21, v49, v3
	;;#ASMEND
	s_waitcnt lgkmcnt(0)
	;;#ASMSTART
	v_dot2_f32_f16 v2, v18, v50, v2
	;;#ASMEND
	;;#ASMSTART
	v_dot2_f32_f16 v2, v19, v51, v2
	;;#ASMEND
	;;#ASMSTART
	v_dot2_f32_f16 v2, v20, v52, v2
	;;#ASMEND
	;;#ASMSTART
	v_dot2_f32_f16 v2, v21, v53, v2
	;;#ASMEND
	ds_read_b128 v[18:21], v166 offset:80
	ds_read_b128 v[22:25], v152 offset:80
	;; [unrolled: 1-line block ×9, first 2 shown]
	s_waitcnt lgkmcnt(7)
	;;#ASMSTART
	v_dot2_f32_f16 v9, v18, v22, v9
	;;#ASMEND
	;;#ASMSTART
	v_dot2_f32_f16 v9, v19, v23, v9
	;;#ASMEND
	;;#ASMSTART
	v_dot2_f32_f16 v9, v20, v24, v9
	;;#ASMEND
	;;#ASMSTART
	v_dot2_f32_f16 v9, v21, v25, v9
	;;#ASMEND
	s_waitcnt lgkmcnt(6)
	;;#ASMSTART
	v_dot2_f32_f16 v8, v18, v26, v8
	;;#ASMEND
	;;#ASMSTART
	v_dot2_f32_f16 v8, v19, v27, v8
	;;#ASMEND
	;;#ASMSTART
	v_dot2_f32_f16 v8, v20, v28, v8
	;;#ASMEND
	;;#ASMSTART
	v_dot2_f32_f16 v8, v21, v29, v8
	;;#ASMEND
	;; [unrolled: 13-line block ×8, first 2 shown]
	ds_read_b128 v[18:21], v166 offset:96
	ds_read_b128 v[22:25], v152 offset:96
	;; [unrolled: 1-line block ×9, first 2 shown]
	s_waitcnt lgkmcnt(7)
	;;#ASMSTART
	v_dot2_f32_f16 v9, v18, v22, v9
	;;#ASMEND
	;;#ASMSTART
	v_dot2_f32_f16 v9, v19, v23, v9
	;;#ASMEND
	;;#ASMSTART
	v_dot2_f32_f16 v9, v20, v24, v9
	;;#ASMEND
	;;#ASMSTART
	v_dot2_f32_f16 v9, v21, v25, v9
	;;#ASMEND
	s_waitcnt lgkmcnt(6)
	;;#ASMSTART
	v_dot2_f32_f16 v8, v18, v26, v8
	;;#ASMEND
	;;#ASMSTART
	v_dot2_f32_f16 v8, v19, v27, v8
	;;#ASMEND
	;;#ASMSTART
	v_dot2_f32_f16 v8, v20, v28, v8
	;;#ASMEND
	;;#ASMSTART
	v_dot2_f32_f16 v8, v21, v29, v8
	;;#ASMEND
	;; [unrolled: 13-line block ×8, first 2 shown]
	s_barrier
	buffer_gl0_inv
	s_and_saveexec_b32 s15, s7
	s_cbranch_execnz .LBB52_60
; %bb.29:                               ;   in Loop: Header=BB52_24 Depth=1
	s_or_b32 exec_lo, exec_lo, s15
	s_and_saveexec_b32 s15, s8
	s_cbranch_execnz .LBB52_61
.LBB52_30:                              ;   in Loop: Header=BB52_24 Depth=1
	s_or_b32 exec_lo, exec_lo, s15
	s_and_saveexec_b32 s15, s9
	s_cbranch_execz .LBB52_32
.LBB52_31:                              ;   in Loop: Header=BB52_24 Depth=1
	v_add_co_u32 v18, vcc_lo, s13, v111
	v_add_co_ci_u32_e64 v19, null, s14, v112, vcc_lo
	v_add_co_u32 v18, vcc_lo, v18, v183
	v_add_co_ci_u32_e64 v19, null, 0, v19, vcc_lo
	global_load_dwordx4 v[18:21], v[18:19], off offset:112
	s_waitcnt vmcnt(0)
	ds_write_b128 v169, v[18:21]
.LBB52_32:                              ;   in Loop: Header=BB52_24 Depth=1
	s_or_b32 exec_lo, exec_lo, s15
	s_waitcnt lgkmcnt(0)
	s_barrier
	buffer_gl0_inv
	ds_read_b128 v[18:21], v166
	ds_read_b128 v[22:25], v152 offset:112
	ds_read_b128 v[26:29], v152 offset:336
	ds_read_b128 v[30:33], v152 offset:560
	ds_read_b128 v[34:37], v152 offset:784
	ds_read_b128 v[38:41], v152 offset:1008
	ds_read_b128 v[42:45], v152 offset:1232
	ds_read_b128 v[46:49], v152 offset:1456
	ds_read_b128 v[50:53], v152 offset:1680
	s_andn2_b32 vcc_lo, exec_lo, s60
	s_waitcnt lgkmcnt(7)
	;;#ASMSTART
	v_dot2_f32_f16 v9, v18, v22, v9
	;;#ASMEND
	;;#ASMSTART
	v_dot2_f32_f16 v9, v19, v23, v9
	;;#ASMEND
	;;#ASMSTART
	v_dot2_f32_f16 v9, v20, v24, v9
	;;#ASMEND
	;;#ASMSTART
	v_dot2_f32_f16 v9, v21, v25, v9
	;;#ASMEND
	s_waitcnt lgkmcnt(6)
	;;#ASMSTART
	v_dot2_f32_f16 v8, v18, v26, v8
	;;#ASMEND
	;;#ASMSTART
	v_dot2_f32_f16 v8, v19, v27, v8
	;;#ASMEND
	;;#ASMSTART
	v_dot2_f32_f16 v8, v20, v28, v8
	;;#ASMEND
	;;#ASMSTART
	v_dot2_f32_f16 v8, v21, v29, v8
	;;#ASMEND
	;; [unrolled: 13-line block ×8, first 2 shown]
	ds_read_b128 v[18:21], v166 offset:16
	ds_read_b128 v[22:25], v152 offset:128
	;; [unrolled: 1-line block ×9, first 2 shown]
	s_waitcnt lgkmcnt(7)
	;;#ASMSTART
	v_dot2_f32_f16 v9, v18, v22, v9
	;;#ASMEND
	;;#ASMSTART
	v_dot2_f32_f16 v9, v19, v23, v9
	;;#ASMEND
	;;#ASMSTART
	v_dot2_f32_f16 v9, v20, v24, v9
	;;#ASMEND
	;;#ASMSTART
	v_dot2_f32_f16 v9, v21, v25, v9
	;;#ASMEND
	s_waitcnt lgkmcnt(6)
	;;#ASMSTART
	v_dot2_f32_f16 v8, v18, v26, v8
	;;#ASMEND
	;;#ASMSTART
	v_dot2_f32_f16 v8, v19, v27, v8
	;;#ASMEND
	;;#ASMSTART
	v_dot2_f32_f16 v8, v20, v28, v8
	;;#ASMEND
	;;#ASMSTART
	v_dot2_f32_f16 v8, v21, v29, v8
	;;#ASMEND
	;; [unrolled: 13-line block ×8, first 2 shown]
	ds_read_b128 v[18:21], v166 offset:32
	ds_read_b128 v[22:25], v152 offset:144
	;; [unrolled: 1-line block ×9, first 2 shown]
	s_waitcnt lgkmcnt(7)
	;;#ASMSTART
	v_dot2_f32_f16 v9, v18, v22, v9
	;;#ASMEND
	;;#ASMSTART
	v_dot2_f32_f16 v9, v19, v23, v9
	;;#ASMEND
	;;#ASMSTART
	v_dot2_f32_f16 v9, v20, v24, v9
	;;#ASMEND
	;;#ASMSTART
	v_dot2_f32_f16 v9, v21, v25, v9
	;;#ASMEND
	s_waitcnt lgkmcnt(6)
	;;#ASMSTART
	v_dot2_f32_f16 v8, v18, v26, v8
	;;#ASMEND
	;;#ASMSTART
	v_dot2_f32_f16 v8, v19, v27, v8
	;;#ASMEND
	;;#ASMSTART
	v_dot2_f32_f16 v8, v20, v28, v8
	;;#ASMEND
	;;#ASMSTART
	v_dot2_f32_f16 v8, v21, v29, v8
	;;#ASMEND
	;; [unrolled: 13-line block ×8, first 2 shown]
	ds_read_b128 v[18:21], v166 offset:48
	ds_read_b128 v[22:25], v152 offset:160
	;; [unrolled: 1-line block ×9, first 2 shown]
	s_waitcnt lgkmcnt(7)
	;;#ASMSTART
	v_dot2_f32_f16 v9, v18, v22, v9
	;;#ASMEND
	;;#ASMSTART
	v_dot2_f32_f16 v9, v19, v23, v9
	;;#ASMEND
	;;#ASMSTART
	v_dot2_f32_f16 v9, v20, v24, v9
	;;#ASMEND
	;;#ASMSTART
	v_dot2_f32_f16 v9, v21, v25, v9
	;;#ASMEND
	s_waitcnt lgkmcnt(6)
	;;#ASMSTART
	v_dot2_f32_f16 v8, v18, v26, v8
	;;#ASMEND
	;;#ASMSTART
	v_dot2_f32_f16 v8, v19, v27, v8
	;;#ASMEND
	;;#ASMSTART
	v_dot2_f32_f16 v8, v20, v28, v8
	;;#ASMEND
	;;#ASMSTART
	v_dot2_f32_f16 v8, v21, v29, v8
	;;#ASMEND
	;; [unrolled: 13-line block ×8, first 2 shown]
	ds_read_b128 v[18:21], v166 offset:64
	ds_read_b128 v[22:25], v152 offset:176
	;; [unrolled: 1-line block ×9, first 2 shown]
	s_waitcnt lgkmcnt(7)
	;;#ASMSTART
	v_dot2_f32_f16 v9, v18, v22, v9
	;;#ASMEND
	;;#ASMSTART
	v_dot2_f32_f16 v9, v19, v23, v9
	;;#ASMEND
	;;#ASMSTART
	v_dot2_f32_f16 v9, v20, v24, v9
	;;#ASMEND
	;;#ASMSTART
	v_dot2_f32_f16 v9, v21, v25, v9
	;;#ASMEND
	s_waitcnt lgkmcnt(6)
	;;#ASMSTART
	v_dot2_f32_f16 v8, v18, v26, v8
	;;#ASMEND
	;;#ASMSTART
	v_dot2_f32_f16 v8, v19, v27, v8
	;;#ASMEND
	;;#ASMSTART
	v_dot2_f32_f16 v8, v20, v28, v8
	;;#ASMEND
	;;#ASMSTART
	v_dot2_f32_f16 v8, v21, v29, v8
	;;#ASMEND
	;; [unrolled: 13-line block ×8, first 2 shown]
	ds_read_b128 v[18:21], v166 offset:80
	ds_read_b128 v[22:25], v152 offset:192
	;; [unrolled: 1-line block ×9, first 2 shown]
	s_waitcnt lgkmcnt(7)
	;;#ASMSTART
	v_dot2_f32_f16 v9, v18, v22, v9
	;;#ASMEND
	;;#ASMSTART
	v_dot2_f32_f16 v9, v19, v23, v9
	;;#ASMEND
	;;#ASMSTART
	v_dot2_f32_f16 v9, v20, v24, v9
	;;#ASMEND
	;;#ASMSTART
	v_dot2_f32_f16 v9, v21, v25, v9
	;;#ASMEND
	s_waitcnt lgkmcnt(6)
	;;#ASMSTART
	v_dot2_f32_f16 v8, v18, v26, v8
	;;#ASMEND
	;;#ASMSTART
	v_dot2_f32_f16 v8, v19, v27, v8
	;;#ASMEND
	;;#ASMSTART
	v_dot2_f32_f16 v8, v20, v28, v8
	;;#ASMEND
	;;#ASMSTART
	v_dot2_f32_f16 v8, v21, v29, v8
	;;#ASMEND
	;; [unrolled: 13-line block ×8, first 2 shown]
	ds_read_b128 v[25:28], v166 offset:96
	ds_read_b128 v[29:32], v152 offset:208
	;; [unrolled: 1-line block ×9, first 2 shown]
	s_waitcnt lgkmcnt(7)
	;;#ASMSTART
	v_dot2_f32_f16 v9, v25, v29, v9
	;;#ASMEND
	;;#ASMSTART
	v_dot2_f32_f16 v9, v26, v30, v9
	;;#ASMEND
	;;#ASMSTART
	v_dot2_f32_f16 v9, v27, v31, v9
	;;#ASMEND
	;;#ASMSTART
	v_dot2_f32_f16 v9, v28, v32, v9
	;;#ASMEND
	s_waitcnt lgkmcnt(6)
	;;#ASMSTART
	v_dot2_f32_f16 v8, v25, v33, v8
	;;#ASMEND
	;;#ASMSTART
	v_dot2_f32_f16 v8, v26, v34, v8
	;;#ASMEND
	;;#ASMSTART
	v_dot2_f32_f16 v8, v27, v35, v8
	;;#ASMEND
	;;#ASMSTART
	v_dot2_f32_f16 v8, v28, v36, v8
	;;#ASMEND
	;; [unrolled: 13-line block ×6, first 2 shown]
	s_waitcnt lgkmcnt(1)
	;;#ASMSTART
	v_dot2_f32_f16 v3, v25, v53, v3
	;;#ASMEND
	v_add_nc_u32_e32 v24, s40, v0
	v_mov_b32_e32 v21, 0
	v_mov_b32_e32 v18, 0
	;;#ASMSTART
	v_dot2_f32_f16 v3, v26, v54, v3
	;;#ASMEND
	;;#ASMSTART
	v_dot2_f32_f16 v3, v27, v55, v3
	;;#ASMEND
	;; [unrolled: 3-line block ×3, first 2 shown]
	s_waitcnt lgkmcnt(0)
	;;#ASMSTART
	v_dot2_f32_f16 v2, v25, v57, v2
	;;#ASMEND
	;;#ASMSTART
	v_dot2_f32_f16 v2, v26, v58, v2
	;;#ASMEND
	;; [unrolled: 3-line block ×4, first 2 shown]
	s_cbranch_vccnz .LBB52_34
; %bb.33:                               ;   in Loop: Header=BB52_24 Depth=1
	v_add_nc_u32_e32 v18, v24, v170
	v_ashrrev_i32_e32 v19, 31, v18
	v_lshlrev_b64 v[18:19], 1, v[18:19]
	v_add_co_u32 v18, vcc_lo, s56, v18
	v_add_co_ci_u32_e64 v19, null, s57, v19, vcc_lo
	global_load_ushort v18, v[18:19], off
	s_waitcnt vmcnt(0)
	v_cvt_f32_f16_e32 v18, v18
	v_mul_f32_e32 v18, v148, v18
.LBB52_34:                              ;   in Loop: Header=BB52_24 Depth=1
	v_xor_b32_e32 v20, 16, v184
	v_add_f32_e32 v19, v9, v18
	v_max_f32_e32 v9, v11, v11
	v_xor_b32_e32 v22, 2, v184
	v_cmp_gt_i32_e32 vcc_lo, 32, v20
	v_cndmask_b32_e32 v18, v184, v20, vcc_lo
	v_add_f32_e32 v20, 0x40051340, v19
	v_lshlrev_b32_e32 v28, 2, v18
	v_max_f32_e32 v9, v9, v20
	v_xor_b32_e32 v20, 8, v184
	ds_bpermute_b32 v18, v28, v9
	v_cmp_gt_i32_e32 vcc_lo, 32, v20
	v_cndmask_b32_e32 v20, v184, v20, vcc_lo
	v_lshlrev_b32_e32 v27, 2, v20
	v_xor_b32_e32 v20, 4, v184
	v_cmp_gt_i32_e32 vcc_lo, 32, v20
	s_waitcnt lgkmcnt(0)
	v_max_f32_e32 v18, v18, v18
	v_cndmask_b32_e32 v20, v184, v20, vcc_lo
	v_cmp_gt_i32_e32 vcc_lo, 32, v22
	v_max_f32_e32 v9, v9, v18
	v_lshlrev_b32_e32 v20, 2, v20
	v_cndmask_b32_e32 v22, v184, v22, vcc_lo
	ds_bpermute_b32 v18, v27, v9
	s_waitcnt lgkmcnt(0)
	v_max_f32_e32 v18, v18, v18
	v_max_f32_e32 v9, v9, v18
	ds_bpermute_b32 v18, v20, v9
	s_waitcnt lgkmcnt(0)
	v_max_f32_e32 v23, v18, v18
	v_lshlrev_b32_e32 v18, 2, v22
	v_max_f32_e32 v22, v9, v23
	v_xor_b32_e32 v23, 1, v184
	ds_bpermute_b32 v9, v18, v22
	v_cmp_gt_i32_e32 vcc_lo, 32, v23
	v_cndmask_b32_e32 v23, v184, v23, vcc_lo
	s_andn2_b32 vcc_lo, exec_lo, s60
	s_waitcnt lgkmcnt(0)
	v_max_f32_e32 v25, v9, v9
	v_lshlrev_b32_e32 v9, 2, v23
	v_max_f32_e32 v29, v22, v25
	ds_bpermute_b32 v30, v9, v29
	s_cbranch_vccnz .LBB52_36
; %bb.35:                               ;   in Loop: Header=BB52_24 Depth=1
	v_add_nc_u32_e32 v21, v24, v171
	v_ashrrev_i32_e32 v22, 31, v21
	v_lshlrev_b64 v[21:22], 1, v[21:22]
	v_add_co_u32 v21, vcc_lo, s56, v21
	v_add_co_ci_u32_e64 v22, null, s57, v22, vcc_lo
	global_load_ushort v21, v[21:22], off
	s_waitcnt vmcnt(0)
	v_cvt_f32_f16_e32 v21, v21
	v_mul_f32_e32 v21, v148, v21
.LBB52_36:                              ;   in Loop: Header=BB52_24 Depth=1
	v_add_f32_e32 v21, v8, v21
	v_max_f32_e32 v22, v17, v17
	v_mov_b32_e32 v23, 0
	s_andn2_b32 vcc_lo, exec_lo, s60
	v_add_f32_e32 v8, 0x40051340, v21
	v_max_f32_e32 v8, v22, v8
	ds_bpermute_b32 v22, v28, v8
	s_waitcnt lgkmcnt(0)
	v_max_f32_e32 v22, v22, v22
	v_max_f32_e32 v8, v8, v22
	ds_bpermute_b32 v22, v27, v8
	s_waitcnt lgkmcnt(0)
	v_max_f32_e32 v22, v22, v22
	;; [unrolled: 4-line block ×4, first 2 shown]
	v_max_f32_e32 v8, v8, v22
	v_mov_b32_e32 v22, 0
	ds_bpermute_b32 v32, v9, v8
	s_cbranch_vccnz .LBB52_38
; %bb.37:                               ;   in Loop: Header=BB52_24 Depth=1
	v_add_nc_u32_e32 v25, v24, v172
	v_ashrrev_i32_e32 v26, 31, v25
	v_lshlrev_b64 v[25:26], 1, v[25:26]
	v_add_co_u32 v25, vcc_lo, s56, v25
	v_add_co_ci_u32_e64 v26, null, s57, v26, vcc_lo
	global_load_ushort v22, v[25:26], off
	s_waitcnt vmcnt(0)
	v_cvt_f32_f16_e32 v22, v22
	v_mul_f32_e32 v22, v148, v22
.LBB52_38:                              ;   in Loop: Header=BB52_24 Depth=1
	v_add_f32_e32 v22, v7, v22
	v_max_f32_e32 v25, v15, v15
	s_andn2_b32 vcc_lo, exec_lo, s60
	v_add_f32_e32 v7, 0x40051340, v22
	v_max_f32_e32 v7, v25, v7
	ds_bpermute_b32 v25, v28, v7
	s_waitcnt lgkmcnt(0)
	v_max_f32_e32 v25, v25, v25
	v_max_f32_e32 v7, v7, v25
	ds_bpermute_b32 v25, v27, v7
	s_waitcnt lgkmcnt(0)
	v_max_f32_e32 v25, v25, v25
	;; [unrolled: 4-line block ×4, first 2 shown]
	v_max_f32_e32 v7, v7, v25
	ds_bpermute_b32 v33, v9, v7
	s_cbranch_vccnz .LBB52_40
; %bb.39:                               ;   in Loop: Header=BB52_24 Depth=1
	v_add_nc_u32_e32 v25, v24, v173
	v_ashrrev_i32_e32 v26, 31, v25
	v_lshlrev_b64 v[25:26], 1, v[25:26]
	v_add_co_u32 v25, vcc_lo, s56, v25
	v_add_co_ci_u32_e64 v26, null, s57, v26, vcc_lo
	global_load_ushort v23, v[25:26], off
	s_waitcnt vmcnt(0)
	v_cvt_f32_f16_e32 v23, v23
	v_mul_f32_e32 v23, v148, v23
.LBB52_40:                              ;   in Loop: Header=BB52_24 Depth=1
	v_add_f32_e32 v23, v6, v23
	v_max_f32_e32 v25, v16, v16
	v_mov_b32_e32 v26, 0
	s_andn2_b32 vcc_lo, exec_lo, s60
	v_add_f32_e32 v6, 0x40051340, v23
	v_max_f32_e32 v6, v25, v6
	ds_bpermute_b32 v25, v28, v6
	s_waitcnt lgkmcnt(0)
	v_max_f32_e32 v25, v25, v25
	v_max_f32_e32 v6, v6, v25
	ds_bpermute_b32 v25, v27, v6
	s_waitcnt lgkmcnt(0)
	v_max_f32_e32 v25, v25, v25
	;; [unrolled: 4-line block ×4, first 2 shown]
	v_max_f32_e32 v6, v6, v25
	v_mov_b32_e32 v25, 0
	ds_bpermute_b32 v34, v9, v6
	s_cbranch_vccnz .LBB52_42
; %bb.41:                               ;   in Loop: Header=BB52_24 Depth=1
	v_add_nc_u32_e32 v35, v24, v174
	v_ashrrev_i32_e32 v36, 31, v35
	v_lshlrev_b64 v[35:36], 1, v[35:36]
	v_add_co_u32 v35, vcc_lo, s56, v35
	v_add_co_ci_u32_e64 v36, null, s57, v36, vcc_lo
	global_load_ushort v25, v[35:36], off
	s_waitcnt vmcnt(0)
	v_cvt_f32_f16_e32 v25, v25
	v_mul_f32_e32 v25, v148, v25
.LBB52_42:                              ;   in Loop: Header=BB52_24 Depth=1
	v_add_f32_e32 v25, v5, v25
	v_max_f32_e32 v31, v12, v12
	s_andn2_b32 vcc_lo, exec_lo, s60
	v_add_f32_e32 v5, 0x40051340, v25
	v_max_f32_e32 v5, v31, v5
	ds_bpermute_b32 v31, v28, v5
	s_waitcnt lgkmcnt(0)
	v_max_f32_e32 v31, v31, v31
	v_max_f32_e32 v5, v5, v31
	ds_bpermute_b32 v31, v27, v5
	s_waitcnt lgkmcnt(0)
	v_max_f32_e32 v31, v31, v31
	;; [unrolled: 4-line block ×4, first 2 shown]
	v_max_f32_e32 v5, v5, v31
	ds_bpermute_b32 v35, v9, v5
	s_cbranch_vccnz .LBB52_44
; %bb.43:                               ;   in Loop: Header=BB52_24 Depth=1
	v_add_nc_u32_e32 v36, v24, v175
	v_ashrrev_i32_e32 v37, 31, v36
	v_lshlrev_b64 v[36:37], 1, v[36:37]
	v_add_co_u32 v36, vcc_lo, s56, v36
	v_add_co_ci_u32_e64 v37, null, s57, v37, vcc_lo
	global_load_ushort v26, v[36:37], off
	s_waitcnt vmcnt(0)
	v_cvt_f32_f16_e32 v26, v26
	v_mul_f32_e32 v26, v148, v26
.LBB52_44:                              ;   in Loop: Header=BB52_24 Depth=1
	v_add_f32_e32 v26, v4, v26
	v_max_f32_e32 v31, v13, v13
	v_mov_b32_e32 v37, 0
	s_andn2_b32 vcc_lo, exec_lo, s60
	v_add_f32_e32 v4, 0x40051340, v26
	v_max_f32_e32 v4, v31, v4
	ds_bpermute_b32 v31, v28, v4
	s_waitcnt lgkmcnt(0)
	v_max_f32_e32 v31, v31, v31
	v_max_f32_e32 v4, v4, v31
	ds_bpermute_b32 v31, v27, v4
	s_waitcnt lgkmcnt(0)
	v_max_f32_e32 v31, v31, v31
	;; [unrolled: 4-line block ×4, first 2 shown]
	v_max_f32_e32 v4, v4, v31
	v_mov_b32_e32 v31, 0
	ds_bpermute_b32 v36, v9, v4
	s_cbranch_vccnz .LBB52_46
; %bb.45:                               ;   in Loop: Header=BB52_24 Depth=1
	v_add_nc_u32_e32 v38, v24, v176
	v_ashrrev_i32_e32 v39, 31, v38
	v_lshlrev_b64 v[38:39], 1, v[38:39]
	v_add_co_u32 v38, vcc_lo, s56, v38
	v_add_co_ci_u32_e64 v39, null, s57, v39, vcc_lo
	global_load_ushort v31, v[38:39], off
	s_waitcnt vmcnt(0)
	v_cvt_f32_f16_e32 v31, v31
	v_mul_f32_e32 v31, v148, v31
.LBB52_46:                              ;   in Loop: Header=BB52_24 Depth=1
	v_add_f32_e32 v31, v3, v31
	v_max_f32_e32 v38, v14, v14
	s_andn2_b32 vcc_lo, exec_lo, s60
	v_add_f32_e32 v3, 0x40051340, v31
	v_max_f32_e32 v3, v38, v3
	ds_bpermute_b32 v38, v28, v3
	s_waitcnt lgkmcnt(0)
	v_max_f32_e32 v38, v38, v38
	v_max_f32_e32 v3, v3, v38
	ds_bpermute_b32 v38, v27, v3
	s_waitcnt lgkmcnt(0)
	v_max_f32_e32 v38, v38, v38
	v_max_f32_e32 v3, v3, v38
	ds_bpermute_b32 v38, v20, v3
	s_waitcnt lgkmcnt(0)
	v_max_f32_e32 v38, v38, v38
	v_max_f32_e32 v3, v3, v38
	ds_bpermute_b32 v38, v18, v3
	s_waitcnt lgkmcnt(0)
	v_max_f32_e32 v38, v38, v38
	v_max_f32_e32 v3, v3, v38
	ds_bpermute_b32 v38, v9, v3
	s_cbranch_vccnz .LBB52_48
; %bb.47:                               ;   in Loop: Header=BB52_24 Depth=1
	v_add_nc_u32_e32 v39, v24, v177
	v_ashrrev_i32_e32 v40, 31, v39
	v_lshlrev_b64 v[39:40], 1, v[39:40]
	v_add_co_u32 v39, vcc_lo, s56, v39
	v_add_co_ci_u32_e64 v40, null, s57, v40, vcc_lo
	global_load_ushort v24, v[39:40], off
	s_waitcnt vmcnt(0)
	v_cvt_f32_f16_e32 v24, v24
	v_mul_f32_e32 v37, v148, v24
.LBB52_48:                              ;   in Loop: Header=BB52_24 Depth=1
	v_add_f32_e32 v24, v2, v37
	v_max_f32_e32 v2, v10, v10
	v_max_f32_e32 v4, v4, v4
	v_max_f32_e32 v30, v30, v30
	v_max_f32_e32 v29, v29, v29
	v_add_f32_e32 v37, 0x40051340, v24
	v_max_f32_e32 v3, v3, v3
	v_max_f32_e32 v32, v32, v32
	;; [unrolled: 1-line block ×5, first 2 shown]
	s_waitcnt lgkmcnt(0)
	v_max_f32_e32 v37, v38, v38
	v_max_f32_e32 v38, v7, v7
	v_max_f32_e32 v35, v35, v35
	v_max_f32_e32 v5, v5, v5
	ds_bpermute_b32 v28, v28, v2
	v_max_f32_e32 v8, v3, v37
	v_max_f32_e32 v3, v39, v32
	;; [unrolled: 1-line block ×3, first 2 shown]
	s_mul_hi_i32 s29, s40, s42
	s_mul_i32 s28, s40, s42
	v_sub_f32_e32 v196, v14, v8
	v_sub_f32_e32 v200, v17, v3
	;; [unrolled: 1-line block ×4, first 2 shown]
	s_lshl_b64 s[62:63], s[28:29], 2
	v_cmp_nlt_f32_e64 s13, 0x42b17218, v196
	v_cmp_ngt_f32_e64 s22, 0xc2ce8ed0, v200
	v_cmp_nlt_f32_e64 s23, 0x42b17218, v200
	s_add_u32 s29, s38, s62
	s_addc_u32 s61, s39, s63
	s_waitcnt lgkmcnt(0)
	s_barrier
	v_cmp_ngt_f32_e32 vcc_lo, 0xc2ce8ed0, v196
	buffer_gl0_inv
	v_max_f32_e32 v28, v28, v28
	v_max_f32_e32 v28, v2, v28
	;; [unrolled: 1-line block ×5, first 2 shown]
	ds_bpermute_b32 v27, v27, v28
	v_max_f32_e32 v7, v4, v2
	v_max_f32_e32 v2, v29, v30
	;; [unrolled: 1-line block ×4, first 2 shown]
	v_sub_f32_e32 v199, v12, v6
	v_sub_f32_e32 v12, v25, v6
	;; [unrolled: 1-line block ×6, first 2 shown]
	v_mul_f32_e32 v22, 0x3fb8aa3b, v17
	v_sub_f32_e32 v198, v16, v5
	v_mul_f32_e32 v21, 0x3fb8aa3b, v11
	v_sub_f32_e32 v16, v23, v5
	v_mul_f32_e32 v23, 0x3fb8aa3b, v15
	v_fma_f32 v30, 0x3fb8aa3b, v17, -v22
	v_rndne_f32_e32 v31, v22
	v_rndne_f32_e32 v29, v21
	v_mul_f32_e32 v25, 0x3fb8aa3b, v16
	s_waitcnt lgkmcnt(0)
	v_max_f32_e32 v27, v27, v27
	v_fma_f32 v32, 0x3fb8aa3b, v15, -v23
	v_rndne_f32_e32 v33, v23
	v_fmac_f32_e32 v30, 0x32a5705f, v17
	v_sub_f32_e32 v22, v22, v31
	v_max_f32_e32 v19, v28, v27
	v_fma_f32 v28, 0x3fb8aa3b, v11, -v21
	v_sub_f32_e32 v21, v21, v29
	v_sub_f32_e32 v197, v13, v7
	;; [unrolled: 1-line block ×3, first 2 shown]
	ds_bpermute_b32 v20, v20, v19
	v_fmac_f32_e32 v28, 0x32a5705f, v11
	v_mul_f32_e32 v26, 0x3fb8aa3b, v12
	v_fma_f32 v34, 0x3fb8aa3b, v16, -v25
	v_rndne_f32_e32 v35, v25
	v_fmac_f32_e32 v32, 0x32a5705f, v15
	v_add_f32_e32 v21, v21, v28
	v_sub_f32_e32 v23, v23, v33
	v_add_f32_e32 v22, v22, v30
	v_fma_f32 v36, 0x3fb8aa3b, v12, -v26
	v_rndne_f32_e32 v37, v26
	v_exp_f32_e32 v21, v21
	v_cvt_i32_f32_e32 v29, v29
	v_fmac_f32_e32 v34, 0x32a5705f, v16
	v_add_f32_e32 v23, v23, v32
	v_exp_f32_e32 v22, v22
	v_mul_f32_e32 v27, 0x3fb8aa3b, v14
	v_cvt_i32_f32_e32 v31, v31
	v_fmac_f32_e32 v36, 0x32a5705f, v12
	v_sub_f32_e32 v26, v26, v37
	s_waitcnt lgkmcnt(0)
	v_max_f32_e32 v20, v20, v20
	v_exp_f32_e32 v23, v23
	v_ldexp_f32 v21, v21, v29
	v_cmp_ngt_f32_e64 s24, 0xc2ce8ed0, v11
	v_fma_f32 v40, 0x3fb8aa3b, v14, -v27
	v_max_f32_e32 v19, v19, v20
	v_mul_f32_e32 v20, 0x3fb8aa3b, v13
	v_rndne_f32_e32 v41, v27
	v_cvt_i32_f32_e32 v33, v33
	v_add_f32_e32 v26, v26, v36
	ds_bpermute_b32 v18, v18, v19
	v_fma_f32 v38, 0x3fb8aa3b, v13, -v20
	v_rndne_f32_e32 v39, v20
	v_cndmask_b32_e64 v21, 0, v21, s24
	v_cmp_ngt_f32_e64 s24, 0xc2ce8ed0, v17
	v_fmac_f32_e32 v40, 0x32a5705f, v14
	v_fmac_f32_e32 v38, 0x32a5705f, v13
	v_sub_f32_e32 v20, v20, v39
	v_sub_f32_e32 v27, v27, v41
	v_exp_f32_e32 v26, v26
	v_cvt_i32_f32_e32 v28, v41
	v_cmp_ngt_f32_e64 s26, 0xc2ce8ed0, v202
	v_add_f32_e32 v20, v20, v38
	v_add_f32_e32 v27, v27, v40
	v_cmp_nlt_f32_e64 s27, 0x42b17218, v202
	v_cmp_ngt_f32_e64 s20, 0xc2ce8ed0, v201
	v_cmp_nlt_f32_e64 s21, 0x42b17218, v201
	v_exp_f32_e32 v20, v20
	v_exp_f32_e32 v27, v27
	v_cmp_ngt_f32_e64 s18, 0xc2ce8ed0, v198
	s_waitcnt lgkmcnt(0)
	v_max_f32_e32 v18, v18, v18
	v_cmp_nlt_f32_e64 s19, 0x42b17218, v198
	v_cmp_ngt_f32_e64 s16, 0xc2ce8ed0, v199
	v_cmp_nlt_f32_e64 s17, 0x42b17218, v199
	v_cmp_ngt_f32_e64 s14, 0xc2ce8ed0, v197
	v_max_f32_e32 v18, v19, v18
	v_sub_f32_e32 v19, v25, v35
	v_cvt_i32_f32_e32 v25, v35
	v_cvt_i32_f32_e32 v35, v37
	;; [unrolled: 1-line block ×3, first 2 shown]
	ds_bpermute_b32 v9, v9, v18
	v_add_f32_e32 v19, v19, v34
	v_cmp_nlt_f32_e64 s15, 0x42b17218, v197
	v_ldexp_f32 v20, v20, v37
	v_exp_f32_e32 v19, v19
	v_ldexp_f32 v19, v19, v25
	v_ldexp_f32 v25, v27, v28
	s_waitcnt lgkmcnt(0)
	v_max_f32_e32 v9, v9, v9
	v_max_f32_e32 v9, v18, v9
	v_ldexp_f32 v18, v22, v31
	v_ldexp_f32 v22, v23, v33
	;; [unrolled: 1-line block ×3, first 2 shown]
	v_sub_f32_e32 v24, v24, v9
	v_cndmask_b32_e64 v18, 0, v18, s24
	v_cmp_ngt_f32_e64 s24, 0xc2ce8ed0, v15
	v_sub_f32_e32 v203, v10, v9
	v_mul_f32_e32 v26, 0x3fb8aa3b, v24
	v_cndmask_b32_e64 v22, 0, v22, s24
	v_cmp_ngt_f32_e64 s24, 0xc2ce8ed0, v16
	v_cmp_nlt_f32_e64 s25, 0x42b17218, v203
	v_fma_f32 v27, 0x3fb8aa3b, v24, -v26
	v_rndne_f32_e32 v28, v26
	v_cndmask_b32_e64 v19, 0, v19, s24
	v_cmp_ngt_f32_e64 s24, 0xc2ce8ed0, v12
	v_fmac_f32_e32 v27, 0x32a5705f, v24
	v_sub_f32_e32 v26, v26, v28
	v_cndmask_b32_e64 v23, 0, v23, s24
	v_cmp_ngt_f32_e64 s24, 0xc2ce8ed0, v13
	v_add_f32_e32 v26, v26, v27
	v_cndmask_b32_e64 v20, 0, v20, s24
	v_cmp_ngt_f32_e64 s24, 0xc2ce8ed0, v14
	v_cndmask_b32_e64 v25, 0, v25, s24
	v_cmp_nlt_f32_e64 s24, 0x42b17218, v11
	v_exp_f32_e32 v11, v26
	v_cndmask_b32_e64 v160, 0x7f800000, v21, s24
	v_cmp_nlt_f32_e64 s24, 0x42b17218, v17
	v_cndmask_b32_e64 v159, 0x7f800000, v18, s24
	v_cmp_nlt_f32_e64 s24, 0x42b17218, v15
	v_cvt_i32_f32_e32 v15, v28
	v_cndmask_b32_e64 v158, 0x7f800000, v22, s24
	v_cmp_nlt_f32_e64 s24, 0x42b17218, v16
	v_ldexp_f32 v11, v11, v15
	v_cvt_f16_f32_e32 v15, v159
	v_cndmask_b32_e64 v157, 0x7f800000, v19, s24
	v_cmp_nlt_f32_e64 s24, 0x42b17218, v12
	v_cvt_f16_f32_e32 v16, v157
	v_cndmask_b32_e64 v156, 0x7f800000, v23, s24
	v_cmp_nlt_f32_e64 s24, 0x42b17218, v13
	v_cvt_f16_f32_e32 v13, v158
	v_cvt_f16_f32_e32 v12, v156
	v_cndmask_b32_e64 v155, 0x7f800000, v20, s24
	v_cmp_nlt_f32_e64 s24, 0x42b17218, v14
	v_cvt_f16_f32_e32 v14, v160
	v_cndmask_b32_e64 v153, 0x7f800000, v25, s24
	v_cmp_ngt_f32_e64 s24, 0xc2ce8ed0, v24
	v_cvt_f16_f32_e32 v10, v153
	v_cndmask_b32_e64 v11, 0, v11, s24
	v_cmp_nlt_f32_e64 s24, 0x42b17218, v24
	v_cndmask_b32_e64 v154, 0x7f800000, v11, s24
	v_cvt_f16_f32_e32 v11, v155
	v_cmp_ngt_f32_e64 s24, 0xc2ce8ed0, v203
	v_cvt_f16_f32_e32 v17, v154
	v_pack_b32_f16 v12, v12, v11
	v_pack_b32_f16 v11, v13, v16
	;; [unrolled: 1-line block ×4, first 2 shown]
	ds_write_b128 v181, v[10:13]
	s_and_saveexec_b32 s62, s10
	s_cbranch_execnz .LBB52_62
; %bb.49:                               ;   in Loop: Header=BB52_24 Depth=1
	s_or_b32 exec_lo, exec_lo, s62
	s_and_saveexec_b32 s62, s11
	s_cbranch_execnz .LBB52_63
.LBB52_50:                              ;   in Loop: Header=BB52_24 Depth=1
	s_or_b32 exec_lo, exec_lo, s62
	v_lshlrev_b32_e32 v204, 2, v149
	s_and_saveexec_b32 s62, s12
	s_cbranch_execz .LBB52_52
.LBB52_51:                              ;   in Loop: Header=BB52_24 Depth=1
	v_add_co_u32 v10, s28, s29, v117
	v_add_co_ci_u32_e64 v11, null, s61, v118, s28
	v_add_co_u32 v10, s28, v10, v204
	v_add_co_ci_u32_e64 v11, null, 0, v11, s28
	global_load_dwordx4 v[10:13], v[10:11], off
	s_waitcnt vmcnt(0)
	ds_write_b128 v180, v[10:13]
.LBB52_52:                              ;   in Loop: Header=BB52_24 Depth=1
	s_or_b32 exec_lo, exec_lo, s62
	v_add_nc_u32_e32 v195, 0x3800, v129
	s_waitcnt lgkmcnt(0)
	s_barrier
	buffer_gl0_inv
	v_add_nc_u32_e32 v194, 0x4000, v129
	ds_read2_b64 v[94:97], v195 offset1:28
	ds_read_b128 v[102:105], v131
	ds_read_b128 v[98:101], v131 offset:16
	ds_read_b128 v[90:93], v131 offset:32
	;; [unrolled: 1-line block ×3, first 2 shown]
	ds_read2_b64 v[82:85], v195 offset0:56 offset1:84
	ds_read2_b64 v[62:65], v195 offset0:112 offset1:140
	ds_read_b128 v[78:81], v131 offset:64
	ds_read_b128 v[74:77], v131 offset:80
	ds_read2_b64 v[54:57], v195 offset0:168 offset1:196
	ds_read_b128 v[70:73], v131 offset:96
	ds_read_b128 v[66:69], v131 offset:112
	;; [unrolled: 3-line block ×6, first 2 shown]
	s_or_b32 s28, s40, 16
	s_waitcnt lgkmcnt(0)
	s_mul_hi_i32 s29, s28, s42
	s_mul_i32 s28, s28, s42
	s_barrier
	s_lshl_b64 s[62:63], s[28:29], 2
	buffer_gl0_inv
	s_add_u32 s29, s38, s62
	s_addc_u32 s61, s39, s63
	s_and_saveexec_b32 s62, s10
	s_cbranch_execnz .LBB52_64
; %bb.53:                               ;   in Loop: Header=BB52_24 Depth=1
	s_or_b32 exec_lo, exec_lo, s62
	s_and_saveexec_b32 s62, s11
	s_cbranch_execnz .LBB52_65
.LBB52_54:                              ;   in Loop: Header=BB52_24 Depth=1
	s_or_b32 exec_lo, exec_lo, s62
	s_and_saveexec_b32 s62, s12
	s_cbranch_execz .LBB52_56
.LBB52_55:                              ;   in Loop: Header=BB52_24 Depth=1
	v_add_co_u32 v205, s28, s29, v117
	v_add_co_ci_u32_e64 v206, null, s61, v118, s28
	v_add_co_u32 v204, s28, v205, v204
	v_add_co_ci_u32_e64 v205, null, 0, v206, s28
	global_load_dwordx4 v[204:207], v[204:205], off
	s_waitcnt vmcnt(0)
	ds_write_b128 v180, v[204:207]
.LBB52_56:                              ;   in Loop: Header=BB52_24 Depth=1
	s_or_b32 exec_lo, exec_lo, s62
	v_mul_u32_u24_sdwa v208, v98, v185 dst_sel:DWORD dst_unused:UNUSED_PAD src0_sel:WORD_0 src1_sel:DWORD
	v_mul_u32_u24_sdwa v209, v98, v185 dst_sel:DWORD dst_unused:UNUSED_PAD src0_sel:WORD_1 src1_sel:DWORD
	v_mul_f32_e32 v98, 0x3fb8aa3b, v202
	v_mul_u32_u24_sdwa v204, v102, v185 dst_sel:DWORD dst_unused:UNUSED_PAD src0_sel:WORD_0 src1_sel:DWORD
	v_mul_u32_u24_sdwa v102, v102, v185 dst_sel:DWORD dst_unused:UNUSED_PAD src0_sel:WORD_1 src1_sel:DWORD
	v_mul_u32_u24_sdwa v205, v103, v185 dst_sel:DWORD dst_unused:UNUSED_PAD src0_sel:WORD_0 src1_sel:DWORD
	v_mul_u32_u24_sdwa v103, v103, v185 dst_sel:DWORD dst_unused:UNUSED_PAD src0_sel:WORD_1 src1_sel:DWORD
	v_fma_f32 v213, 0x3fb8aa3b, v202, -v98
	v_mul_u32_u24_sdwa v206, v104, v185 dst_sel:DWORD dst_unused:UNUSED_PAD src0_sel:WORD_0 src1_sel:DWORD
	v_mul_u32_u24_sdwa v104, v104, v185 dst_sel:DWORD dst_unused:UNUSED_PAD src0_sel:WORD_1 src1_sel:DWORD
	v_mul_u32_u24_sdwa v207, v105, v185 dst_sel:DWORD dst_unused:UNUSED_PAD src0_sel:WORD_0 src1_sel:DWORD
	v_mul_u32_u24_sdwa v105, v105, v185 dst_sel:DWORD dst_unused:UNUSED_PAD src0_sel:WORD_1 src1_sel:DWORD
	v_fmac_f32_e32 v213, 0x32a5705f, v202
	v_mul_f32_e32 v202, 0x3fb8aa3b, v200
	v_mul_u32_u24_sdwa v210, v99, v185 dst_sel:DWORD dst_unused:UNUSED_PAD src0_sel:WORD_0 src1_sel:DWORD
	v_mul_u32_u24_sdwa v99, v99, v185 dst_sel:DWORD dst_unused:UNUSED_PAD src0_sel:WORD_1 src1_sel:DWORD
	v_mul_u32_u24_sdwa v211, v100, v185 dst_sel:DWORD dst_unused:UNUSED_PAD src0_sel:WORD_0 src1_sel:DWORD
	v_mul_u32_u24_sdwa v100, v100, v185 dst_sel:DWORD dst_unused:UNUSED_PAD src0_sel:WORD_1 src1_sel:DWORD
	v_fma_f32 v214, 0x3fb8aa3b, v200, -v202
	v_mul_u32_u24_sdwa v212, v101, v185 dst_sel:DWORD dst_unused:UNUSED_PAD src0_sel:WORD_0 src1_sel:DWORD
	v_mul_u32_u24_sdwa v101, v101, v185 dst_sel:DWORD dst_unused:UNUSED_PAD src0_sel:WORD_1 src1_sel:DWORD
	s_waitcnt lgkmcnt(0)
	s_barrier
	v_fmac_f32_e32 v214, 0x32a5705f, v200
	v_mul_f32_e32 v200, 0x3fb8aa3b, v201
	buffer_gl0_inv
	v_fma_f32 v215, 0x3fb8aa3b, v201, -v200
	v_fmac_f32_e32 v215, 0x32a5705f, v201
	v_rndne_f32_e32 v201, v98
	v_sub_f32_e32 v98, v98, v201
	v_cvt_i32_f32_e32 v201, v201
	v_add_f32_e32 v98, v98, v213
	v_rndne_f32_e32 v213, v202
	v_exp_f32_e32 v98, v98
	v_sub_f32_e32 v202, v202, v213
	v_add_f32_e32 v202, v202, v214
	v_rndne_f32_e32 v214, v200
	v_ldexp_f32 v98, v98, v201
	v_exp_f32_e32 v201, v202
	v_sub_f32_e32 v200, v200, v214
	v_cvt_i32_f32_e32 v202, v213
	v_cndmask_b32_e64 v98, 0, v98, s26
	v_add_f32_e32 v200, v200, v215
	v_cndmask_b32_e64 v98, 0x7f800000, v98, s27
	v_ldexp_f32 v201, v201, v202
	v_exp_f32_e32 v200, v200
	v_cvt_i32_f32_e32 v202, v214
	v_fmac_f32_e32 v160, v186, v98
	v_cndmask_b32_e64 v201, 0, v201, s22
	v_cndmask_b32_e64 v201, 0x7f800000, v201, s23
	v_ldexp_f32 v200, v200, v202
	v_mul_f32_e32 v202, 0x3fb8aa3b, v198
	v_fmac_f32_e32 v159, v187, v201
	v_cndmask_b32_e64 v200, 0, v200, s20
	v_fma_f32 v213, 0x3fb8aa3b, v198, -v202
	v_cndmask_b32_e64 v200, 0x7f800000, v200, s21
	v_fmac_f32_e32 v213, 0x32a5705f, v198
	v_mul_f32_e32 v198, 0x3fb8aa3b, v199
	v_fmac_f32_e32 v158, v188, v200
	v_fma_f32 v214, 0x3fb8aa3b, v199, -v198
	v_fmac_f32_e32 v214, 0x32a5705f, v199
	v_rndne_f32_e32 v199, v202
	v_sub_f32_e32 v202, v202, v199
	v_cvt_i32_f32_e32 v199, v199
	v_add_f32_e32 v202, v202, v213
	v_rndne_f32_e32 v213, v198
	v_exp_f32_e32 v202, v202
	v_sub_f32_e32 v198, v198, v213
	v_add_f32_e32 v198, v198, v214
	v_mul_f32_e32 v214, 0x3fb8aa3b, v197
	v_ldexp_f32 v199, v202, v199
	v_exp_f32_e32 v198, v198
	v_fma_f32 v215, 0x3fb8aa3b, v197, -v214
	v_cvt_i32_f32_e32 v202, v213
	v_cndmask_b32_e64 v199, 0, v199, s18
	v_fmac_f32_e32 v215, 0x32a5705f, v197
	v_rndne_f32_e32 v197, v214
	v_cndmask_b32_e64 v199, 0x7f800000, v199, s19
	v_ldexp_f32 v198, v198, v202
	v_sub_f32_e32 v214, v214, v197
	v_cvt_i32_f32_e32 v197, v197
	v_fmac_f32_e32 v157, v189, v199
	v_cndmask_b32_e64 v198, 0, v198, s16
	v_add_f32_e32 v214, v214, v215
	v_mul_f32_e32 v215, 0x3fb8aa3b, v196
	v_cndmask_b32_e64 v198, 0x7f800000, v198, s17
	v_exp_f32_e32 v202, v214
	v_fma_f32 v216, 0x3fb8aa3b, v196, -v215
	v_fmac_f32_e32 v156, v190, v198
	v_fmac_f32_e32 v216, 0x32a5705f, v196
	v_mul_f32_e32 v196, 0x3fb8aa3b, v203
	v_ldexp_f32 v197, v202, v197
	v_fma_f32 v217, 0x3fb8aa3b, v203, -v196
	v_cndmask_b32_e64 v197, 0, v197, s14
	v_fmac_f32_e32 v217, 0x32a5705f, v203
	v_rndne_f32_e32 v203, v215
	v_cndmask_b32_e64 v197, 0x7f800000, v197, s15
	v_sub_f32_e32 v215, v215, v203
	v_cvt_i32_f32_e32 v203, v203
	v_fmac_f32_e32 v155, v191, v197
	v_add_f32_e32 v215, v215, v216
	v_rndne_f32_e32 v216, v196
	v_exp_f32_e32 v202, v215
	v_sub_f32_e32 v196, v196, v216
	v_add_f32_e32 v196, v196, v217
	v_ldexp_f32 v202, v202, v203
	v_exp_f32_e32 v196, v196
	v_cvt_i32_f32_e32 v203, v216
	v_cndmask_b32_e32 v202, 0, v202, vcc_lo
	v_cndmask_b32_e64 v202, 0x7f800000, v202, s13
	v_ldexp_f32 v196, v196, v203
	v_cvt_f16_f32_e32 v203, v98
	v_fmac_f32_e32 v153, v192, v202
	v_cndmask_b32_e64 v196, 0, v196, s24
	v_mul_u32_u24_sdwa v203, v203, v185 dst_sel:DWORD dst_unused:UNUSED_PAD src0_sel:WORD_0 src1_sel:DWORD
	v_cndmask_b32_e64 v196, 0x7f800000, v196, s25
	v_pk_mul_f16 v146, v146, v203
	v_pk_mul_f16 v147, v147, v203
	v_cvt_f16_f32_e32 v203, v201
	v_fmac_f32_e32 v154, v193, v196
	v_pk_fma_f16 v146, v94, v204, v146
	v_pk_fma_f16 v147, v95, v204, v147
	v_mul_u32_u24_sdwa v203, v203, v185 dst_sel:DWORD dst_unused:UNUSED_PAD src0_sel:WORD_0 src1_sel:DWORD
	v_pk_mul_f16 v144, v144, v203
	v_pk_mul_f16 v145, v145, v203
	v_cvt_f16_f32_e32 v203, v200
	v_pk_fma_f16 v144, v94, v102, v144
	v_pk_fma_f16 v102, v95, v102, v145
	v_mul_u32_u24_sdwa v203, v203, v185 dst_sel:DWORD dst_unused:UNUSED_PAD src0_sel:WORD_0 src1_sel:DWORD
	v_pk_fma_f16 v102, v97, v209, v102
	v_pk_mul_f16 v142, v142, v203
	v_pk_mul_f16 v143, v143, v203
	v_cvt_f16_f32_e32 v203, v199
	v_pk_fma_f16 v142, v94, v205, v142
	v_pk_fma_f16 v143, v95, v205, v143
	v_mul_u32_u24_sdwa v203, v203, v185 dst_sel:DWORD dst_unused:UNUSED_PAD src0_sel:WORD_0 src1_sel:DWORD
	v_pk_mul_f16 v140, v140, v203
	v_pk_mul_f16 v141, v141, v203
	v_cvt_f16_f32_e32 v203, v198
	v_pk_fma_f16 v140, v94, v103, v140
	v_pk_fma_f16 v103, v95, v103, v141
	v_mul_u32_u24_sdwa v203, v203, v185 dst_sel:DWORD dst_unused:UNUSED_PAD src0_sel:WORD_0 src1_sel:DWORD
	v_pk_fma_f16 v141, v97, v210, v143
	v_mul_u32_u24_sdwa v143, v88, v185 dst_sel:DWORD dst_unused:UNUSED_PAD src0_sel:WORD_0 src1_sel:DWORD
	v_pk_fma_f16 v140, v96, v99, v140
	v_pk_fma_f16 v99, v97, v99, v103
	v_pk_mul_f16 v138, v138, v203
	v_pk_mul_f16 v139, v139, v203
	v_cvt_f16_f32_e32 v203, v197
	v_mul_u32_u24_sdwa v88, v88, v185 dst_sel:DWORD dst_unused:UNUSED_PAD src0_sel:WORD_1 src1_sel:DWORD
	v_pk_fma_f16 v138, v94, v206, v138
	v_pk_fma_f16 v139, v95, v206, v139
	v_mul_u32_u24_sdwa v203, v203, v185 dst_sel:DWORD dst_unused:UNUSED_PAD src0_sel:WORD_0 src1_sel:DWORD
	v_pk_fma_f16 v103, v96, v211, v138
	v_pk_fma_f16 v138, v97, v211, v139
	v_pk_mul_f16 v136, v136, v203
	v_pk_mul_f16 v137, v137, v203
	v_cvt_f16_f32_e32 v203, v202
	v_mul_u32_u24_sdwa v139, v86, v185 dst_sel:DWORD dst_unused:UNUSED_PAD src0_sel:WORD_0 src1_sel:DWORD
	v_mul_u32_u24_sdwa v86, v86, v185 dst_sel:DWORD dst_unused:UNUSED_PAD src0_sel:WORD_1 src1_sel:DWORD
	v_pk_fma_f16 v136, v94, v104, v136
	v_pk_fma_f16 v104, v95, v104, v137
	v_mul_u32_u24_sdwa v203, v203, v185 dst_sel:DWORD dst_unused:UNUSED_PAD src0_sel:WORD_0 src1_sel:DWORD
	v_pk_fma_f16 v137, v96, v210, v142
	v_mul_u32_u24_sdwa v142, v87, v185 dst_sel:DWORD dst_unused:UNUSED_PAD src0_sel:WORD_0 src1_sel:DWORD
	v_pk_fma_f16 v136, v96, v100, v136
	v_pk_fma_f16 v100, v97, v100, v104
	v_pk_mul_f16 v134, v134, v203
	v_pk_mul_f16 v135, v135, v203
	v_cvt_f16_f32_e32 v203, v196
	v_mul_u32_u24_sdwa v87, v87, v185 dst_sel:DWORD dst_unused:UNUSED_PAD src0_sel:WORD_1 src1_sel:DWORD
	v_pk_fma_f16 v134, v94, v207, v134
	v_pk_fma_f16 v135, v95, v207, v135
	v_mul_u32_u24_sdwa v203, v203, v185 dst_sel:DWORD dst_unused:UNUSED_PAD src0_sel:WORD_0 src1_sel:DWORD
	v_pk_fma_f16 v104, v96, v212, v134
	v_pk_fma_f16 v134, v97, v212, v135
	v_pk_mul_f16 v133, v133, v203
	v_pk_mul_f16 v132, v132, v203
	v_mul_u32_u24_sdwa v135, v93, v185 dst_sel:DWORD dst_unused:UNUSED_PAD src0_sel:WORD_0 src1_sel:DWORD
	v_mul_u32_u24_sdwa v93, v93, v185 dst_sel:DWORD dst_unused:UNUSED_PAD src0_sel:WORD_1 src1_sel:DWORD
	v_pk_fma_f16 v94, v94, v105, v133
	v_pk_fma_f16 v95, v95, v105, v132
	;; [unrolled: 1-line block ×7, first 2 shown]
	v_mul_u32_u24_sdwa v96, v90, v185 dst_sel:DWORD dst_unused:UNUSED_PAD src0_sel:WORD_0 src1_sel:DWORD
	v_mul_u32_u24_sdwa v90, v90, v185 dst_sel:DWORD dst_unused:UNUSED_PAD src0_sel:WORD_1 src1_sel:DWORD
	v_mul_u32_u24_sdwa v97, v91, v185 dst_sel:DWORD dst_unused:UNUSED_PAD src0_sel:WORD_0 src1_sel:DWORD
	v_mul_u32_u24_sdwa v91, v91, v185 dst_sel:DWORD dst_unused:UNUSED_PAD src0_sel:WORD_1 src1_sel:DWORD
	v_mul_u32_u24_sdwa v101, v92, v185 dst_sel:DWORD dst_unused:UNUSED_PAD src0_sel:WORD_0 src1_sel:DWORD
	v_mul_u32_u24_sdwa v92, v92, v185 dst_sel:DWORD dst_unused:UNUSED_PAD src0_sel:WORD_1 src1_sel:DWORD
	v_mul_u32_u24_sdwa v144, v89, v185 dst_sel:DWORD dst_unused:UNUSED_PAD src0_sel:WORD_0 src1_sel:DWORD
	v_mul_u32_u24_sdwa v89, v89, v185 dst_sel:DWORD dst_unused:UNUSED_PAD src0_sel:WORD_1 src1_sel:DWORD
	v_pk_fma_f16 v105, v82, v96, v105
	v_pk_fma_f16 v96, v83, v96, v132
	v_pk_fma_f16 v132, v82, v90, v133
	v_pk_fma_f16 v90, v83, v90, v102
	v_pk_fma_f16 v102, v82, v97, v137
	v_pk_fma_f16 v97, v83, v97, v141
	v_pk_fma_f16 v133, v82, v91, v140
	v_pk_fma_f16 v91, v83, v91, v99
	v_pk_fma_f16 v99, v82, v101, v103
	v_pk_fma_f16 v101, v83, v101, v138
	v_pk_fma_f16 v103, v82, v92, v136
	v_pk_fma_f16 v92, v83, v92, v100
	v_pk_fma_f16 v100, v82, v135, v104
	v_pk_fma_f16 v104, v83, v135, v134
	v_pk_fma_f16 v82, v82, v93, v94
	v_pk_fma_f16 v83, v83, v93, v95
	v_pk_fma_f16 v93, v84, v139, v105
	v_pk_fma_f16 v94, v85, v139, v96
	v_pk_fma_f16 v95, v84, v86, v132
	v_pk_fma_f16 v86, v85, v86, v90
	v_pk_fma_f16 v90, v84, v142, v102
	v_pk_fma_f16 v96, v85, v142, v97
	v_pk_fma_f16 v97, v84, v87, v133
	v_pk_fma_f16 v87, v85, v87, v91
	v_pk_fma_f16 v91, v84, v143, v99
	v_pk_fma_f16 v99, v85, v143, v101
	v_pk_fma_f16 v101, v84, v88, v103
	v_pk_fma_f16 v88, v85, v88, v92
	v_pk_fma_f16 v92, v84, v144, v100
	v_pk_fma_f16 v100, v85, v144, v104
	v_pk_fma_f16 v82, v84, v89, v82
	v_pk_fma_f16 v83, v85, v89, v83
	v_mul_u32_u24_sdwa v84, v78, v185 dst_sel:DWORD dst_unused:UNUSED_PAD src0_sel:WORD_0 src1_sel:DWORD
	v_mul_u32_u24_sdwa v78, v78, v185 dst_sel:DWORD dst_unused:UNUSED_PAD src0_sel:WORD_1 src1_sel:DWORD
	v_mul_u32_u24_sdwa v85, v79, v185 dst_sel:DWORD dst_unused:UNUSED_PAD src0_sel:WORD_0 src1_sel:DWORD
	v_mul_u32_u24_sdwa v79, v79, v185 dst_sel:DWORD dst_unused:UNUSED_PAD src0_sel:WORD_1 src1_sel:DWORD
	v_mul_u32_u24_sdwa v89, v80, v185 dst_sel:DWORD dst_unused:UNUSED_PAD src0_sel:WORD_0 src1_sel:DWORD
	v_mul_u32_u24_sdwa v80, v80, v185 dst_sel:DWORD dst_unused:UNUSED_PAD src0_sel:WORD_1 src1_sel:DWORD
	v_mul_u32_u24_sdwa v102, v81, v185 dst_sel:DWORD dst_unused:UNUSED_PAD src0_sel:WORD_0 src1_sel:DWORD
	v_mul_u32_u24_sdwa v81, v81, v185 dst_sel:DWORD dst_unused:UNUSED_PAD src0_sel:WORD_1 src1_sel:DWORD
	v_mul_u32_u24_sdwa v103, v74, v185 dst_sel:DWORD dst_unused:UNUSED_PAD src0_sel:WORD_0 src1_sel:DWORD
	v_mul_u32_u24_sdwa v74, v74, v185 dst_sel:DWORD dst_unused:UNUSED_PAD src0_sel:WORD_1 src1_sel:DWORD
	v_mul_u32_u24_sdwa v104, v75, v185 dst_sel:DWORD dst_unused:UNUSED_PAD src0_sel:WORD_0 src1_sel:DWORD
	v_mul_u32_u24_sdwa v75, v75, v185 dst_sel:DWORD dst_unused:UNUSED_PAD src0_sel:WORD_1 src1_sel:DWORD
	v_mul_u32_u24_sdwa v105, v76, v185 dst_sel:DWORD dst_unused:UNUSED_PAD src0_sel:WORD_0 src1_sel:DWORD
	v_mul_u32_u24_sdwa v76, v76, v185 dst_sel:DWORD dst_unused:UNUSED_PAD src0_sel:WORD_1 src1_sel:DWORD
	v_mul_u32_u24_sdwa v132, v77, v185 dst_sel:DWORD dst_unused:UNUSED_PAD src0_sel:WORD_0 src1_sel:DWORD
	v_mul_u32_u24_sdwa v77, v77, v185 dst_sel:DWORD dst_unused:UNUSED_PAD src0_sel:WORD_1 src1_sel:DWORD
	v_pk_fma_f16 v93, v62, v84, v93
	v_pk_fma_f16 v84, v63, v84, v94
	v_pk_fma_f16 v94, v62, v78, v95
	v_pk_fma_f16 v78, v63, v78, v86
	v_pk_fma_f16 v86, v62, v85, v90
	v_pk_fma_f16 v85, v63, v85, v96
	v_pk_fma_f16 v90, v62, v79, v97
	v_pk_fma_f16 v79, v63, v79, v87
	v_pk_fma_f16 v87, v62, v89, v91
	v_pk_fma_f16 v89, v63, v89, v99
	v_pk_fma_f16 v91, v62, v80, v101
	v_pk_fma_f16 v80, v63, v80, v88
	v_pk_fma_f16 v88, v62, v102, v92
	v_pk_fma_f16 v92, v63, v102, v100
	v_pk_fma_f16 v62, v62, v81, v82
	v_pk_fma_f16 v63, v63, v81, v83
	v_pk_fma_f16 v81, v64, v103, v93
	v_pk_fma_f16 v82, v65, v103, v84
	v_pk_fma_f16 v83, v64, v74, v94
	v_pk_fma_f16 v74, v65, v74, v78
	v_pk_fma_f16 v78, v64, v104, v86
	v_pk_fma_f16 v84, v65, v104, v85
	v_pk_fma_f16 v85, v64, v75, v90
	v_pk_fma_f16 v75, v65, v75, v79
	v_pk_fma_f16 v79, v64, v105, v87
	v_pk_fma_f16 v86, v65, v105, v89
	v_pk_fma_f16 v87, v64, v76, v91
	v_pk_fma_f16 v76, v65, v76, v80
	v_pk_fma_f16 v80, v64, v132, v88
	v_pk_fma_f16 v88, v65, v132, v92
	v_pk_fma_f16 v62, v64, v77, v62
	v_pk_fma_f16 v63, v65, v77, v63
	v_mul_u32_u24_sdwa v64, v70, v185 dst_sel:DWORD dst_unused:UNUSED_PAD src0_sel:WORD_0 src1_sel:DWORD
	v_mul_u32_u24_sdwa v65, v70, v185 dst_sel:DWORD dst_unused:UNUSED_PAD src0_sel:WORD_1 src1_sel:DWORD
	v_mul_u32_u24_sdwa v70, v71, v185 dst_sel:DWORD dst_unused:UNUSED_PAD src0_sel:WORD_0 src1_sel:DWORD
	v_mul_u32_u24_sdwa v71, v71, v185 dst_sel:DWORD dst_unused:UNUSED_PAD src0_sel:WORD_1 src1_sel:DWORD
	v_mul_u32_u24_sdwa v77, v72, v185 dst_sel:DWORD dst_unused:UNUSED_PAD src0_sel:WORD_0 src1_sel:DWORD
	v_mul_u32_u24_sdwa v72, v72, v185 dst_sel:DWORD dst_unused:UNUSED_PAD src0_sel:WORD_1 src1_sel:DWORD
	v_mul_u32_u24_sdwa v89, v73, v185 dst_sel:DWORD dst_unused:UNUSED_PAD src0_sel:WORD_0 src1_sel:DWORD
	v_mul_u32_u24_sdwa v73, v73, v185 dst_sel:DWORD dst_unused:UNUSED_PAD src0_sel:WORD_1 src1_sel:DWORD
	;; [unrolled: 48-line block ×5, first 2 shown]
	v_mul_u32_u24_sdwa v54, v26, v185 dst_sel:DWORD dst_unused:UNUSED_PAD src0_sel:WORD_0 src1_sel:DWORD
	v_mul_u32_u24_sdwa v26, v26, v185 dst_sel:DWORD dst_unused:UNUSED_PAD src0_sel:WORD_1 src1_sel:DWORD
	v_mul_u32_u24_sdwa v55, v27, v185 dst_sel:DWORD dst_unused:UNUSED_PAD src0_sel:WORD_0 src1_sel:DWORD
	v_mul_u32_u24_sdwa v27, v27, v185 dst_sel:DWORD dst_unused:UNUSED_PAD src0_sel:WORD_1 src1_sel:DWORD
	;; [unrolled: 2-line block ×8, first 2 shown]
	v_pk_fma_f16 v18, v14, v36, v45
	v_pk_fma_f16 v19, v15, v36, v46
	v_pk_fma_f16 v20, v14, v30, v47
	v_pk_fma_f16 v21, v15, v30, v38
	v_pk_fma_f16 v30, v14, v37, v42
	v_pk_fma_f16 v36, v15, v37, v48
	v_pk_fma_f16 v37, v14, v31, v49
	v_pk_fma_f16 v31, v15, v31, v39
	v_pk_fma_f16 v38, v14, v41, v43
	v_pk_fma_f16 v39, v15, v41, v50
	v_pk_fma_f16 v41, v14, v32, v51
	v_pk_fma_f16 v32, v15, v32, v40
	v_pk_fma_f16 v40, v14, v53, v44
	v_pk_fma_f16 v42, v15, v53, v52
	v_pk_fma_f16 v14, v14, v33, v34
	v_pk_fma_f16 v15, v15, v33, v35
	v_mul_u32_u24_sdwa v58, v22, v185 dst_sel:DWORD dst_unused:UNUSED_PAD src0_sel:WORD_0 src1_sel:DWORD
	v_mul_u32_u24_sdwa v22, v22, v185 dst_sel:DWORD dst_unused:UNUSED_PAD src0_sel:WORD_1 src1_sel:DWORD
	v_mul_u32_u24_sdwa v59, v23, v185 dst_sel:DWORD dst_unused:UNUSED_PAD src0_sel:WORD_0 src1_sel:DWORD
	v_mul_u32_u24_sdwa v23, v23, v185 dst_sel:DWORD dst_unused:UNUSED_PAD src0_sel:WORD_1 src1_sel:DWORD
	;; [unrolled: 2-line block ×4, first 2 shown]
	v_pk_fma_f16 v18, v16, v54, v18
	v_pk_fma_f16 v19, v17, v54, v19
	;; [unrolled: 1-line block ×31, first 2 shown]
	ds_read_b128 v[14:17], v131 offset:256
	v_pk_fma_f16 v11, v11, v25, v29
	v_pk_fma_f16 v29, v12, v62, v18
	;; [unrolled: 1-line block ×9, first 2 shown]
	ds_read2_b64 v[18:21], v195 offset1:28
	v_pk_fma_f16 v37, v13, v62, v37
	v_pk_fma_f16 v38, v13, v63, v22
	;; [unrolled: 1-line block ×8, first 2 shown]
	ds_read_b128 v[10:13], v131 offset:272
	s_waitcnt lgkmcnt(2)
	v_mul_u32_u24_sdwa v42, v14, v185 dst_sel:DWORD dst_unused:UNUSED_PAD src0_sel:WORD_0 src1_sel:DWORD
	v_mul_u32_u24_sdwa v43, v14, v185 dst_sel:DWORD dst_unused:UNUSED_PAD src0_sel:WORD_1 src1_sel:DWORD
	v_mul_u32_u24_sdwa v44, v15, v185 dst_sel:DWORD dst_unused:UNUSED_PAD src0_sel:WORD_0 src1_sel:DWORD
	v_mul_u32_u24_sdwa v45, v15, v185 dst_sel:DWORD dst_unused:UNUSED_PAD src0_sel:WORD_1 src1_sel:DWORD
	;; [unrolled: 2-line block ×4, first 2 shown]
	ds_read_b128 v[14:17], v131 offset:288
	ds_read_b128 v[22:25], v131 offset:304
	s_waitcnt lgkmcnt(3)
	v_pk_fma_f16 v29, v18, v42, v29
	v_pk_fma_f16 v34, v18, v43, v34
	;; [unrolled: 1-line block ×16, first 2 shown]
	s_waitcnt lgkmcnt(2)
	v_mul_u32_u24_sdwa v40, v10, v185 dst_sel:DWORD dst_unused:UNUSED_PAD src0_sel:WORD_0 src1_sel:DWORD
	v_mul_u32_u24_sdwa v41, v10, v185 dst_sel:DWORD dst_unused:UNUSED_PAD src0_sel:WORD_1 src1_sel:DWORD
	v_mul_u32_u24_sdwa v42, v11, v185 dst_sel:DWORD dst_unused:UNUSED_PAD src0_sel:WORD_0 src1_sel:DWORD
	v_mul_u32_u24_sdwa v43, v11, v185 dst_sel:DWORD dst_unused:UNUSED_PAD src0_sel:WORD_1 src1_sel:DWORD
	;; [unrolled: 2-line block ×4, first 2 shown]
	ds_read2_b64 v[10:13], v195 offset0:56 offset1:84
	v_pk_fma_f16 v29, v20, v40, v29
	v_pk_fma_f16 v34, v20, v41, v34
	;; [unrolled: 1-line block ×16, first 2 shown]
	s_waitcnt lgkmcnt(2)
	v_mul_u32_u24_sdwa v21, v14, v185 dst_sel:DWORD dst_unused:UNUSED_PAD src0_sel:WORD_0 src1_sel:DWORD
	v_mul_u32_u24_sdwa v14, v14, v185 dst_sel:DWORD dst_unused:UNUSED_PAD src0_sel:WORD_1 src1_sel:DWORD
	v_mul_u32_u24_sdwa v39, v15, v185 dst_sel:DWORD dst_unused:UNUSED_PAD src0_sel:WORD_0 src1_sel:DWORD
	v_mul_u32_u24_sdwa v15, v15, v185 dst_sel:DWORD dst_unused:UNUSED_PAD src0_sel:WORD_1 src1_sel:DWORD
	;; [unrolled: 2-line block ×4, first 2 shown]
	s_waitcnt lgkmcnt(0)
	v_pk_fma_f16 v29, v10, v21, v29
	v_pk_fma_f16 v34, v10, v14, v34
	;; [unrolled: 1-line block ×16, first 2 shown]
	v_mul_u32_u24_sdwa v39, v22, v185 dst_sel:DWORD dst_unused:UNUSED_PAD src0_sel:WORD_0 src1_sel:DWORD
	v_mul_u32_u24_sdwa v22, v22, v185 dst_sel:DWORD dst_unused:UNUSED_PAD src0_sel:WORD_1 src1_sel:DWORD
	v_mul_u32_u24_sdwa v40, v23, v185 dst_sel:DWORD dst_unused:UNUSED_PAD src0_sel:WORD_0 src1_sel:DWORD
	v_mul_u32_u24_sdwa v23, v23, v185 dst_sel:DWORD dst_unused:UNUSED_PAD src0_sel:WORD_1 src1_sel:DWORD
	v_mul_u32_u24_sdwa v41, v24, v185 dst_sel:DWORD dst_unused:UNUSED_PAD src0_sel:WORD_0 src1_sel:DWORD
	v_mul_u32_u24_sdwa v24, v24, v185 dst_sel:DWORD dst_unused:UNUSED_PAD src0_sel:WORD_1 src1_sel:DWORD
	v_mul_u32_u24_sdwa v43, v25, v185 dst_sel:DWORD dst_unused:UNUSED_PAD src0_sel:WORD_0 src1_sel:DWORD
	ds_read_b128 v[14:17], v131 offset:320
	v_mul_u32_u24_sdwa v25, v25, v185 dst_sel:DWORD dst_unused:UNUSED_PAD src0_sel:WORD_1 src1_sel:DWORD
	v_pk_fma_f16 v29, v12, v39, v29
	v_pk_fma_f16 v34, v12, v22, v34
	v_pk_fma_f16 v26, v12, v40, v26
	v_pk_fma_f16 v33, v12, v23, v33
	v_pk_fma_f16 v31, v12, v41, v31
	v_pk_fma_f16 v35, v12, v24, v35
	ds_read2_b64 v[18:21], v195 offset0:112 offset1:140
	v_pk_fma_f16 v32, v12, v43, v32
	v_pk_fma_f16 v44, v12, v25, v10
	v_pk_fma_f16 v39, v13, v39, v42
	v_pk_fma_f16 v22, v13, v22, v36
	v_pk_fma_f16 v30, v13, v40, v30
	v_pk_fma_f16 v23, v13, v23, v37
	v_pk_fma_f16 v27, v13, v41, v27
	v_pk_fma_f16 v24, v13, v24, v38
	v_pk_fma_f16 v28, v13, v43, v28
	v_pk_fma_f16 v25, v13, v25, v11
	ds_read_b128 v[10:13], v131 offset:336
	s_waitcnt lgkmcnt(2)
	v_mul_u32_u24_sdwa v36, v14, v185 dst_sel:DWORD dst_unused:UNUSED_PAD src0_sel:WORD_0 src1_sel:DWORD
	v_mul_u32_u24_sdwa v14, v14, v185 dst_sel:DWORD dst_unused:UNUSED_PAD src0_sel:WORD_1 src1_sel:DWORD
	v_mul_u32_u24_sdwa v37, v15, v185 dst_sel:DWORD dst_unused:UNUSED_PAD src0_sel:WORD_0 src1_sel:DWORD
	v_mul_u32_u24_sdwa v15, v15, v185 dst_sel:DWORD dst_unused:UNUSED_PAD src0_sel:WORD_1 src1_sel:DWORD
	v_mul_u32_u24_sdwa v38, v16, v185 dst_sel:DWORD dst_unused:UNUSED_PAD src0_sel:WORD_0 src1_sel:DWORD
	v_mul_u32_u24_sdwa v16, v16, v185 dst_sel:DWORD dst_unused:UNUSED_PAD src0_sel:WORD_1 src1_sel:DWORD
	v_mul_u32_u24_sdwa v40, v17, v185 dst_sel:DWORD dst_unused:UNUSED_PAD src0_sel:WORD_0 src1_sel:DWORD
	v_mul_u32_u24_sdwa v17, v17, v185 dst_sel:DWORD dst_unused:UNUSED_PAD src0_sel:WORD_1 src1_sel:DWORD
	s_waitcnt lgkmcnt(1)
	v_pk_fma_f16 v29, v18, v36, v29
	v_pk_fma_f16 v34, v18, v14, v34
	v_pk_fma_f16 v26, v18, v37, v26
	v_pk_fma_f16 v33, v18, v15, v33
	v_pk_fma_f16 v31, v18, v38, v31
	v_pk_fma_f16 v35, v18, v16, v35
	v_pk_fma_f16 v32, v18, v40, v32
	v_pk_fma_f16 v18, v18, v17, v44
	v_pk_fma_f16 v36, v19, v36, v39
	v_pk_fma_f16 v22, v19, v14, v22
	v_pk_fma_f16 v30, v19, v37, v30
	v_pk_fma_f16 v23, v19, v15, v23
	v_pk_fma_f16 v27, v19, v38, v27
	v_pk_fma_f16 v24, v19, v16, v24
	v_pk_fma_f16 v28, v19, v40, v28
	v_pk_fma_f16 v19, v19, v17, v25
	s_waitcnt lgkmcnt(0)
	v_mul_u32_u24_sdwa v25, v10, v185 dst_sel:DWORD dst_unused:UNUSED_PAD src0_sel:WORD_0 src1_sel:DWORD
	v_mul_u32_u24_sdwa v37, v10, v185 dst_sel:DWORD dst_unused:UNUSED_PAD src0_sel:WORD_1 src1_sel:DWORD
	v_mul_u32_u24_sdwa v38, v11, v185 dst_sel:DWORD dst_unused:UNUSED_PAD src0_sel:WORD_0 src1_sel:DWORD
	v_mul_u32_u24_sdwa v39, v11, v185 dst_sel:DWORD dst_unused:UNUSED_PAD src0_sel:WORD_1 src1_sel:DWORD
	v_mul_u32_u24_sdwa v40, v12, v185 dst_sel:DWORD dst_unused:UNUSED_PAD src0_sel:WORD_0 src1_sel:DWORD
	v_mul_u32_u24_sdwa v41, v12, v185 dst_sel:DWORD dst_unused:UNUSED_PAD src0_sel:WORD_1 src1_sel:DWORD
	v_mul_u32_u24_sdwa v42, v13, v185 dst_sel:DWORD dst_unused:UNUSED_PAD src0_sel:WORD_0 src1_sel:DWORD
	ds_read_b128 v[14:17], v131 offset:352
	v_mul_u32_u24_sdwa v43, v13, v185 dst_sel:DWORD dst_unused:UNUSED_PAD src0_sel:WORD_1 src1_sel:DWORD
	v_pk_fma_f16 v29, v20, v25, v29
	v_pk_fma_f16 v34, v20, v37, v34
	v_pk_fma_f16 v26, v20, v38, v26
	v_pk_fma_f16 v33, v20, v39, v33
	v_pk_fma_f16 v31, v20, v40, v31
	v_pk_fma_f16 v35, v20, v41, v35
	ds_read2_b64 v[10:13], v195 offset0:168 offset1:196
	v_pk_fma_f16 v32, v20, v42, v32
	v_pk_fma_f16 v44, v20, v43, v18
	v_pk_fma_f16 v25, v21, v25, v36
	v_pk_fma_f16 v22, v21, v37, v22
	v_pk_fma_f16 v30, v21, v38, v30
	v_pk_fma_f16 v23, v21, v39, v23
	v_pk_fma_f16 v27, v21, v40, v27
	v_pk_fma_f16 v24, v21, v41, v24
	v_pk_fma_f16 v28, v21, v42, v28
	v_pk_fma_f16 v36, v21, v43, v19
	ds_read_b128 v[18:21], v131 offset:368
	s_waitcnt lgkmcnt(2)
	v_mul_u32_u24_sdwa v37, v14, v185 dst_sel:DWORD dst_unused:UNUSED_PAD src0_sel:WORD_0 src1_sel:DWORD
	v_mul_u32_u24_sdwa v14, v14, v185 dst_sel:DWORD dst_unused:UNUSED_PAD src0_sel:WORD_1 src1_sel:DWORD
	v_mul_u32_u24_sdwa v38, v15, v185 dst_sel:DWORD dst_unused:UNUSED_PAD src0_sel:WORD_0 src1_sel:DWORD
	v_mul_u32_u24_sdwa v15, v15, v185 dst_sel:DWORD dst_unused:UNUSED_PAD src0_sel:WORD_1 src1_sel:DWORD
	v_mul_u32_u24_sdwa v39, v16, v185 dst_sel:DWORD dst_unused:UNUSED_PAD src0_sel:WORD_0 src1_sel:DWORD
	v_mul_u32_u24_sdwa v16, v16, v185 dst_sel:DWORD dst_unused:UNUSED_PAD src0_sel:WORD_1 src1_sel:DWORD
	v_mul_u32_u24_sdwa v40, v17, v185 dst_sel:DWORD dst_unused:UNUSED_PAD src0_sel:WORD_0 src1_sel:DWORD
	v_mul_u32_u24_sdwa v17, v17, v185 dst_sel:DWORD dst_unused:UNUSED_PAD src0_sel:WORD_1 src1_sel:DWORD
	s_waitcnt lgkmcnt(1)
	v_pk_fma_f16 v29, v10, v37, v29
	v_pk_fma_f16 v34, v10, v14, v34
	v_pk_fma_f16 v26, v10, v38, v26
	v_pk_fma_f16 v33, v10, v15, v33
	v_pk_fma_f16 v31, v10, v39, v31
	v_pk_fma_f16 v35, v10, v16, v35
	v_pk_fma_f16 v32, v10, v40, v32
	v_pk_fma_f16 v10, v10, v17, v44
	v_pk_fma_f16 v25, v11, v37, v25
	v_pk_fma_f16 v22, v11, v14, v22
	v_pk_fma_f16 v30, v11, v38, v30
	v_pk_fma_f16 v23, v11, v15, v23
	v_pk_fma_f16 v27, v11, v39, v27
	v_pk_fma_f16 v24, v11, v16, v24
	v_pk_fma_f16 v28, v11, v40, v28
	v_pk_fma_f16 v11, v11, v17, v36
	s_waitcnt lgkmcnt(0)
	;; [unrolled: 54-line block ×5, first 2 shown]
	v_mul_u32_u24_sdwa v36, v10, v185 dst_sel:DWORD dst_unused:UNUSED_PAD src0_sel:WORD_0 src1_sel:DWORD
	v_mul_u32_u24_sdwa v37, v10, v185 dst_sel:DWORD dst_unused:UNUSED_PAD src0_sel:WORD_1 src1_sel:DWORD
	v_mul_u32_u24_sdwa v38, v11, v185 dst_sel:DWORD dst_unused:UNUSED_PAD src0_sel:WORD_0 src1_sel:DWORD
	v_mul_u32_u24_sdwa v39, v11, v185 dst_sel:DWORD dst_unused:UNUSED_PAD src0_sel:WORD_1 src1_sel:DWORD
	;; [unrolled: 2-line block ×3, first 2 shown]
	v_mul_u32_u24_sdwa v42, v13, v185 dst_sel:DWORD dst_unused:UNUSED_PAD src0_sel:WORD_0 src1_sel:DWORD
	ds_read_b128 v[14:17], v131 offset:480
	v_mul_u32_u24_sdwa v43, v13, v185 dst_sel:DWORD dst_unused:UNUSED_PAD src0_sel:WORD_1 src1_sel:DWORD
	v_pk_fma_f16 v29, v20, v36, v29
	v_pk_fma_f16 v34, v20, v37, v34
	;; [unrolled: 1-line block ×6, first 2 shown]
	ds_read2_b64 v[10:13], v194 offset0:136 offset1:164
	v_pk_fma_f16 v32, v20, v42, v32
	v_pk_fma_f16 v44, v20, v43, v18
	;; [unrolled: 1-line block ×10, first 2 shown]
	ds_read_b128 v[18:21], v131 offset:496
	s_waitcnt lgkmcnt(0)
	s_barrier
	buffer_gl0_inv
	s_load_dword s13, s[36:37], 0x4
	v_mul_u32_u24_sdwa v37, v14, v185 dst_sel:DWORD dst_unused:UNUSED_PAD src0_sel:WORD_0 src1_sel:DWORD
	v_mul_u32_u24_sdwa v14, v14, v185 dst_sel:DWORD dst_unused:UNUSED_PAD src0_sel:WORD_1 src1_sel:DWORD
	v_mul_u32_u24_sdwa v38, v15, v185 dst_sel:DWORD dst_unused:UNUSED_PAD src0_sel:WORD_0 src1_sel:DWORD
	v_mul_u32_u24_sdwa v15, v15, v185 dst_sel:DWORD dst_unused:UNUSED_PAD src0_sel:WORD_1 src1_sel:DWORD
	;; [unrolled: 2-line block ×4, first 2 shown]
	v_pk_fma_f16 v29, v10, v37, v29
	v_pk_fma_f16 v34, v10, v14, v34
	;; [unrolled: 1-line block ×16, first 2 shown]
	v_mul_u32_u24_sdwa v17, v18, v185 dst_sel:DWORD dst_unused:UNUSED_PAD src0_sel:WORD_0 src1_sel:DWORD
	v_mul_u32_u24_sdwa v18, v18, v185 dst_sel:DWORD dst_unused:UNUSED_PAD src0_sel:WORD_1 src1_sel:DWORD
	v_mul_u32_u24_sdwa v27, v19, v185 dst_sel:DWORD dst_unused:UNUSED_PAD src0_sel:WORD_0 src1_sel:DWORD
	v_mul_u32_u24_sdwa v19, v19, v185 dst_sel:DWORD dst_unused:UNUSED_PAD src0_sel:WORD_1 src1_sel:DWORD
	;; [unrolled: 2-line block ×4, first 2 shown]
	s_waitcnt lgkmcnt(0)
	s_lshl_b32 s13, s13, 5
	v_pk_fma_f16 v146, v12, v17, v29
	v_pk_fma_f16 v144, v12, v18, v34
	;; [unrolled: 1-line block ×16, first 2 shown]
	s_add_i32 s40, s13, s40
	s_cmp_lt_i32 s40, s41
	s_cbranch_scc0 .LBB52_67
; %bb.57:                               ;   in Loop: Header=BB52_24 Depth=1
	v_mov_b32_e32 v11, v2
	v_mov_b32_e32 v17, v3
	;; [unrolled: 1-line block ×16, first 2 shown]
	s_branch .LBB52_24
.LBB52_58:                              ;   in Loop: Header=BB52_24 Depth=1
	v_add_co_u32 v2, vcc_lo, s13, v107
	v_add_co_ci_u32_e64 v3, null, s14, v108, vcc_lo
	global_load_dwordx4 v[2:5], v[2:3], off offset:96
	s_waitcnt vmcnt(0)
	ds_write_b128 v167, v[2:5]
	s_or_b32 exec_lo, exec_lo, s15
	s_and_saveexec_b32 s15, s8
	s_cbranch_execz .LBB52_26
.LBB52_59:                              ;   in Loop: Header=BB52_24 Depth=1
	v_add_co_u32 v2, vcc_lo, s13, v109
	v_add_co_ci_u32_e64 v3, null, s14, v110, vcc_lo
	v_add_co_u32 v2, vcc_lo, v2, v182
	v_add_co_ci_u32_e64 v3, null, 0, v3, vcc_lo
	global_load_dwordx4 v[2:5], v[2:3], off offset:64
	s_waitcnt vmcnt(0)
	ds_write_b128 v168, v[2:5]
	s_or_b32 exec_lo, exec_lo, s15
	s_and_saveexec_b32 s15, s9
	s_cbranch_execnz .LBB52_27
	s_branch .LBB52_28
.LBB52_60:                              ;   in Loop: Header=BB52_24 Depth=1
	v_add_co_u32 v18, vcc_lo, s13, v107
	v_add_co_ci_u32_e64 v19, null, s14, v108, vcc_lo
	global_load_dwordx4 v[18:21], v[18:19], off offset:208
	s_waitcnt vmcnt(0)
	ds_write_b128 v167, v[18:21]
	s_or_b32 exec_lo, exec_lo, s15
	s_and_saveexec_b32 s15, s8
	s_cbranch_execz .LBB52_30
.LBB52_61:                              ;   in Loop: Header=BB52_24 Depth=1
	v_add_co_u32 v18, vcc_lo, s13, v109
	v_add_co_ci_u32_e64 v19, null, s14, v110, vcc_lo
	v_add_co_u32 v18, vcc_lo, v18, v182
	v_add_co_ci_u32_e64 v19, null, 0, v19, vcc_lo
	global_load_dwordx4 v[18:21], v[18:19], off offset:176
	s_waitcnt vmcnt(0)
	ds_write_b128 v168, v[18:21]
	s_or_b32 exec_lo, exec_lo, s15
	s_and_saveexec_b32 s15, s9
	s_cbranch_execnz .LBB52_31
	s_branch .LBB52_32
.LBB52_62:                              ;   in Loop: Header=BB52_24 Depth=1
	v_add_co_u32 v10, s28, s29, v113
	v_add_co_ci_u32_e64 v11, null, s61, v114, s28
	v_add_co_u32 v10, s28, v10, v182
	v_add_co_ci_u32_e64 v11, null, 0, v11, s28
	global_load_dwordx4 v[10:13], v[10:11], off offset:192
	s_waitcnt vmcnt(0)
	ds_write_b128 v178, v[10:13]
	s_or_b32 exec_lo, exec_lo, s62
	s_and_saveexec_b32 s62, s11
	s_cbranch_execz .LBB52_50
.LBB52_63:                              ;   in Loop: Header=BB52_24 Depth=1
	v_add_co_u32 v10, s28, s29, v115
	v_add_co_ci_u32_e64 v11, null, s61, v116, s28
	v_add_co_u32 v10, s28, v10, v183
	v_add_co_ci_u32_e64 v11, null, 0, v11, s28
	global_load_dwordx4 v[10:13], v[10:11], off offset:128
	s_waitcnt vmcnt(0)
	ds_write_b128 v179, v[10:13]
	s_or_b32 exec_lo, exec_lo, s62
	v_lshlrev_b32_e32 v204, 2, v149
	s_and_saveexec_b32 s62, s12
	s_cbranch_execnz .LBB52_51
	s_branch .LBB52_52
.LBB52_64:                              ;   in Loop: Header=BB52_24 Depth=1
	v_add_co_u32 v205, s28, s29, v113
	v_add_co_ci_u32_e64 v206, null, s61, v114, s28
	v_add_co_u32 v205, s28, v205, v182
	v_add_co_ci_u32_e64 v206, null, 0, v206, s28
	global_load_dwordx4 v[205:208], v[205:206], off offset:192
	s_waitcnt vmcnt(0)
	ds_write_b128 v178, v[205:208]
	s_or_b32 exec_lo, exec_lo, s62
	s_and_saveexec_b32 s62, s11
	s_cbranch_execz .LBB52_54
.LBB52_65:                              ;   in Loop: Header=BB52_24 Depth=1
	v_add_co_u32 v205, s28, s29, v115
	v_add_co_ci_u32_e64 v206, null, s61, v116, s28
	v_add_co_u32 v205, s28, v205, v183
	v_add_co_ci_u32_e64 v206, null, 0, v206, s28
	global_load_dwordx4 v[205:208], v[205:206], off offset:128
	s_waitcnt vmcnt(0)
	ds_write_b128 v179, v[205:208]
	s_or_b32 exec_lo, exec_lo, s62
	s_and_saveexec_b32 s62, s12
	s_cbranch_execnz .LBB52_55
	s_branch .LBB52_56
.LBB52_66:
	v_mov_b32_e32 v2, 0xfeffffff
	v_mov_b32_e32 v146, 0
	;; [unrolled: 1-line block ×32, first 2 shown]
.LBB52_67:
	s_cmp_gt_i32 s58, s40
	s_cbranch_scc1 .LBB52_70
; %bb.68:
	v_mbcnt_lo_u32_b32 v10, -1, 0
	v_mov_b32_e32 v117, 32
	v_xor_b32_e32 v169, 16, v10
	v_xor_b32_e32 v168, 8, v10
	;; [unrolled: 1-line block ×5, first 2 shown]
	s_cbranch_execz .LBB52_71
; %bb.69:
	v_mov_b32_e32 v130, v10
	s_branch .LBB52_136
.LBB52_70:
                                        ; implicit-def: $vgpr10
                                        ; implicit-def: $vgpr117
                                        ; implicit-def: $vgpr169
                                        ; implicit-def: $vgpr168
                                        ; implicit-def: $vgpr167
                                        ; implicit-def: $vgpr166
                                        ; implicit-def: $vgpr118
.LBB52_71:
	v_mul_lo_u32 v10, s46, v165
	s_mul_hi_i32 s9, s40, s46
	s_mul_i32 s8, s40, s46
	v_add_nc_u32_e32 v17, 0x3860, v161
	s_lshl_b64 s[10:11], s[8:9], 2
	v_cmp_gt_u32_e64 s9, 32, v165
	s_sub_i32 s18, s58, s40
	s_add_u32 s19, s47, s10
	v_ashrrev_i32_e32 v11, 31, v10
	s_mov_b64 s[12:13], src_private_base
	s_addc_u32 s20, s59, s11
	v_cmp_gt_i32_e32 vcc_lo, s18, v165
	v_lshlrev_b64 v[10:11], 2, v[10:11]
	s_and_saveexec_b32 s8, s9
	s_cbranch_execz .LBB52_73
; %bb.72:
	v_add_co_u32 v12, s7, s19, v10
	v_add_co_ci_u32_e64 v13, null, s20, v11, s7
	v_mov_b32_e32 v14, 0
	v_add_co_u32 v12, s7, 0x60, v12
	v_add_co_ci_u32_e64 v13, null, 0, v13, s7
	buffer_store_dword v14, off, s[0:3], 0
	buffer_store_dword v14, off, s[0:3], 0 offset:4
	buffer_store_dword v14, off, s[0:3], 0 offset:8
	;; [unrolled: 1-line block ×3, first 2 shown]
	v_cndmask_b32_e32 v12, 0, v12, vcc_lo
	v_cndmask_b32_e32 v13, s13, v13, vcc_lo
	flat_load_dwordx4 v[12:15], v[12:13]
	s_waitcnt vmcnt(0) lgkmcnt(0)
	ds_write_b128 v17, v[12:15]
.LBB52_73:
	s_or_b32 exec_lo, exec_lo, s8
	v_lshl_add_u32 v113, v1, 4, v164
	v_lshlrev_b32_e32 v114, 2, v151
	s_mov_b64 s[14:15], src_private_base
	v_mul_lo_u32 v12, s46, v113
	v_lshl_or_b32 v14, v113, 7, v114
	v_cmp_gt_u32_e64 s10, 32, v113
	v_cmp_gt_i32_e64 s7, s18, v113
	v_add_nc_u32_e32 v18, 0x3840, v14
	v_ashrrev_i32_e32 v13, 31, v12
	v_lshlrev_b64 v[12:13], 2, v[12:13]
	s_and_saveexec_b32 s11, s10
	s_cbranch_execz .LBB52_75
; %bb.74:
	v_add_co_u32 v14, s8, s19, v12
	v_add_co_ci_u32_e64 v15, null, s20, v13, s8
	v_mov_b32_e32 v16, 0
	v_add_co_u32 v14, s8, v14, v114
	v_add_co_ci_u32_e64 v15, null, 0, v15, s8
	buffer_store_dword v16, off, s[0:3], 0
	buffer_store_dword v16, off, s[0:3], 0 offset:4
	buffer_store_dword v16, off, s[0:3], 0 offset:8
	;; [unrolled: 1-line block ×3, first 2 shown]
	v_add_co_u32 v14, s8, v14, 64
	v_add_co_ci_u32_e64 v15, null, 0, v15, s8
	v_cndmask_b32_e64 v14, 0, v14, s7
	v_cndmask_b32_e64 v15, s15, v15, s7
	flat_load_dwordx4 v[19:22], v[14:15]
	s_waitcnt vmcnt(0) lgkmcnt(0)
	ds_write_b128 v18, v[19:22]
.LBB52_75:
	s_or_b32 exec_lo, exec_lo, s11
	v_add_nc_u32_e32 v115, v162, v126
	v_lshlrev_b32_e32 v116, 2, v163
	v_add_nc_u32_e32 v16, 0x3800, v161
	v_mov_b32_e32 v19, 0
	s_mov_b64 s[16:17], src_private_base
	v_mul_lo_u32 v14, s46, v115
	v_lshl_or_b32 v20, v115, 7, v116
	v_cmp_gt_u32_e64 s11, 32, v115
	v_cmp_gt_i32_e64 s8, s18, v115
	v_add_nc_u32_e32 v27, 0x3800, v20
	v_ashrrev_i32_e32 v15, 31, v14
	v_lshlrev_b64 v[14:15], 2, v[14:15]
	s_and_saveexec_b32 s14, s11
	s_cbranch_execz .LBB52_77
; %bb.76:
	v_add_co_u32 v20, s12, s19, v14
	v_add_co_ci_u32_e64 v21, null, s20, v15, s12
	buffer_store_dword v19, off, s[0:3], 0
	buffer_store_dword v19, off, s[0:3], 0 offset:4
	buffer_store_dword v19, off, s[0:3], 0 offset:8
	;; [unrolled: 1-line block ×3, first 2 shown]
	v_add_co_u32 v20, s12, v20, v116
	v_add_co_ci_u32_e64 v21, null, 0, v21, s12
	v_cndmask_b32_e64 v20, 0, v20, s8
	v_cndmask_b32_e64 v21, s17, v21, s8
	flat_load_dwordx4 v[20:23], v[20:21]
	s_waitcnt vmcnt(0) lgkmcnt(0)
	ds_write_b128 v27, v[20:23]
.LBB52_77:
	s_or_b32 exec_lo, exec_lo, s14
	s_waitcnt lgkmcnt(0)
	s_waitcnt_vscnt null, 0x0
	s_barrier
	buffer_gl0_inv
	ds_read_b128 v[28:31], v16
	ds_read_b128 v[32:35], v152
	ds_read_b128 v[36:39], v152 offset:224
	ds_read_b128 v[40:43], v152 offset:448
	;; [unrolled: 1-line block ×7, first 2 shown]
	v_mov_b32_e32 v26, 0
	v_mov_b32_e32 v25, 0
	;; [unrolled: 1-line block ×7, first 2 shown]
	s_waitcnt lgkmcnt(7)
	;;#ASMSTART
	v_dot2_f32_f16 v26, v28, v32, v26
	;;#ASMEND
	;;#ASMSTART
	v_dot2_f32_f16 v26, v29, v33, v26
	;;#ASMEND
	;;#ASMSTART
	v_dot2_f32_f16 v26, v30, v34, v26
	;;#ASMEND
	;;#ASMSTART
	v_dot2_f32_f16 v26, v31, v35, v26
	;;#ASMEND
	s_waitcnt lgkmcnt(6)
	;;#ASMSTART
	v_dot2_f32_f16 v25, v28, v36, v25
	;;#ASMEND
	;;#ASMSTART
	v_dot2_f32_f16 v25, v29, v37, v25
	;;#ASMEND
	;;#ASMSTART
	v_dot2_f32_f16 v25, v30, v38, v25
	;;#ASMEND
	;;#ASMSTART
	v_dot2_f32_f16 v25, v31, v39, v25
	;;#ASMEND
	;; [unrolled: 13-line block ×8, first 2 shown]
	ds_read_b128 v[28:31], v16 offset:16
	ds_read_b128 v[32:35], v152 offset:16
	;; [unrolled: 1-line block ×9, first 2 shown]
	s_waitcnt lgkmcnt(7)
	;;#ASMSTART
	v_dot2_f32_f16 v26, v28, v32, v26
	;;#ASMEND
	;;#ASMSTART
	v_dot2_f32_f16 v26, v29, v33, v26
	;;#ASMEND
	;;#ASMSTART
	v_dot2_f32_f16 v26, v30, v34, v26
	;;#ASMEND
	;;#ASMSTART
	v_dot2_f32_f16 v26, v31, v35, v26
	;;#ASMEND
	s_waitcnt lgkmcnt(6)
	;;#ASMSTART
	v_dot2_f32_f16 v25, v28, v36, v25
	;;#ASMEND
	;;#ASMSTART
	v_dot2_f32_f16 v25, v29, v37, v25
	;;#ASMEND
	;;#ASMSTART
	v_dot2_f32_f16 v25, v30, v38, v25
	;;#ASMEND
	;;#ASMSTART
	v_dot2_f32_f16 v25, v31, v39, v25
	;;#ASMEND
	;; [unrolled: 13-line block ×8, first 2 shown]
	ds_read_b128 v[28:31], v16 offset:32
	ds_read_b128 v[32:35], v152 offset:32
	;; [unrolled: 1-line block ×9, first 2 shown]
	s_waitcnt lgkmcnt(7)
	;;#ASMSTART
	v_dot2_f32_f16 v26, v28, v32, v26
	;;#ASMEND
	;;#ASMSTART
	v_dot2_f32_f16 v26, v29, v33, v26
	;;#ASMEND
	;;#ASMSTART
	v_dot2_f32_f16 v26, v30, v34, v26
	;;#ASMEND
	;;#ASMSTART
	v_dot2_f32_f16 v26, v31, v35, v26
	;;#ASMEND
	s_waitcnt lgkmcnt(6)
	;;#ASMSTART
	v_dot2_f32_f16 v25, v28, v36, v25
	;;#ASMEND
	;;#ASMSTART
	v_dot2_f32_f16 v25, v29, v37, v25
	;;#ASMEND
	;;#ASMSTART
	v_dot2_f32_f16 v25, v30, v38, v25
	;;#ASMEND
	;;#ASMSTART
	v_dot2_f32_f16 v25, v31, v39, v25
	;;#ASMEND
	;; [unrolled: 13-line block ×8, first 2 shown]
	ds_read_b128 v[28:31], v16 offset:48
	ds_read_b128 v[32:35], v152 offset:48
	;; [unrolled: 1-line block ×9, first 2 shown]
	s_waitcnt lgkmcnt(7)
	;;#ASMSTART
	v_dot2_f32_f16 v26, v28, v32, v26
	;;#ASMEND
	;;#ASMSTART
	v_dot2_f32_f16 v26, v29, v33, v26
	;;#ASMEND
	;;#ASMSTART
	v_dot2_f32_f16 v26, v30, v34, v26
	;;#ASMEND
	;;#ASMSTART
	v_dot2_f32_f16 v26, v31, v35, v26
	;;#ASMEND
	s_waitcnt lgkmcnt(6)
	;;#ASMSTART
	v_dot2_f32_f16 v25, v28, v36, v25
	;;#ASMEND
	;;#ASMSTART
	v_dot2_f32_f16 v25, v29, v37, v25
	;;#ASMEND
	;;#ASMSTART
	v_dot2_f32_f16 v25, v30, v38, v25
	;;#ASMEND
	;;#ASMSTART
	v_dot2_f32_f16 v25, v31, v39, v25
	;;#ASMEND
	;; [unrolled: 13-line block ×8, first 2 shown]
	ds_read_b128 v[28:31], v16 offset:64
	ds_read_b128 v[32:35], v152 offset:64
	;; [unrolled: 1-line block ×9, first 2 shown]
	s_waitcnt lgkmcnt(7)
	;;#ASMSTART
	v_dot2_f32_f16 v26, v28, v32, v26
	;;#ASMEND
	;;#ASMSTART
	v_dot2_f32_f16 v26, v29, v33, v26
	;;#ASMEND
	;;#ASMSTART
	v_dot2_f32_f16 v26, v30, v34, v26
	;;#ASMEND
	;;#ASMSTART
	v_dot2_f32_f16 v26, v31, v35, v26
	;;#ASMEND
	s_waitcnt lgkmcnt(6)
	;;#ASMSTART
	v_dot2_f32_f16 v25, v28, v36, v25
	;;#ASMEND
	;;#ASMSTART
	v_dot2_f32_f16 v25, v29, v37, v25
	;;#ASMEND
	;;#ASMSTART
	v_dot2_f32_f16 v25, v30, v38, v25
	;;#ASMEND
	;;#ASMSTART
	v_dot2_f32_f16 v25, v31, v39, v25
	;;#ASMEND
	;; [unrolled: 13-line block ×8, first 2 shown]
	ds_read_b128 v[28:31], v16 offset:80
	ds_read_b128 v[32:35], v152 offset:80
	;; [unrolled: 1-line block ×9, first 2 shown]
	s_waitcnt lgkmcnt(7)
	;;#ASMSTART
	v_dot2_f32_f16 v26, v28, v32, v26
	;;#ASMEND
	;;#ASMSTART
	v_dot2_f32_f16 v26, v29, v33, v26
	;;#ASMEND
	;;#ASMSTART
	v_dot2_f32_f16 v26, v30, v34, v26
	;;#ASMEND
	;;#ASMSTART
	v_dot2_f32_f16 v26, v31, v35, v26
	;;#ASMEND
	s_waitcnt lgkmcnt(6)
	;;#ASMSTART
	v_dot2_f32_f16 v25, v28, v36, v25
	;;#ASMEND
	;;#ASMSTART
	v_dot2_f32_f16 v25, v29, v37, v25
	;;#ASMEND
	;;#ASMSTART
	v_dot2_f32_f16 v25, v30, v38, v25
	;;#ASMEND
	;;#ASMSTART
	v_dot2_f32_f16 v25, v31, v39, v25
	;;#ASMEND
	;; [unrolled: 13-line block ×8, first 2 shown]
	ds_read_b128 v[28:31], v16 offset:96
	ds_read_b128 v[32:35], v152 offset:96
	;; [unrolled: 1-line block ×9, first 2 shown]
	s_waitcnt lgkmcnt(7)
	;;#ASMSTART
	v_dot2_f32_f16 v26, v28, v32, v26
	;;#ASMEND
	;;#ASMSTART
	v_dot2_f32_f16 v26, v29, v33, v26
	;;#ASMEND
	;;#ASMSTART
	v_dot2_f32_f16 v26, v30, v34, v26
	;;#ASMEND
	;;#ASMSTART
	v_dot2_f32_f16 v26, v31, v35, v26
	;;#ASMEND
	s_waitcnt lgkmcnt(6)
	;;#ASMSTART
	v_dot2_f32_f16 v25, v28, v36, v25
	;;#ASMEND
	;;#ASMSTART
	v_dot2_f32_f16 v25, v29, v37, v25
	;;#ASMEND
	;;#ASMSTART
	v_dot2_f32_f16 v25, v30, v38, v25
	;;#ASMEND
	;;#ASMSTART
	v_dot2_f32_f16 v25, v31, v39, v25
	;;#ASMEND
	;; [unrolled: 13-line block ×8, first 2 shown]
	s_barrier
	buffer_gl0_inv
	s_and_saveexec_b32 s12, s9
	s_cbranch_execnz .LBB52_84
; %bb.78:
	s_or_b32 exec_lo, exec_lo, s12
	s_and_saveexec_b32 s9, s10
	s_cbranch_execnz .LBB52_85
.LBB52_79:
	s_or_b32 exec_lo, exec_lo, s9
	s_and_saveexec_b32 s9, s11
	s_cbranch_execz .LBB52_81
.LBB52_80:
	v_add_co_u32 v10, vcc_lo, s19, v14
	v_add_co_ci_u32_e64 v11, null, s20, v15, vcc_lo
	v_mov_b32_e32 v12, 0
	v_add_co_u32 v10, vcc_lo, v10, v116
	v_add_co_ci_u32_e64 v11, null, 0, v11, vcc_lo
	buffer_store_dword v12, off, s[0:3], 0
	buffer_store_dword v12, off, s[0:3], 0 offset:4
	buffer_store_dword v12, off, s[0:3], 0 offset:8
	;; [unrolled: 1-line block ×3, first 2 shown]
	v_add_co_u32 v10, vcc_lo, 0x70, v10
	v_add_co_ci_u32_e64 v11, null, 0, v11, vcc_lo
	v_cndmask_b32_e64 v10, 0, v10, s8
	v_cndmask_b32_e64 v11, s17, v11, s8
	flat_load_dwordx4 v[10:13], v[10:11]
	s_waitcnt vmcnt(0) lgkmcnt(0)
	ds_write_b128 v27, v[10:13]
.LBB52_81:
	s_or_b32 exec_lo, exec_lo, s9
	s_waitcnt lgkmcnt(0)
	s_waitcnt_vscnt null, 0x0
	s_barrier
	buffer_gl0_inv
	ds_read_b128 v[10:13], v16
	ds_read_b128 v[27:30], v152 offset:112
	ds_read_b128 v[31:34], v152 offset:336
	;; [unrolled: 1-line block ×8, first 2 shown]
	s_cmp_lg_u64 s[56:57], 0
	v_cmp_gt_i32_e64 s9, s18, v0
	s_cselect_b32 s11, -1, 0
	v_add_nc_u32_e32 v18, s40, v0
	s_waitcnt lgkmcnt(7)
	;;#ASMSTART
	v_dot2_f32_f16 v26, v10, v27, v26
	;;#ASMEND
	;;#ASMSTART
	v_dot2_f32_f16 v26, v11, v28, v26
	;;#ASMEND
	;;#ASMSTART
	v_dot2_f32_f16 v26, v12, v29, v26
	;;#ASMEND
	;;#ASMSTART
	v_dot2_f32_f16 v26, v13, v30, v26
	;;#ASMEND
	s_waitcnt lgkmcnt(6)
	;;#ASMSTART
	v_dot2_f32_f16 v25, v10, v31, v25
	;;#ASMEND
	;;#ASMSTART
	v_dot2_f32_f16 v25, v11, v32, v25
	;;#ASMEND
	;;#ASMSTART
	v_dot2_f32_f16 v25, v12, v33, v25
	;;#ASMEND
	;;#ASMSTART
	v_dot2_f32_f16 v25, v13, v34, v25
	;;#ASMEND
	;; [unrolled: 13-line block ×8, first 2 shown]
	ds_read_b128 v[10:13], v16 offset:16
	ds_read_b128 v[27:30], v152 offset:128
	;; [unrolled: 1-line block ×9, first 2 shown]
	s_waitcnt lgkmcnt(7)
	;;#ASMSTART
	v_dot2_f32_f16 v26, v10, v27, v26
	;;#ASMEND
	;;#ASMSTART
	v_dot2_f32_f16 v26, v11, v28, v26
	;;#ASMEND
	;;#ASMSTART
	v_dot2_f32_f16 v26, v12, v29, v26
	;;#ASMEND
	;;#ASMSTART
	v_dot2_f32_f16 v26, v13, v30, v26
	;;#ASMEND
	s_waitcnt lgkmcnt(6)
	;;#ASMSTART
	v_dot2_f32_f16 v25, v10, v31, v25
	;;#ASMEND
	;;#ASMSTART
	v_dot2_f32_f16 v25, v11, v32, v25
	;;#ASMEND
	;;#ASMSTART
	v_dot2_f32_f16 v25, v12, v33, v25
	;;#ASMEND
	;;#ASMSTART
	v_dot2_f32_f16 v25, v13, v34, v25
	;;#ASMEND
	;; [unrolled: 13-line block ×8, first 2 shown]
	ds_read_b128 v[10:13], v16 offset:32
	ds_read_b128 v[27:30], v152 offset:144
	;; [unrolled: 1-line block ×9, first 2 shown]
	s_waitcnt lgkmcnt(7)
	;;#ASMSTART
	v_dot2_f32_f16 v26, v10, v27, v26
	;;#ASMEND
	;;#ASMSTART
	v_dot2_f32_f16 v26, v11, v28, v26
	;;#ASMEND
	;;#ASMSTART
	v_dot2_f32_f16 v26, v12, v29, v26
	;;#ASMEND
	;;#ASMSTART
	v_dot2_f32_f16 v26, v13, v30, v26
	;;#ASMEND
	s_waitcnt lgkmcnt(6)
	;;#ASMSTART
	v_dot2_f32_f16 v25, v10, v31, v25
	;;#ASMEND
	;;#ASMSTART
	v_dot2_f32_f16 v25, v11, v32, v25
	;;#ASMEND
	;;#ASMSTART
	v_dot2_f32_f16 v25, v12, v33, v25
	;;#ASMEND
	;;#ASMSTART
	v_dot2_f32_f16 v25, v13, v34, v25
	;;#ASMEND
	;; [unrolled: 13-line block ×8, first 2 shown]
	ds_read_b128 v[10:13], v16 offset:48
	ds_read_b128 v[27:30], v152 offset:160
	;; [unrolled: 1-line block ×9, first 2 shown]
	s_waitcnt lgkmcnt(7)
	;;#ASMSTART
	v_dot2_f32_f16 v26, v10, v27, v26
	;;#ASMEND
	;;#ASMSTART
	v_dot2_f32_f16 v26, v11, v28, v26
	;;#ASMEND
	;;#ASMSTART
	v_dot2_f32_f16 v26, v12, v29, v26
	;;#ASMEND
	;;#ASMSTART
	v_dot2_f32_f16 v26, v13, v30, v26
	;;#ASMEND
	s_waitcnt lgkmcnt(6)
	;;#ASMSTART
	v_dot2_f32_f16 v25, v10, v31, v25
	;;#ASMEND
	;;#ASMSTART
	v_dot2_f32_f16 v25, v11, v32, v25
	;;#ASMEND
	;;#ASMSTART
	v_dot2_f32_f16 v25, v12, v33, v25
	;;#ASMEND
	;;#ASMSTART
	v_dot2_f32_f16 v25, v13, v34, v25
	;;#ASMEND
	;; [unrolled: 13-line block ×8, first 2 shown]
	ds_read_b128 v[10:13], v16 offset:64
	ds_read_b128 v[27:30], v152 offset:176
	;; [unrolled: 1-line block ×9, first 2 shown]
	s_waitcnt lgkmcnt(7)
	;;#ASMSTART
	v_dot2_f32_f16 v26, v10, v27, v26
	;;#ASMEND
	;;#ASMSTART
	v_dot2_f32_f16 v26, v11, v28, v26
	;;#ASMEND
	;;#ASMSTART
	v_dot2_f32_f16 v26, v12, v29, v26
	;;#ASMEND
	;;#ASMSTART
	v_dot2_f32_f16 v26, v13, v30, v26
	;;#ASMEND
	s_waitcnt lgkmcnt(6)
	;;#ASMSTART
	v_dot2_f32_f16 v25, v10, v31, v25
	;;#ASMEND
	;;#ASMSTART
	v_dot2_f32_f16 v25, v11, v32, v25
	;;#ASMEND
	;;#ASMSTART
	v_dot2_f32_f16 v25, v12, v33, v25
	;;#ASMEND
	;;#ASMSTART
	v_dot2_f32_f16 v25, v13, v34, v25
	;;#ASMEND
	;; [unrolled: 13-line block ×8, first 2 shown]
	ds_read_b128 v[10:13], v16 offset:80
	ds_read_b128 v[27:30], v152 offset:192
	;; [unrolled: 1-line block ×9, first 2 shown]
	s_waitcnt lgkmcnt(7)
	;;#ASMSTART
	v_dot2_f32_f16 v26, v10, v27, v26
	;;#ASMEND
	;;#ASMSTART
	v_dot2_f32_f16 v26, v11, v28, v26
	;;#ASMEND
	;;#ASMSTART
	v_dot2_f32_f16 v26, v12, v29, v26
	;;#ASMEND
	;;#ASMSTART
	v_dot2_f32_f16 v26, v13, v30, v26
	;;#ASMEND
	s_waitcnt lgkmcnt(6)
	;;#ASMSTART
	v_dot2_f32_f16 v25, v10, v31, v25
	;;#ASMEND
	;;#ASMSTART
	v_dot2_f32_f16 v25, v11, v32, v25
	;;#ASMEND
	;;#ASMSTART
	v_dot2_f32_f16 v25, v12, v33, v25
	;;#ASMEND
	;;#ASMSTART
	v_dot2_f32_f16 v25, v13, v34, v25
	;;#ASMEND
	;; [unrolled: 13-line block ×8, first 2 shown]
	ds_read_b128 v[30:33], v16 offset:96
	ds_read_b128 v[34:37], v152 offset:208
	;; [unrolled: 1-line block ×9, first 2 shown]
	s_waitcnt lgkmcnt(7)
	;;#ASMSTART
	v_dot2_f32_f16 v26, v30, v34, v26
	;;#ASMEND
	;;#ASMSTART
	v_dot2_f32_f16 v26, v31, v35, v26
	;;#ASMEND
	;;#ASMSTART
	v_dot2_f32_f16 v26, v32, v36, v26
	;;#ASMEND
	;;#ASMSTART
	v_dot2_f32_f16 v26, v33, v37, v26
	;;#ASMEND
	s_waitcnt lgkmcnt(6)
	;;#ASMSTART
	v_dot2_f32_f16 v25, v30, v38, v25
	;;#ASMEND
	;;#ASMSTART
	v_dot2_f32_f16 v25, v31, v39, v25
	;;#ASMEND
	;;#ASMSTART
	v_dot2_f32_f16 v25, v32, v40, v25
	;;#ASMEND
	;;#ASMSTART
	v_dot2_f32_f16 v25, v33, v41, v25
	;;#ASMEND
	;; [unrolled: 13-line block ×5, first 2 shown]
	s_waitcnt lgkmcnt(2)
	;;#ASMSTART
	v_dot2_f32_f16 v24, v30, v54, v24
	;;#ASMEND
	;;#ASMSTART
	v_dot2_f32_f16 v24, v31, v55, v24
	;;#ASMEND
	;; [unrolled: 3-line block ×3, first 2 shown]
	v_mov_b32_e32 v17, v9
	;;#ASMSTART
	v_dot2_f32_f16 v24, v33, v57, v24
	;;#ASMEND
	s_waitcnt lgkmcnt(1)
	;;#ASMSTART
	v_dot2_f32_f16 v22, v30, v58, v22
	;;#ASMEND
	v_mov_b32_e32 v16, v8
	v_mov_b32_e32 v15, v7
	;; [unrolled: 1-line block ×7, first 2 shown]
	v_cndmask_b32_e64 v29, 0, 1, s11
	;;#ASMSTART
	v_dot2_f32_f16 v22, v31, v59, v22
	;;#ASMEND
	;;#ASMSTART
	v_dot2_f32_f16 v22, v32, v60, v22
	;;#ASMEND
	;; [unrolled: 3-line block ×3, first 2 shown]
	s_waitcnt lgkmcnt(0)
	;;#ASMSTART
	v_dot2_f32_f16 v19, v30, v62, v19
	;;#ASMEND
	;;#ASMSTART
	v_dot2_f32_f16 v19, v31, v63, v19
	;;#ASMEND
	;; [unrolled: 3-line block ×4, first 2 shown]
	s_and_saveexec_b32 s10, s9
	s_cbranch_execz .LBB52_88
; %bb.82:
	s_andn2_b32 vcc_lo, exec_lo, s11
	s_cbranch_vccnz .LBB52_86
; %bb.83:
	v_mul_hi_u32 v10, s52, v128
	v_add_nc_u32_e32 v10, v128, v10
	v_lshrrev_b32_e32 v10, s53, v10
	v_mul_lo_u32 v10, v10, s54
	v_sub_nc_u32_e32 v10, v128, v10
	v_mad_u64_u32 v[10:11], null, v10, s43, v[18:19]
	v_ashrrev_i32_e32 v11, 31, v10
	v_lshlrev_b64 v[10:11], 1, v[10:11]
	v_add_co_u32 v10, vcc_lo, s56, v10
	v_add_co_ci_u32_e64 v11, null, s57, v11, vcc_lo
	global_load_ushort v10, v[10:11], off
	s_waitcnt vmcnt(0)
	v_cvt_f32_f16_e32 v10, v10
	v_mul_f32_e32 v10, v148, v10
	s_branch .LBB52_87
.LBB52_84:
	v_add_co_u32 v10, s9, s19, v10
	v_add_co_ci_u32_e64 v11, null, s20, v11, s9
	v_mov_b32_e32 v28, 0
	v_add_co_u32 v10, s9, 0xd0, v10
	v_add_co_ci_u32_e64 v11, null, 0, v11, s9
	buffer_store_dword v28, off, s[0:3], 0
	buffer_store_dword v28, off, s[0:3], 0 offset:4
	buffer_store_dword v28, off, s[0:3], 0 offset:8
	;; [unrolled: 1-line block ×3, first 2 shown]
	v_cndmask_b32_e32 v10, 0, v10, vcc_lo
	v_cndmask_b32_e32 v11, s13, v11, vcc_lo
	flat_load_dwordx4 v[28:31], v[10:11]
	s_waitcnt vmcnt(0) lgkmcnt(0)
	ds_write_b128 v17, v[28:31]
	s_or_b32 exec_lo, exec_lo, s12
	s_and_saveexec_b32 s9, s10
	s_cbranch_execz .LBB52_79
.LBB52_85:
	v_add_co_u32 v10, vcc_lo, s19, v12
	v_add_co_ci_u32_e64 v11, null, s20, v13, vcc_lo
	v_mov_b32_e32 v12, 0
	v_add_co_u32 v10, vcc_lo, v10, v114
	v_add_co_ci_u32_e64 v11, null, 0, v11, vcc_lo
	buffer_store_dword v12, off, s[0:3], 0
	buffer_store_dword v12, off, s[0:3], 0 offset:4
	buffer_store_dword v12, off, s[0:3], 0 offset:8
	;; [unrolled: 1-line block ×3, first 2 shown]
	v_add_co_u32 v10, vcc_lo, 0xb0, v10
	v_add_co_ci_u32_e64 v11, null, 0, v11, vcc_lo
	v_cndmask_b32_e64 v10, 0, v10, s7
	v_cndmask_b32_e64 v11, s15, v11, s7
	flat_load_dwordx4 v[10:13], v[10:11]
	s_waitcnt vmcnt(0) lgkmcnt(0)
	ds_write_b128 v18, v[10:13]
	s_or_b32 exec_lo, exec_lo, s9
	s_and_saveexec_b32 s9, s11
	s_cbranch_execnz .LBB52_80
	s_branch .LBB52_81
.LBB52_86:
	v_mov_b32_e32 v10, 0
.LBB52_87:
	v_add_f32_e32 v26, v26, v10
	v_max_f32_e32 v27, v2, v2
	v_mov_b32_e32 v17, v9
	v_mov_b32_e32 v10, v2
	;; [unrolled: 1-line block ×3, first 2 shown]
	v_add_f32_e32 v28, 0x40051340, v26
	v_mov_b32_e32 v15, v7
	v_mov_b32_e32 v14, v6
	;; [unrolled: 1-line block ×5, first 2 shown]
	v_max_f32_e32 v10, v27, v28
.LBB52_88:
	s_or_b32 exec_lo, exec_lo, s10
	v_xor_b32_e32 v169, 16, v130
	v_xor_b32_e32 v168, 8, v130
	;; [unrolled: 1-line block ×5, first 2 shown]
	v_cmp_gt_i32_e32 vcc_lo, 32, v169
	v_mov_b32_e32 v117, 32
	v_cndmask_b32_e32 v27, v130, v169, vcc_lo
	v_cmp_gt_i32_e32 vcc_lo, 32, v168
	v_lshlrev_b32_e32 v30, 2, v27
	v_cndmask_b32_e32 v28, v130, v168, vcc_lo
	v_cmp_gt_i32_e32 vcc_lo, 32, v167
	ds_bpermute_b32 v27, v30, v10
	v_max_f32_e32 v10, v10, v10
	v_lshlrev_b32_e32 v31, 2, v28
	v_cndmask_b32_e32 v28, v130, v167, vcc_lo
	v_cmp_gt_i32_e32 vcc_lo, 32, v166
	v_lshlrev_b32_e32 v32, 2, v28
	v_cndmask_b32_e32 v28, v130, v166, vcc_lo
	v_cmp_gt_i32_e32 vcc_lo, 32, v118
	v_lshlrev_b32_e32 v28, 2, v28
	v_cndmask_b32_e32 v33, v130, v118, vcc_lo
	s_waitcnt lgkmcnt(0)
	v_max_f32_e32 v27, v27, v27
	v_max_f32_e32 v10, v10, v27
	ds_bpermute_b32 v27, v31, v10
	s_waitcnt lgkmcnt(0)
	v_max_f32_e32 v27, v27, v27
	v_max_f32_e32 v10, v10, v27
	ds_bpermute_b32 v27, v32, v10
	;; [unrolled: 4-line block ×3, first 2 shown]
	s_waitcnt lgkmcnt(0)
	v_max_f32_e32 v34, v27, v27
	v_lshlrev_b32_e32 v27, 2, v33
	v_max_f32_e32 v10, v10, v34
	ds_bpermute_b32 v33, v27, v10
	s_waitcnt lgkmcnt(0)
	v_max_f32_e32 v33, v33, v33
	v_max_f32_e32 v10, v10, v33
	s_and_saveexec_b32 s10, s9
	s_cbranch_execz .LBB52_93
; %bb.89:
	v_cmp_ne_u32_e32 vcc_lo, 1, v29
	s_cbranch_vccnz .LBB52_91
; %bb.90:
	v_or_b32_e32 v33, 1, v128
	v_mul_hi_u32 v34, s52, v33
	v_add_nc_u32_e32 v34, v33, v34
	v_lshrrev_b32_e32 v34, s53, v34
	v_mul_lo_u32 v34, v34, s54
	v_sub_nc_u32_e32 v33, v33, v34
	v_mad_u64_u32 v[33:34], null, v33, s43, v[18:19]
	v_ashrrev_i32_e32 v34, 31, v33
	v_lshlrev_b64 v[33:34], 1, v[33:34]
	v_add_co_u32 v33, vcc_lo, s56, v33
	v_add_co_ci_u32_e64 v34, null, s57, v34, vcc_lo
	global_load_ushort v33, v[33:34], off
	s_waitcnt vmcnt(0)
	v_cvt_f32_f16_e32 v33, v33
	v_mul_f32_e32 v33, v148, v33
	s_branch .LBB52_92
.LBB52_91:
	v_mov_b32_e32 v33, 0
.LBB52_92:
	v_add_f32_e32 v25, v25, v33
	v_max_f32_e32 v11, v11, v11
	v_add_f32_e32 v33, 0x40051340, v25
	v_max_f32_e32 v11, v11, v33
.LBB52_93:
	s_or_b32 exec_lo, exec_lo, s10
	ds_bpermute_b32 v33, v30, v11
	v_max_f32_e32 v11, v11, v11
	s_waitcnt lgkmcnt(0)
	v_max_f32_e32 v33, v33, v33
	v_max_f32_e32 v11, v11, v33
	ds_bpermute_b32 v33, v31, v11
	s_waitcnt lgkmcnt(0)
	v_max_f32_e32 v33, v33, v33
	v_max_f32_e32 v11, v11, v33
	ds_bpermute_b32 v33, v32, v11
	s_waitcnt lgkmcnt(0)
	v_max_f32_e32 v33, v33, v33
	v_max_f32_e32 v11, v11, v33
	ds_bpermute_b32 v33, v28, v11
	s_waitcnt lgkmcnt(0)
	v_max_f32_e32 v33, v33, v33
	v_max_f32_e32 v11, v11, v33
	ds_bpermute_b32 v33, v27, v11
	s_waitcnt lgkmcnt(0)
	v_max_f32_e32 v33, v33, v33
	v_max_f32_e32 v11, v11, v33
	s_and_saveexec_b32 s10, s9
	s_cbranch_execz .LBB52_98
; %bb.94:
	v_cmp_ne_u32_e32 vcc_lo, 1, v29
	s_cbranch_vccnz .LBB52_96
; %bb.95:
	v_or_b32_e32 v33, 2, v128
	v_mul_hi_u32 v34, s52, v33
	v_add_nc_u32_e32 v34, v33, v34
	v_lshrrev_b32_e32 v34, s53, v34
	v_mul_lo_u32 v34, v34, s54
	v_sub_nc_u32_e32 v33, v33, v34
	v_mad_u64_u32 v[33:34], null, v33, s43, v[18:19]
	v_ashrrev_i32_e32 v34, 31, v33
	v_lshlrev_b64 v[33:34], 1, v[33:34]
	v_add_co_u32 v33, vcc_lo, s56, v33
	v_add_co_ci_u32_e64 v34, null, s57, v34, vcc_lo
	global_load_ushort v33, v[33:34], off
	s_waitcnt vmcnt(0)
	v_cvt_f32_f16_e32 v33, v33
	v_mul_f32_e32 v33, v148, v33
	s_branch .LBB52_97
.LBB52_96:
	v_mov_b32_e32 v33, 0
.LBB52_97:
	v_add_f32_e32 v23, v23, v33
	v_max_f32_e32 v12, v12, v12
	v_add_f32_e32 v33, 0x40051340, v23
	v_max_f32_e32 v12, v12, v33
.LBB52_98:
	s_or_b32 exec_lo, exec_lo, s10
	ds_bpermute_b32 v33, v30, v12
	v_max_f32_e32 v12, v12, v12
	s_waitcnt lgkmcnt(0)
	v_max_f32_e32 v33, v33, v33
	v_max_f32_e32 v12, v12, v33
	ds_bpermute_b32 v33, v31, v12
	s_waitcnt lgkmcnt(0)
	v_max_f32_e32 v33, v33, v33
	v_max_f32_e32 v12, v12, v33
	ds_bpermute_b32 v33, v32, v12
	s_waitcnt lgkmcnt(0)
	v_max_f32_e32 v33, v33, v33
	v_max_f32_e32 v12, v12, v33
	ds_bpermute_b32 v33, v28, v12
	s_waitcnt lgkmcnt(0)
	v_max_f32_e32 v33, v33, v33
	;; [unrolled: 52-line block ×6, first 2 shown]
	v_max_f32_e32 v16, v16, v33
	ds_bpermute_b32 v33, v27, v16
	s_waitcnt lgkmcnt(0)
	v_max_f32_e32 v33, v33, v33
	v_max_f32_e32 v16, v16, v33
	s_and_saveexec_b32 s10, s9
	s_cbranch_execz .LBB52_123
; %bb.119:
	v_cmp_ne_u32_e32 vcc_lo, 1, v29
	s_cbranch_vccnz .LBB52_121
; %bb.120:
	v_or_b32_e32 v29, 7, v128
	v_mul_hi_u32 v33, s52, v29
	v_add_nc_u32_e32 v33, v29, v33
	v_lshrrev_b32_e32 v33, s53, v33
	v_mul_lo_u32 v33, v33, s54
	v_sub_nc_u32_e32 v29, v29, v33
	v_mad_u64_u32 v[33:34], null, v29, s43, v[18:19]
	v_ashrrev_i32_e32 v34, 31, v33
	v_lshlrev_b64 v[33:34], 1, v[33:34]
	v_add_co_u32 v33, vcc_lo, s56, v33
	v_add_co_ci_u32_e64 v34, null, s57, v34, vcc_lo
	global_load_ushort v18, v[33:34], off
	s_waitcnt vmcnt(0)
	v_cvt_f32_f16_e32 v18, v18
	v_mul_f32_e32 v18, v148, v18
	s_branch .LBB52_122
.LBB52_121:
	v_mov_b32_e32 v18, 0
.LBB52_122:
	v_add_f32_e32 v19, v19, v18
	v_max_f32_e32 v17, v17, v17
	v_add_f32_e32 v18, 0x40051340, v19
	v_max_f32_e32 v17, v17, v18
.LBB52_123:
	s_or_b32 exec_lo, exec_lo, s10
	ds_bpermute_b32 v18, v30, v17
	v_max_f32_e32 v17, v17, v17
	v_sub_f32_e32 v26, v26, v10
	v_sub_f32_e32 v25, v25, v11
	;; [unrolled: 1-line block ×6, first 2 shown]
	v_mul_f32_e32 v33, 0x3fb8aa3b, v25
	v_mul_f32_e32 v34, 0x3fb8aa3b, v29
	;; [unrolled: 1-line block ×4, first 2 shown]
	v_sub_f32_e32 v30, v22, v16
	v_fma_f32 v41, 0x3fb8aa3b, v25, -v33
	v_rndne_f32_e32 v42, v33
	v_fma_f32 v43, 0x3fb8aa3b, v29, -v34
	v_rndne_f32_e32 v44, v34
	v_fma_f32 v45, 0x3fb8aa3b, v21, -v35
	v_fmac_f32_e32 v41, 0x32a5705f, v25
	v_sub_f32_e32 v33, v33, v42
	s_waitcnt lgkmcnt(0)
	v_max_f32_e32 v18, v18, v18
	v_rndne_f32_e32 v46, v35
	v_fmac_f32_e32 v43, 0x32a5705f, v29
	v_sub_f32_e32 v34, v34, v44
	v_add_f32_e32 v33, v33, v41
	v_max_f32_e32 v17, v17, v18
	v_mul_f32_e32 v37, 0x3fb8aa3b, v24
	v_fma_f32 v47, 0x3fb8aa3b, v20, -v36
	v_rndne_f32_e32 v48, v36
	v_fmac_f32_e32 v45, 0x32a5705f, v21
	ds_bpermute_b32 v18, v31, v17
	v_sub_f32_e32 v35, v35, v46
	v_add_f32_e32 v34, v34, v43
	v_exp_f32_e32 v33, v33
	v_mul_f32_e32 v38, 0x3fb8aa3b, v30
	v_fma_f32 v49, 0x3fb8aa3b, v24, -v37
	v_rndne_f32_e32 v50, v37
	v_cvt_i32_f32_e32 v42, v42
	v_fmac_f32_e32 v47, 0x32a5705f, v20
	v_sub_f32_e32 v36, v36, v48
	v_add_f32_e32 v35, v35, v45
	v_exp_f32_e32 v34, v34
	v_cmp_ngt_f32_e64 s9, 0xc2ce8ed0, v26
	v_fma_f32 v51, 0x3fb8aa3b, v30, -v38
	v_rndne_f32_e32 v52, v38
	v_cvt_i32_f32_e32 v44, v44
	v_fmac_f32_e32 v49, 0x32a5705f, v24
	v_sub_f32_e32 v37, v37, v50
	v_add_f32_e32 v36, v36, v47
	v_exp_f32_e32 v35, v35
	s_waitcnt lgkmcnt(0)
	v_max_f32_e32 v18, v18, v18
	v_ldexp_f32 v33, v33, v42
	v_fmac_f32_e32 v51, 0x32a5705f, v30
	v_sub_f32_e32 v38, v38, v52
	v_add_f32_e32 v37, v37, v49
	v_max_f32_e32 v17, v17, v18
	v_exp_f32_e32 v36, v36
	v_ldexp_f32 v34, v34, v44
	v_add_f32_e32 v38, v38, v51
	v_exp_f32_e32 v37, v37
	ds_bpermute_b32 v18, v32, v17
	v_mul_f32_e32 v32, 0x3fb8aa3b, v26
	s_mov_b64 s[10:11], src_private_base
	v_exp_f32_e32 v38, v38
	v_cvt_i32_f32_e32 v41, v52
	v_cmp_nlt_f32_e64 s10, 0x42b17218, v25
	v_fma_f32 v39, 0x3fb8aa3b, v26, -v32
	v_rndne_f32_e32 v40, v32
	v_mul_u32_u24_e32 v23, 0xe0, v113
	v_mul_lo_u32 v22, s42, v113
	s_mul_hi_i32 s13, s40, s42
	v_fmac_f32_e32 v39, 0x32a5705f, v26
	v_sub_f32_e32 v32, v32, v40
	v_cvt_i32_f32_e32 v40, v40
	s_mul_i32 s12, s40, s42
	v_lshl_add_u32 v31, v0, 4, v131
	v_cmp_gt_u32_e32 vcc_lo, 16, v113
	v_add_f32_e32 v32, v32, v39
	v_cvt_i32_f32_e32 v39, v50
	s_lshl_b64 s[12:13], s[12:13], 2
	s_waitcnt lgkmcnt(0)
	v_max_f32_e32 v18, v18, v18
	v_exp_f32_e32 v32, v32
	s_barrier
	buffer_gl0_inv
	v_max_f32_e32 v17, v17, v18
	v_lshl_or_b32 v18, v151, 2, v23
	v_ashrrev_i32_e32 v23, 31, v22
	ds_bpermute_b32 v28, v28, v17
	v_add_nc_u32_e32 v179, 0x38c0, v18
	v_ldexp_f32 v32, v32, v40
	v_lshlrev_b64 v[109:110], 2, v[22:23]
	v_cndmask_b32_e64 v32, 0, v32, s9
	v_cmp_ngt_f32_e64 s9, 0xc2ce8ed0, v25
	v_cndmask_b32_e64 v33, 0, v33, s9
	v_cmp_ngt_f32_e64 s9, 0xc2ce8ed0, v29
	v_cndmask_b32_e64 v25, 0x7f800000, v33, s10
	v_cndmask_b32_e64 v34, 0, v34, s9
	s_waitcnt lgkmcnt(0)
	v_max_f32_e32 v28, v28, v28
	v_cmp_ngt_f32_e64 s9, 0xc2ce8ed0, v21
	v_cmp_nlt_f32_e64 s10, 0x42b17218, v29
	v_max_f32_e32 v17, v17, v28
	v_cvt_i32_f32_e32 v28, v46
	v_cvt_i32_f32_e32 v46, v48
	v_cndmask_b32_e64 v29, 0x7f800000, v34, s10
	v_cmp_nlt_f32_e64 s10, 0x42b17218, v21
	ds_bpermute_b32 v27, v27, v17
	s_waitcnt lgkmcnt(0)
	v_max_f32_e32 v27, v27, v27
	v_max_f32_e32 v17, v17, v27
	v_ldexp_f32 v27, v35, v28
	v_ldexp_f32 v28, v36, v46
	;; [unrolled: 1-line block ×4, first 2 shown]
	v_sub_f32_e32 v19, v19, v17
	v_cndmask_b32_e64 v27, 0, v27, s9
	v_cmp_ngt_f32_e64 s9, 0xc2ce8ed0, v20
	v_mul_f32_e32 v37, 0x3fb8aa3b, v19
	v_cndmask_b32_e64 v21, 0x7f800000, v27, s10
	v_cndmask_b32_e64 v28, 0, v28, s9
	v_cmp_ngt_f32_e64 s9, 0xc2ce8ed0, v24
	v_cmp_nlt_f32_e64 s10, 0x42b17218, v20
	v_fma_f32 v38, 0x3fb8aa3b, v19, -v37
	v_rndne_f32_e32 v39, v37
	v_cndmask_b32_e64 v35, 0, v35, s9
	v_cmp_ngt_f32_e64 s9, 0xc2ce8ed0, v30
	v_fmac_f32_e32 v38, 0x32a5705f, v19
	v_sub_f32_e32 v37, v37, v39
	v_cndmask_b32_e64 v20, 0x7f800000, v28, s10
	v_cmp_nlt_f32_e64 s10, 0x42b17218, v24
	v_cndmask_b32_e64 v36, 0, v36, s9
	v_cmp_nlt_f32_e64 s9, 0x42b17218, v26
	v_cvt_i32_f32_e32 v27, v39
	v_cndmask_b32_e64 v24, 0x7f800000, v35, s10
	v_cmp_nlt_f32_e64 s10, 0x42b17218, v30
	v_cndmask_b32_e64 v26, 0x7f800000, v32, s9
	v_add_f32_e32 v32, v37, v38
	v_cmp_gt_u32_e64 s9, s18, v0
	v_cndmask_b32_e64 v28, 0x7f800000, v36, s10
	v_cmp_ngt_f32_e64 s10, 0xc2ce8ed0, v19
	v_exp_f32_e32 v32, v32
	v_cndmask_b32_e64 v151, 0, v25, s9
	v_cndmask_b32_e64 v148, 0, v26, s9
	;; [unrolled: 1-line block ×7, first 2 shown]
	v_cvt_f16_f32_e32 v21, v148
	v_cvt_f16_f32_e32 v24, v151
	v_ldexp_f32 v27, v32, v27
	v_cvt_f16_f32_e32 v20, v163
	v_cvt_f16_f32_e32 v26, v161
	v_pack_b32_f16 v18, v21, v24
	v_cndmask_b32_e64 v25, 0, v27, s10
	v_cmp_nlt_f32_e64 s10, 0x42b17218, v19
	v_cvt_f16_f32_e32 v27, v164
	v_cndmask_b32_e64 v19, 0x7f800000, v25, s10
	v_cvt_f16_f32_e32 v25, v152
	s_add_u32 s10, s38, s12
	s_addc_u32 s16, s39, s13
	v_cndmask_b32_e64 v165, 0, v19, s9
	v_cvt_f16_f32_e32 v19, v162
	v_cvt_f16_f32_e32 v28, v165
	v_pack_b32_f16 v20, v19, v20
	v_pack_b32_f16 v19, v25, v26
	;; [unrolled: 1-line block ×3, first 2 shown]
	ds_write_b128 v31, v[18:21]
	s_and_saveexec_b32 s12, vcc_lo
	s_cbranch_execz .LBB52_125
; %bb.124:
	v_add_co_u32 v18, s9, s10, v109
	v_add_co_ci_u32_e64 v19, null, s16, v110, s9
	v_mov_b32_e32 v20, 0
	v_add_co_u32 v18, s9, v18, v114
	v_add_co_ci_u32_e64 v19, null, 0, v19, s9
	buffer_store_dword v20, off, s[0:3], 0
	buffer_store_dword v20, off, s[0:3], 0 offset:4
	buffer_store_dword v20, off, s[0:3], 0 offset:8
	;; [unrolled: 1-line block ×3, first 2 shown]
	v_add_co_u32 v18, s9, 0xc0, v18
	v_add_co_ci_u32_e64 v19, null, 0, v19, s9
	v_cndmask_b32_e64 v18, 0, v18, s7
	v_cndmask_b32_e64 v19, s11, v19, s7
	flat_load_dwordx4 v[18:21], v[18:19]
	s_waitcnt vmcnt(0) lgkmcnt(0)
	ds_write_b128 v179, v[18:21]
.LBB52_125:
	s_or_b32 exec_lo, exec_lo, s12
	v_mul_lo_u32 v18, s42, v115
	v_mul_u32_u24_e32 v20, 0xe0, v115
	v_cmp_gt_u32_e64 s9, 16, v115
	s_mov_b64 s[14:15], src_private_base
	v_add3_u32 v180, v20, v116, 0x3880
	v_ashrrev_i32_e32 v19, 31, v18
	v_lshlrev_b64 v[111:112], 2, v[18:19]
	s_and_saveexec_b32 s12, s9
	s_cbranch_execz .LBB52_127
; %bb.126:
	v_add_co_u32 v18, s7, s10, v111
	v_add_co_ci_u32_e64 v19, null, s16, v112, s7
	v_mov_b32_e32 v20, 0
	v_add_co_u32 v18, s7, v18, v116
	v_add_co_ci_u32_e64 v19, null, 0, v19, s7
	buffer_store_dword v20, off, s[0:3], 0
	buffer_store_dword v20, off, s[0:3], 0 offset:4
	buffer_store_dword v20, off, s[0:3], 0 offset:8
	;; [unrolled: 1-line block ×3, first 2 shown]
	v_add_co_u32 v18, s7, 0x80, v18
	v_add_co_ci_u32_e64 v19, null, 0, v19, s7
	v_cndmask_b32_e64 v18, 0, v18, s8
	v_cndmask_b32_e64 v19, s15, v19, s8
	flat_load_dwordx4 v[18:21], v[18:19]
	s_waitcnt vmcnt(0) lgkmcnt(0)
	ds_write_b128 v180, v[18:21]
.LBB52_127:
	s_or_b32 exec_lo, exec_lo, s12
	v_lshl_add_u32 v176, v1, 2, v150
	v_lshlrev_b32_e32 v178, 2, v149
	v_mov_b32_e32 v1, 0
	s_mov_b64 s[12:13], src_private_base
	v_mul_lo_u32 v18, s42, v176
	v_mul_u32_u24_e32 v20, 0xe0, v176
	v_cmp_gt_u32_e64 s7, 16, v176
	v_add3_u32 v177, v20, v178, 0x3800
	v_ashrrev_i32_e32 v19, 31, v18
	v_lshlrev_b64 v[107:108], 2, v[18:19]
	s_and_saveexec_b32 s12, s7
	s_cbranch_execz .LBB52_129
; %bb.128:
	v_add_co_u32 v18, s8, s10, v107
	v_add_co_ci_u32_e64 v19, null, s16, v108, s8
	buffer_store_dword v1, off, s[0:3], 0
	buffer_store_dword v1, off, s[0:3], 0 offset:4
	buffer_store_dword v1, off, s[0:3], 0 offset:8
	;; [unrolled: 1-line block ×3, first 2 shown]
	v_add_co_u32 v18, s8, v18, v178
	v_add_co_ci_u32_e64 v19, null, 0, v19, s8
	v_cmp_gt_i32_e64 s8, s18, v176
	v_cndmask_b32_e64 v19, s13, v19, s8
	v_cndmask_b32_e64 v18, 0, v18, s8
	flat_load_dwordx4 v[18:21], v[18:19]
	s_waitcnt vmcnt(0) lgkmcnt(0)
	ds_write_b128 v177, v[18:21]
.LBB52_129:
	s_or_b32 exec_lo, exec_lo, s12
	v_sub_f32_e32 v1, v2, v10
	v_sub_f32_e32 v2, v3, v11
	;; [unrolled: 1-line block ×5, first 2 shown]
	v_mul_f32_e32 v4, 0x3fb8aa3b, v1
	v_mul_f32_e32 v18, 0x3fb8aa3b, v2
	;; [unrolled: 1-line block ×3, first 2 shown]
	v_cmp_ngt_f32_e64 s8, 0xc2ce8ed0, v1
	v_mul_f32_e32 v26, 0x3fb8aa3b, v5
	v_fma_f32 v20, 0x3fb8aa3b, v1, -v4
	v_rndne_f32_e32 v21, v4
	v_fma_f32 v22, 0x3fb8aa3b, v2, -v18
	v_rndne_f32_e32 v23, v18
	v_fma_f32 v24, 0x3fb8aa3b, v3, -v19
	v_fmac_f32_e32 v20, 0x32a5705f, v1
	v_sub_f32_e32 v4, v4, v21
	v_fmac_f32_e32 v22, 0x32a5705f, v2
	v_sub_f32_e32 v18, v18, v23
	v_rndne_f32_e32 v25, v19
	v_cvt_i32_f32_e32 v21, v21
	v_add_f32_e32 v4, v4, v20
	v_fmac_f32_e32 v24, 0x32a5705f, v3
	v_add_f32_e32 v18, v18, v22
	v_sub_f32_e32 v19, v19, v25
	v_cvt_i32_f32_e32 v23, v23
	v_exp_f32_e32 v4, v4
	v_fma_f32 v20, 0x3fb8aa3b, v5, -v26
	v_exp_f32_e32 v18, v18
	v_add_f32_e32 v19, v19, v24
	v_rndne_f32_e32 v22, v26
	v_sub_f32_e32 v173, v7, v15
	v_fmac_f32_e32 v20, 0x32a5705f, v5
	v_sub_f32_e32 v174, v8, v16
	v_exp_f32_e32 v19, v19
	v_sub_f32_e32 v24, v26, v22
	v_ldexp_f32 v4, v4, v21
	v_cvt_i32_f32_e32 v21, v25
	v_ldexp_f32 v18, v18, v23
	v_mul_f32_e32 v26, 0x3fb8aa3b, v6
	v_add_f32_e32 v20, v24, v20
	v_cndmask_b32_e64 v4, 0, v4, s8
	v_cmp_ngt_f32_e64 s8, 0xc2ce8ed0, v2
	v_mul_f32_e32 v7, 0x3fb8aa3b, v173
	v_ldexp_f32 v19, v19, v21
	v_sub_f32_e32 v9, v9, v17
	s_waitcnt lgkmcnt(0)
	s_waitcnt_vscnt null, 0x0
	v_cndmask_b32_e64 v18, 0, v18, s8
	v_cmp_nlt_f32_e64 s8, 0x42b17218, v1
	v_rndne_f32_e32 v8, v7
	s_barrier
	buffer_gl0_inv
	v_cndmask_b32_e64 v149, 0x7f800000, v4, s8
	v_cmp_nlt_f32_e64 s8, 0x42b17218, v2
	v_exp_f32_e32 v2, v20
	v_rndne_f32_e32 v4, v26
	v_cvt_f16_f32_e32 v181, v149
	v_cndmask_b32_e64 v150, 0x7f800000, v18, s8
	v_cmp_ngt_f32_e64 s8, 0xc2ce8ed0, v3
	v_mul_f32_e32 v18, 0x3fb8aa3b, v174
	v_cvt_f16_f32_e32 v182, v150
	v_cndmask_b32_e64 v1, 0, v19, s8
	v_cmp_nlt_f32_e64 s8, 0x42b17218, v3
	v_fma_f32 v3, 0x3fb8aa3b, v6, -v26
	v_mul_f32_e32 v19, 0x3fb8aa3b, v9
	v_fma_f32 v20, 0x3fb8aa3b, v174, -v18
	v_rndne_f32_e32 v21, v18
	v_cndmask_b32_e64 v170, 0x7f800000, v1, s8
	v_cvt_i32_f32_e32 v1, v22
	v_fmac_f32_e32 v3, 0x32a5705f, v6
	v_cmp_ngt_f32_e64 s8, 0xc2ce8ed0, v5
	v_fma_f32 v22, 0x3fb8aa3b, v9, -v19
	v_rndne_f32_e32 v23, v19
	v_ldexp_f32 v1, v2, v1
	v_sub_f32_e32 v2, v26, v4
	v_fmac_f32_e32 v20, 0x32a5705f, v174
	v_fmac_f32_e32 v22, 0x32a5705f, v9
	v_cvt_f16_f32_e32 v183, v170
	v_cndmask_b32_e64 v1, 0, v1, s8
	v_add_f32_e32 v2, v2, v3
	v_fma_f32 v3, 0x3fb8aa3b, v173, -v7
	v_sub_f32_e32 v7, v7, v8
	v_cmp_nlt_f32_e64 s8, 0x42b17218, v5
	v_exp_f32_e32 v2, v2
	v_fmac_f32_e32 v3, 0x32a5705f, v173
	v_cndmask_b32_e64 v171, 0x7f800000, v1, s8
	v_cvt_i32_f32_e32 v1, v4
	v_cmp_ngt_f32_e64 s8, 0xc2ce8ed0, v6
	v_add_f32_e32 v3, v7, v3
	v_sub_f32_e32 v7, v18, v21
	v_sub_f32_e32 v18, v19, v23
	v_cvt_f16_f32_e32 v184, v171
	v_ldexp_f32 v1, v2, v1
	v_exp_f32_e32 v3, v3
	v_add_f32_e32 v4, v7, v20
	v_add_f32_e32 v5, v18, v22
	v_cvt_i32_f32_e32 v7, v21
	v_cndmask_b32_e64 v1, 0, v1, s8
	v_cmp_nlt_f32_e64 s8, 0x42b17218, v6
	v_exp_f32_e32 v2, v4
	v_cvt_i32_f32_e32 v4, v8
	v_exp_f32_e32 v5, v5
	v_cndmask_b32_e64 v172, 0x7f800000, v1, s8
	v_cmp_ngt_f32_e64 s8, 0xc2ce8ed0, v173
	v_ldexp_f32 v3, v3, v4
	v_cvt_i32_f32_e32 v4, v23
	v_ldexp_f32 v1, v2, v7
	v_cndmask_b32_e64 v175, 0, v3, s8
	v_cmp_ngt_f32_e64 s8, 0xc2ce8ed0, v174
	v_ldexp_f32 v2, v5, v4
	v_cndmask_b32_e64 v185, 0, v1, s8
	v_cmp_ngt_f32_e64 s8, 0xc2ce8ed0, v9
	v_add_nc_u32_e32 v1, 0x3800, v129
	ds_read2_b64 v[38:41], v1 offset1:28
	ds_read_b128 v[102:105], v131
	ds_read_b128 v[98:101], v131 offset:16
	ds_read_b128 v[94:97], v131 offset:32
	;; [unrolled: 1-line block ×3, first 2 shown]
	ds_read2_b64 v[34:37], v1 offset0:56 offset1:84
	ds_read2_b64 v[30:33], v1 offset0:112 offset1:140
	ds_read_b128 v[86:89], v131 offset:64
	ds_read_b128 v[78:81], v131 offset:80
	ds_read2_b64 v[26:29], v1 offset0:168 offset1:196
	v_cndmask_b32_e64 v186, 0, v2, s8
	v_add_nc_u32_e32 v2, 0x4000, v129
	ds_read_b128 v[82:85], v131 offset:96
	ds_read_b128 v[74:77], v131 offset:112
	ds_read2_b64 v[22:25], v1 offset0:224 offset1:252
	ds_read_b128 v[70:73], v131 offset:128
	ds_read_b128 v[66:69], v131 offset:144
	ds_read2_b64 v[18:21], v2 offset0:24 offset1:52
	ds_read_b128 v[62:65], v131 offset:160
	ds_read_b128 v[58:61], v131 offset:176
	ds_read2_b64 v[5:8], v2 offset0:80 offset1:108
	ds_read_b128 v[54:57], v131 offset:192
	ds_read_b128 v[50:53], v131 offset:208
	ds_read2_b64 v[1:4], v2 offset0:136 offset1:164
	ds_read_b128 v[46:49], v131 offset:224
	ds_read_b128 v[42:45], v131 offset:240
	v_cmp_nlt_f32_e64 s8, 0x42b17218, v173
	s_waitcnt lgkmcnt(0)
	s_barrier
	buffer_gl0_inv
	v_cndmask_b32_e64 v173, 0x7f800000, v175, s8
	v_cmp_nlt_f32_e64 s8, 0x42b17218, v174
	v_cndmask_b32_e64 v174, 0x7f800000, v185, s8
	v_cmp_nlt_f32_e64 s8, 0x42b17218, v9
	v_cvt_f16_f32_e32 v185, v172
	v_cvt_f16_f32_e32 v187, v174
	v_cndmask_b32_e64 v175, 0x7f800000, v186, s8
	s_or_b32 s8, s40, 16
	v_cvt_f16_f32_e32 v186, v173
	s_mul_hi_i32 s17, s8, s42
	s_mul_i32 s16, s8, s42
	v_cvt_f16_f32_e32 v188, v175
	s_lshl_b64 s[16:17], s[16:17], 2
	s_add_u32 s8, s38, s16
	s_addc_u32 s10, s39, s17
	s_add_i32 s18, s18, -16
	s_and_saveexec_b32 s12, vcc_lo
	s_cbranch_execz .LBB52_131
; %bb.130:
	v_add_co_u32 v9, vcc_lo, s8, v109
	v_add_co_ci_u32_e64 v109, null, s10, v110, vcc_lo
	v_add_co_u32 v9, vcc_lo, v9, v114
	v_add_co_ci_u32_e64 v109, null, 0, v109, vcc_lo
	;; [unrolled: 2-line block ×3, first 2 shown]
	v_cmp_gt_i32_e32 vcc_lo, s18, v113
	v_mov_b32_e32 v113, 0
	buffer_store_dword v113, off, s[0:3], 0
	buffer_store_dword v113, off, s[0:3], 0 offset:4
	buffer_store_dword v113, off, s[0:3], 0 offset:8
	;; [unrolled: 1-line block ×3, first 2 shown]
	v_cndmask_b32_e32 v110, s11, v109, vcc_lo
	v_cndmask_b32_e32 v109, 0, v9, vcc_lo
	flat_load_dwordx4 v[189:192], v[109:110]
	s_waitcnt vmcnt(0) lgkmcnt(0)
	ds_write_b128 v179, v[189:192]
.LBB52_131:
	s_or_b32 exec_lo, exec_lo, s12
	s_and_saveexec_b32 s11, s9
	s_cbranch_execz .LBB52_133
; %bb.132:
	v_add_co_u32 v9, vcc_lo, s8, v111
	v_add_co_ci_u32_e64 v109, null, s10, v112, vcc_lo
	v_mov_b32_e32 v111, 0
	v_add_co_u32 v9, vcc_lo, v9, v116
	v_add_co_ci_u32_e64 v109, null, 0, v109, vcc_lo
	buffer_store_dword v111, off, s[0:3], 0
	buffer_store_dword v111, off, s[0:3], 0 offset:4
	buffer_store_dword v111, off, s[0:3], 0 offset:8
	;; [unrolled: 1-line block ×3, first 2 shown]
	v_add_co_u32 v9, vcc_lo, 0x80, v9
	v_add_co_ci_u32_e64 v109, null, 0, v109, vcc_lo
	v_cmp_gt_i32_e32 vcc_lo, s18, v115
	v_cndmask_b32_e32 v110, s15, v109, vcc_lo
	v_cndmask_b32_e32 v109, 0, v9, vcc_lo
	flat_load_dwordx4 v[109:112], v[109:110]
	s_waitcnt vmcnt(0) lgkmcnt(0)
	ds_write_b128 v180, v[109:112]
.LBB52_133:
	s_or_b32 exec_lo, exec_lo, s11
	v_mov_b32_e32 v9, 0x10001
	v_mul_u32_u24_sdwa v242, v181, v9 dst_sel:DWORD dst_unused:UNUSED_PAD src0_sel:WORD_0 src1_sel:DWORD
	v_mul_u32_u24_sdwa v241, v182, v9 dst_sel:DWORD dst_unused:UNUSED_PAD src0_sel:WORD_0 src1_sel:DWORD
	;; [unrolled: 1-line block ×9, first 2 shown]
	v_mul_u32_u24_sdwa v228, v102, v9 dst_sel:DWORD dst_unused:UNUSED_PAD src0_sel:WORD_1 src1_sel:DWORD
	v_mul_u32_u24_sdwa v229, v103, v9 dst_sel:DWORD dst_unused:UNUSED_PAD src0_sel:WORD_0 src1_sel:DWORD
	v_mul_u32_u24_sdwa v230, v103, v9 dst_sel:DWORD dst_unused:UNUSED_PAD src0_sel:WORD_1 src1_sel:DWORD
	v_mul_u32_u24_sdwa v231, v104, v9 dst_sel:DWORD dst_unused:UNUSED_PAD src0_sel:WORD_0 src1_sel:DWORD
	v_mul_u32_u24_sdwa v232, v104, v9 dst_sel:DWORD dst_unused:UNUSED_PAD src0_sel:WORD_1 src1_sel:DWORD
	v_mul_u32_u24_sdwa v233, v105, v9 dst_sel:DWORD dst_unused:UNUSED_PAD src0_sel:WORD_0 src1_sel:DWORD
	v_mul_u32_u24_sdwa v234, v105, v9 dst_sel:DWORD dst_unused:UNUSED_PAD src0_sel:WORD_1 src1_sel:DWORD
	v_mul_u32_u24_sdwa v219, v98, v9 dst_sel:DWORD dst_unused:UNUSED_PAD src0_sel:WORD_0 src1_sel:DWORD
	v_mul_u32_u24_sdwa v220, v98, v9 dst_sel:DWORD dst_unused:UNUSED_PAD src0_sel:WORD_1 src1_sel:DWORD
	v_mul_u32_u24_sdwa v221, v99, v9 dst_sel:DWORD dst_unused:UNUSED_PAD src0_sel:WORD_0 src1_sel:DWORD
	v_mul_u32_u24_sdwa v222, v99, v9 dst_sel:DWORD dst_unused:UNUSED_PAD src0_sel:WORD_1 src1_sel:DWORD
	v_mul_u32_u24_sdwa v223, v100, v9 dst_sel:DWORD dst_unused:UNUSED_PAD src0_sel:WORD_0 src1_sel:DWORD
	v_mul_u32_u24_sdwa v224, v100, v9 dst_sel:DWORD dst_unused:UNUSED_PAD src0_sel:WORD_1 src1_sel:DWORD
	v_mul_u32_u24_sdwa v225, v101, v9 dst_sel:DWORD dst_unused:UNUSED_PAD src0_sel:WORD_0 src1_sel:DWORD
	v_mul_u32_u24_sdwa v226, v101, v9 dst_sel:DWORD dst_unused:UNUSED_PAD src0_sel:WORD_1 src1_sel:DWORD
	v_mul_u32_u24_sdwa v211, v94, v9 dst_sel:DWORD dst_unused:UNUSED_PAD src0_sel:WORD_0 src1_sel:DWORD
	v_mul_u32_u24_sdwa v212, v94, v9 dst_sel:DWORD dst_unused:UNUSED_PAD src0_sel:WORD_1 src1_sel:DWORD
	v_mul_u32_u24_sdwa v213, v95, v9 dst_sel:DWORD dst_unused:UNUSED_PAD src0_sel:WORD_0 src1_sel:DWORD
	v_mul_u32_u24_sdwa v214, v95, v9 dst_sel:DWORD dst_unused:UNUSED_PAD src0_sel:WORD_1 src1_sel:DWORD
	v_mul_u32_u24_sdwa v215, v96, v9 dst_sel:DWORD dst_unused:UNUSED_PAD src0_sel:WORD_0 src1_sel:DWORD
	v_mul_u32_u24_sdwa v216, v96, v9 dst_sel:DWORD dst_unused:UNUSED_PAD src0_sel:WORD_1 src1_sel:DWORD
	v_mul_u32_u24_sdwa v217, v97, v9 dst_sel:DWORD dst_unused:UNUSED_PAD src0_sel:WORD_0 src1_sel:DWORD
	v_mul_u32_u24_sdwa v218, v97, v9 dst_sel:DWORD dst_unused:UNUSED_PAD src0_sel:WORD_1 src1_sel:DWORD
	v_mul_u32_u24_sdwa v203, v90, v9 dst_sel:DWORD dst_unused:UNUSED_PAD src0_sel:WORD_0 src1_sel:DWORD
	v_mul_u32_u24_sdwa v204, v90, v9 dst_sel:DWORD dst_unused:UNUSED_PAD src0_sel:WORD_1 src1_sel:DWORD
	v_mul_u32_u24_sdwa v205, v91, v9 dst_sel:DWORD dst_unused:UNUSED_PAD src0_sel:WORD_0 src1_sel:DWORD
	v_mul_u32_u24_sdwa v206, v91, v9 dst_sel:DWORD dst_unused:UNUSED_PAD src0_sel:WORD_1 src1_sel:DWORD
	v_mul_u32_u24_sdwa v207, v92, v9 dst_sel:DWORD dst_unused:UNUSED_PAD src0_sel:WORD_0 src1_sel:DWORD
	v_mul_u32_u24_sdwa v208, v92, v9 dst_sel:DWORD dst_unused:UNUSED_PAD src0_sel:WORD_1 src1_sel:DWORD
	v_mul_u32_u24_sdwa v209, v93, v9 dst_sel:DWORD dst_unused:UNUSED_PAD src0_sel:WORD_0 src1_sel:DWORD
	v_mul_u32_u24_sdwa v210, v93, v9 dst_sel:DWORD dst_unused:UNUSED_PAD src0_sel:WORD_1 src1_sel:DWORD
	v_mul_u32_u24_sdwa v195, v86, v9 dst_sel:DWORD dst_unused:UNUSED_PAD src0_sel:WORD_0 src1_sel:DWORD
	v_mul_u32_u24_sdwa v196, v86, v9 dst_sel:DWORD dst_unused:UNUSED_PAD src0_sel:WORD_1 src1_sel:DWORD
	v_mul_u32_u24_sdwa v197, v87, v9 dst_sel:DWORD dst_unused:UNUSED_PAD src0_sel:WORD_0 src1_sel:DWORD
	v_mul_u32_u24_sdwa v198, v87, v9 dst_sel:DWORD dst_unused:UNUSED_PAD src0_sel:WORD_1 src1_sel:DWORD
	v_mul_u32_u24_sdwa v199, v88, v9 dst_sel:DWORD dst_unused:UNUSED_PAD src0_sel:WORD_0 src1_sel:DWORD
	v_mul_u32_u24_sdwa v200, v88, v9 dst_sel:DWORD dst_unused:UNUSED_PAD src0_sel:WORD_1 src1_sel:DWORD
	v_mul_u32_u24_sdwa v201, v89, v9 dst_sel:DWORD dst_unused:UNUSED_PAD src0_sel:WORD_0 src1_sel:DWORD
	v_mul_u32_u24_sdwa v202, v89, v9 dst_sel:DWORD dst_unused:UNUSED_PAD src0_sel:WORD_1 src1_sel:DWORD
	v_mul_u32_u24_sdwa v187, v78, v9 dst_sel:DWORD dst_unused:UNUSED_PAD src0_sel:WORD_0 src1_sel:DWORD
	v_mul_u32_u24_sdwa v188, v78, v9 dst_sel:DWORD dst_unused:UNUSED_PAD src0_sel:WORD_1 src1_sel:DWORD
	v_mul_u32_u24_sdwa v189, v79, v9 dst_sel:DWORD dst_unused:UNUSED_PAD src0_sel:WORD_0 src1_sel:DWORD
	v_mul_u32_u24_sdwa v190, v79, v9 dst_sel:DWORD dst_unused:UNUSED_PAD src0_sel:WORD_1 src1_sel:DWORD
	v_mul_u32_u24_sdwa v191, v80, v9 dst_sel:DWORD dst_unused:UNUSED_PAD src0_sel:WORD_0 src1_sel:DWORD
	v_mul_u32_u24_sdwa v192, v80, v9 dst_sel:DWORD dst_unused:UNUSED_PAD src0_sel:WORD_1 src1_sel:DWORD
	v_mul_u32_u24_sdwa v193, v81, v9 dst_sel:DWORD dst_unused:UNUSED_PAD src0_sel:WORD_0 src1_sel:DWORD
	v_mul_u32_u24_sdwa v194, v81, v9 dst_sel:DWORD dst_unused:UNUSED_PAD src0_sel:WORD_1 src1_sel:DWORD
	v_mul_u32_u24_sdwa v179, v82, v9 dst_sel:DWORD dst_unused:UNUSED_PAD src0_sel:WORD_0 src1_sel:DWORD
	v_mul_u32_u24_sdwa v180, v82, v9 dst_sel:DWORD dst_unused:UNUSED_PAD src0_sel:WORD_1 src1_sel:DWORD
	v_mul_u32_u24_sdwa v181, v83, v9 dst_sel:DWORD dst_unused:UNUSED_PAD src0_sel:WORD_0 src1_sel:DWORD
	v_mul_u32_u24_sdwa v182, v83, v9 dst_sel:DWORD dst_unused:UNUSED_PAD src0_sel:WORD_1 src1_sel:DWORD
	v_mul_u32_u24_sdwa v183, v84, v9 dst_sel:DWORD dst_unused:UNUSED_PAD src0_sel:WORD_0 src1_sel:DWORD
	v_mul_u32_u24_sdwa v184, v84, v9 dst_sel:DWORD dst_unused:UNUSED_PAD src0_sel:WORD_1 src1_sel:DWORD
	v_mul_u32_u24_sdwa v185, v85, v9 dst_sel:DWORD dst_unused:UNUSED_PAD src0_sel:WORD_0 src1_sel:DWORD
	v_mul_u32_u24_sdwa v186, v85, v9 dst_sel:DWORD dst_unused:UNUSED_PAD src0_sel:WORD_1 src1_sel:DWORD
	v_mul_u32_u24_sdwa v109, v74, v9 dst_sel:DWORD dst_unused:UNUSED_PAD src0_sel:WORD_0 src1_sel:DWORD
	v_mul_u32_u24_sdwa v110, v74, v9 dst_sel:DWORD dst_unused:UNUSED_PAD src0_sel:WORD_1 src1_sel:DWORD
	v_mul_u32_u24_sdwa v111, v75, v9 dst_sel:DWORD dst_unused:UNUSED_PAD src0_sel:WORD_0 src1_sel:DWORD
	v_mul_u32_u24_sdwa v112, v75, v9 dst_sel:DWORD dst_unused:UNUSED_PAD src0_sel:WORD_1 src1_sel:DWORD
	v_mul_u32_u24_sdwa v113, v76, v9 dst_sel:DWORD dst_unused:UNUSED_PAD src0_sel:WORD_0 src1_sel:DWORD
	v_mul_u32_u24_sdwa v114, v76, v9 dst_sel:DWORD dst_unused:UNUSED_PAD src0_sel:WORD_1 src1_sel:DWORD
	v_mul_u32_u24_sdwa v115, v77, v9 dst_sel:DWORD dst_unused:UNUSED_PAD src0_sel:WORD_0 src1_sel:DWORD
	v_mul_u32_u24_sdwa v116, v77, v9 dst_sel:DWORD dst_unused:UNUSED_PAD src0_sel:WORD_1 src1_sel:DWORD
	v_mul_u32_u24_sdwa v98, v70, v9 dst_sel:DWORD dst_unused:UNUSED_PAD src0_sel:WORD_0 src1_sel:DWORD
	v_mul_u32_u24_sdwa v99, v70, v9 dst_sel:DWORD dst_unused:UNUSED_PAD src0_sel:WORD_1 src1_sel:DWORD
	v_mul_u32_u24_sdwa v100, v71, v9 dst_sel:DWORD dst_unused:UNUSED_PAD src0_sel:WORD_0 src1_sel:DWORD
	v_mul_u32_u24_sdwa v101, v71, v9 dst_sel:DWORD dst_unused:UNUSED_PAD src0_sel:WORD_1 src1_sel:DWORD
	v_mul_u32_u24_sdwa v102, v72, v9 dst_sel:DWORD dst_unused:UNUSED_PAD src0_sel:WORD_0 src1_sel:DWORD
	v_mul_u32_u24_sdwa v103, v72, v9 dst_sel:DWORD dst_unused:UNUSED_PAD src0_sel:WORD_1 src1_sel:DWORD
	v_mul_u32_u24_sdwa v104, v73, v9 dst_sel:DWORD dst_unused:UNUSED_PAD src0_sel:WORD_0 src1_sel:DWORD
	v_mul_u32_u24_sdwa v105, v73, v9 dst_sel:DWORD dst_unused:UNUSED_PAD src0_sel:WORD_1 src1_sel:DWORD
	v_mul_u32_u24_sdwa v90, v66, v9 dst_sel:DWORD dst_unused:UNUSED_PAD src0_sel:WORD_0 src1_sel:DWORD
	v_mul_u32_u24_sdwa v91, v66, v9 dst_sel:DWORD dst_unused:UNUSED_PAD src0_sel:WORD_1 src1_sel:DWORD
	v_mul_u32_u24_sdwa v92, v67, v9 dst_sel:DWORD dst_unused:UNUSED_PAD src0_sel:WORD_0 src1_sel:DWORD
	v_mul_u32_u24_sdwa v93, v67, v9 dst_sel:DWORD dst_unused:UNUSED_PAD src0_sel:WORD_1 src1_sel:DWORD
	v_mul_u32_u24_sdwa v94, v68, v9 dst_sel:DWORD dst_unused:UNUSED_PAD src0_sel:WORD_0 src1_sel:DWORD
	v_mul_u32_u24_sdwa v95, v68, v9 dst_sel:DWORD dst_unused:UNUSED_PAD src0_sel:WORD_1 src1_sel:DWORD
	v_mul_u32_u24_sdwa v96, v69, v9 dst_sel:DWORD dst_unused:UNUSED_PAD src0_sel:WORD_0 src1_sel:DWORD
	v_mul_u32_u24_sdwa v97, v69, v9 dst_sel:DWORD dst_unused:UNUSED_PAD src0_sel:WORD_1 src1_sel:DWORD
	v_mul_u32_u24_sdwa v82, v62, v9 dst_sel:DWORD dst_unused:UNUSED_PAD src0_sel:WORD_0 src1_sel:DWORD
	v_mul_u32_u24_sdwa v83, v62, v9 dst_sel:DWORD dst_unused:UNUSED_PAD src0_sel:WORD_1 src1_sel:DWORD
	v_mul_u32_u24_sdwa v84, v63, v9 dst_sel:DWORD dst_unused:UNUSED_PAD src0_sel:WORD_0 src1_sel:DWORD
	v_mul_u32_u24_sdwa v85, v63, v9 dst_sel:DWORD dst_unused:UNUSED_PAD src0_sel:WORD_1 src1_sel:DWORD
	v_mul_u32_u24_sdwa v86, v64, v9 dst_sel:DWORD dst_unused:UNUSED_PAD src0_sel:WORD_0 src1_sel:DWORD
	v_mul_u32_u24_sdwa v87, v64, v9 dst_sel:DWORD dst_unused:UNUSED_PAD src0_sel:WORD_1 src1_sel:DWORD
	v_mul_u32_u24_sdwa v88, v65, v9 dst_sel:DWORD dst_unused:UNUSED_PAD src0_sel:WORD_0 src1_sel:DWORD
	v_mul_u32_u24_sdwa v89, v65, v9 dst_sel:DWORD dst_unused:UNUSED_PAD src0_sel:WORD_1 src1_sel:DWORD
	v_mul_u32_u24_sdwa v74, v58, v9 dst_sel:DWORD dst_unused:UNUSED_PAD src0_sel:WORD_0 src1_sel:DWORD
	v_mul_u32_u24_sdwa v75, v58, v9 dst_sel:DWORD dst_unused:UNUSED_PAD src0_sel:WORD_1 src1_sel:DWORD
	v_mul_u32_u24_sdwa v76, v59, v9 dst_sel:DWORD dst_unused:UNUSED_PAD src0_sel:WORD_0 src1_sel:DWORD
	v_mul_u32_u24_sdwa v77, v59, v9 dst_sel:DWORD dst_unused:UNUSED_PAD src0_sel:WORD_1 src1_sel:DWORD
	v_mul_u32_u24_sdwa v78, v60, v9 dst_sel:DWORD dst_unused:UNUSED_PAD src0_sel:WORD_0 src1_sel:DWORD
	v_mul_u32_u24_sdwa v79, v60, v9 dst_sel:DWORD dst_unused:UNUSED_PAD src0_sel:WORD_1 src1_sel:DWORD
	v_mul_u32_u24_sdwa v80, v61, v9 dst_sel:DWORD dst_unused:UNUSED_PAD src0_sel:WORD_0 src1_sel:DWORD
	v_mul_u32_u24_sdwa v81, v61, v9 dst_sel:DWORD dst_unused:UNUSED_PAD src0_sel:WORD_1 src1_sel:DWORD
	v_mul_u32_u24_sdwa v66, v54, v9 dst_sel:DWORD dst_unused:UNUSED_PAD src0_sel:WORD_0 src1_sel:DWORD
	v_mul_u32_u24_sdwa v67, v54, v9 dst_sel:DWORD dst_unused:UNUSED_PAD src0_sel:WORD_1 src1_sel:DWORD
	v_mul_u32_u24_sdwa v68, v55, v9 dst_sel:DWORD dst_unused:UNUSED_PAD src0_sel:WORD_0 src1_sel:DWORD
	v_mul_u32_u24_sdwa v69, v55, v9 dst_sel:DWORD dst_unused:UNUSED_PAD src0_sel:WORD_1 src1_sel:DWORD
	v_mul_u32_u24_sdwa v70, v56, v9 dst_sel:DWORD dst_unused:UNUSED_PAD src0_sel:WORD_0 src1_sel:DWORD
	v_mul_u32_u24_sdwa v71, v56, v9 dst_sel:DWORD dst_unused:UNUSED_PAD src0_sel:WORD_1 src1_sel:DWORD
	v_mul_u32_u24_sdwa v72, v57, v9 dst_sel:DWORD dst_unused:UNUSED_PAD src0_sel:WORD_0 src1_sel:DWORD
	v_mul_u32_u24_sdwa v73, v57, v9 dst_sel:DWORD dst_unused:UNUSED_PAD src0_sel:WORD_1 src1_sel:DWORD
	v_mul_u32_u24_sdwa v58, v50, v9 dst_sel:DWORD dst_unused:UNUSED_PAD src0_sel:WORD_0 src1_sel:DWORD
	v_mul_u32_u24_sdwa v59, v50, v9 dst_sel:DWORD dst_unused:UNUSED_PAD src0_sel:WORD_1 src1_sel:DWORD
	v_mul_u32_u24_sdwa v60, v51, v9 dst_sel:DWORD dst_unused:UNUSED_PAD src0_sel:WORD_0 src1_sel:DWORD
	v_mul_u32_u24_sdwa v61, v51, v9 dst_sel:DWORD dst_unused:UNUSED_PAD src0_sel:WORD_1 src1_sel:DWORD
	v_mul_u32_u24_sdwa v62, v52, v9 dst_sel:DWORD dst_unused:UNUSED_PAD src0_sel:WORD_0 src1_sel:DWORD
	v_mul_u32_u24_sdwa v63, v52, v9 dst_sel:DWORD dst_unused:UNUSED_PAD src0_sel:WORD_1 src1_sel:DWORD
	v_mul_u32_u24_sdwa v64, v53, v9 dst_sel:DWORD dst_unused:UNUSED_PAD src0_sel:WORD_0 src1_sel:DWORD
	v_mul_u32_u24_sdwa v65, v53, v9 dst_sel:DWORD dst_unused:UNUSED_PAD src0_sel:WORD_1 src1_sel:DWORD
	v_mul_u32_u24_sdwa v50, v46, v9 dst_sel:DWORD dst_unused:UNUSED_PAD src0_sel:WORD_0 src1_sel:DWORD
	v_mul_u32_u24_sdwa v51, v46, v9 dst_sel:DWORD dst_unused:UNUSED_PAD src0_sel:WORD_1 src1_sel:DWORD
	v_mul_u32_u24_sdwa v52, v47, v9 dst_sel:DWORD dst_unused:UNUSED_PAD src0_sel:WORD_0 src1_sel:DWORD
	v_mul_u32_u24_sdwa v53, v47, v9 dst_sel:DWORD dst_unused:UNUSED_PAD src0_sel:WORD_1 src1_sel:DWORD
	v_mul_u32_u24_sdwa v54, v48, v9 dst_sel:DWORD dst_unused:UNUSED_PAD src0_sel:WORD_0 src1_sel:DWORD
	v_mul_u32_u24_sdwa v55, v48, v9 dst_sel:DWORD dst_unused:UNUSED_PAD src0_sel:WORD_1 src1_sel:DWORD
	v_mul_u32_u24_sdwa v56, v49, v9 dst_sel:DWORD dst_unused:UNUSED_PAD src0_sel:WORD_0 src1_sel:DWORD
	v_mul_u32_u24_sdwa v57, v49, v9 dst_sel:DWORD dst_unused:UNUSED_PAD src0_sel:WORD_1 src1_sel:DWORD
	v_mul_u32_u24_sdwa v48, v42, v9 dst_sel:DWORD dst_unused:UNUSED_PAD src0_sel:WORD_0 src1_sel:DWORD
	v_mul_u32_u24_sdwa v49, v42, v9 dst_sel:DWORD dst_unused:UNUSED_PAD src0_sel:WORD_1 src1_sel:DWORD
	v_mul_u32_u24_sdwa v46, v43, v9 dst_sel:DWORD dst_unused:UNUSED_PAD src0_sel:WORD_0 src1_sel:DWORD
	v_mul_u32_u24_sdwa v47, v43, v9 dst_sel:DWORD dst_unused:UNUSED_PAD src0_sel:WORD_1 src1_sel:DWORD
	v_mul_u32_u24_sdwa v42, v44, v9 dst_sel:DWORD dst_unused:UNUSED_PAD src0_sel:WORD_0 src1_sel:DWORD
	v_mul_u32_u24_sdwa v43, v44, v9 dst_sel:DWORD dst_unused:UNUSED_PAD src0_sel:WORD_1 src1_sel:DWORD
	v_mul_u32_u24_sdwa v44, v45, v9 dst_sel:DWORD dst_unused:UNUSED_PAD src0_sel:WORD_0 src1_sel:DWORD
	v_mul_u32_u24_sdwa v45, v45, v9 dst_sel:DWORD dst_unused:UNUSED_PAD src0_sel:WORD_1 src1_sel:DWORD
	s_and_saveexec_b32 s9, s7
	s_cbranch_execz .LBB52_135
; %bb.134:
	v_add_co_u32 v107, vcc_lo, s8, v107
	v_add_co_ci_u32_e64 v108, null, s10, v108, vcc_lo
	v_add_co_u32 v107, vcc_lo, v107, v178
	v_add_co_ci_u32_e64 v108, null, 0, v108, vcc_lo
	v_cmp_gt_i32_e32 vcc_lo, s18, v176
	v_mov_b32_e32 v176, 0
	buffer_store_dword v176, off, s[0:3], 0
	buffer_store_dword v176, off, s[0:3], 0 offset:4
	buffer_store_dword v176, off, s[0:3], 0 offset:8
	;; [unrolled: 1-line block ×3, first 2 shown]
	v_cndmask_b32_e32 v108, s13, v108, vcc_lo
	v_cndmask_b32_e32 v107, 0, v107, vcc_lo
	flat_load_dwordx4 v[243:246], v[107:108]
	s_waitcnt vmcnt(0) lgkmcnt(0)
	ds_write_b128 v177, v[243:246]
.LBB52_135:
	s_or_b32 exec_lo, exec_lo, s9
	v_pk_mul_f16 v107, v146, v242
	v_pk_mul_f16 v108, v147, v242
	;; [unrolled: 1-line block ×16, first 2 shown]
	v_pk_fma_f16 v107, v38, v227, v107
	v_pk_fma_f16 v144, v38, v228, v144
	;; [unrolled: 1-line block ×244, first 2 shown]
	s_waitcnt lgkmcnt(0)
	s_waitcnt_vscnt null, 0x0
	s_barrier
	buffer_gl0_inv
	ds_read_b128 v[5:8], v131 offset:256
	v_pk_fma_f16 v40, v4, v46, v18
	v_add_nc_u32_e32 v46, 0x3800, v129
	v_pk_fma_f16 v31, v3, v49, v19
	v_pk_fma_f16 v33, v3, v47, v23
	v_pk_fma_f16 v34, v3, v42, v25
	v_pk_fma_f16 v35, v3, v43, v27
	v_pk_fma_f16 v36, v3, v44, v29
	v_pk_fma_f16 v37, v3, v45, v1
	v_pk_fma_f16 v41, v4, v47, v20
	v_pk_fma_f16 v42, v4, v42, v22
	v_pk_fma_f16 v43, v4, v43, v24
	v_pk_fma_f16 v44, v4, v44, v26
	v_pk_fma_f16 v45, v4, v45, v2
	ds_read2_b64 v[1:4], v46 offset1:28
	ds_read_b128 v[18:21], v131 offset:272
	ds_read_b128 v[22:25], v131 offset:288
	;; [unrolled: 1-line block ×3, first 2 shown]
	v_fmac_f32_e32 v148, v160, v149
	v_fmac_f32_e32 v151, v159, v150
	v_fmac_f32_e32 v152, v158, v170
	v_fmac_f32_e32 v161, v157, v171
	s_waitcnt lgkmcnt(4)
	v_mul_u32_u24_sdwa v47, v5, v9 dst_sel:DWORD dst_unused:UNUSED_PAD src0_sel:WORD_0 src1_sel:DWORD
	v_mul_u32_u24_sdwa v5, v5, v9 dst_sel:DWORD dst_unused:UNUSED_PAD src0_sel:WORD_1 src1_sel:DWORD
	v_mul_u32_u24_sdwa v48, v6, v9 dst_sel:DWORD dst_unused:UNUSED_PAD src0_sel:WORD_0 src1_sel:DWORD
	v_mul_u32_u24_sdwa v6, v6, v9 dst_sel:DWORD dst_unused:UNUSED_PAD src0_sel:WORD_1 src1_sel:DWORD
	;; [unrolled: 2-line block ×4, first 2 shown]
	v_fmac_f32_e32 v162, v156, v172
	v_fmac_f32_e32 v163, v155, v173
	;; [unrolled: 1-line block ×4, first 2 shown]
	v_mov_b32_e32 v157, v161
	v_mov_b32_e32 v156, v162
	s_waitcnt lgkmcnt(3)
	v_pk_fma_f16 v30, v1, v47, v30
	v_pk_fma_f16 v31, v1, v5, v31
	;; [unrolled: 1-line block ×16, first 2 shown]
	ds_read2_b64 v[5:8], v46 offset0:56 offset1:84
	s_waitcnt lgkmcnt(3)
	v_mul_u32_u24_sdwa v44, v18, v9 dst_sel:DWORD dst_unused:UNUSED_PAD src0_sel:WORD_0 src1_sel:DWORD
	v_mul_u32_u24_sdwa v18, v18, v9 dst_sel:DWORD dst_unused:UNUSED_PAD src0_sel:WORD_1 src1_sel:DWORD
	v_mul_u32_u24_sdwa v45, v19, v9 dst_sel:DWORD dst_unused:UNUSED_PAD src0_sel:WORD_0 src1_sel:DWORD
	v_mul_u32_u24_sdwa v19, v19, v9 dst_sel:DWORD dst_unused:UNUSED_PAD src0_sel:WORD_1 src1_sel:DWORD
	;; [unrolled: 2-line block ×4, first 2 shown]
	v_pk_fma_f16 v30, v3, v44, v30
	v_pk_fma_f16 v31, v3, v18, v31
	;; [unrolled: 1-line block ×16, first 2 shown]
	s_waitcnt lgkmcnt(2)
	v_mul_u32_u24_sdwa v4, v22, v9 dst_sel:DWORD dst_unused:UNUSED_PAD src0_sel:WORD_0 src1_sel:DWORD
	v_mul_u32_u24_sdwa v21, v22, v9 dst_sel:DWORD dst_unused:UNUSED_PAD src0_sel:WORD_1 src1_sel:DWORD
	v_mul_u32_u24_sdwa v22, v23, v9 dst_sel:DWORD dst_unused:UNUSED_PAD src0_sel:WORD_0 src1_sel:DWORD
	v_mul_u32_u24_sdwa v23, v23, v9 dst_sel:DWORD dst_unused:UNUSED_PAD src0_sel:WORD_1 src1_sel:DWORD
	;; [unrolled: 2-line block ×4, first 2 shown]
	s_waitcnt lgkmcnt(0)
	v_pk_fma_f16 v30, v5, v4, v30
	v_pk_fma_f16 v31, v5, v21, v31
	;; [unrolled: 1-line block ×16, first 2 shown]
	v_mul_u32_u24_sdwa v25, v26, v9 dst_sel:DWORD dst_unused:UNUSED_PAD src0_sel:WORD_0 src1_sel:DWORD
	v_mul_u32_u24_sdwa v26, v26, v9 dst_sel:DWORD dst_unused:UNUSED_PAD src0_sel:WORD_1 src1_sel:DWORD
	v_mul_u32_u24_sdwa v39, v27, v9 dst_sel:DWORD dst_unused:UNUSED_PAD src0_sel:WORD_0 src1_sel:DWORD
	v_mul_u32_u24_sdwa v27, v27, v9 dst_sel:DWORD dst_unused:UNUSED_PAD src0_sel:WORD_1 src1_sel:DWORD
	v_mul_u32_u24_sdwa v40, v28, v9 dst_sel:DWORD dst_unused:UNUSED_PAD src0_sel:WORD_0 src1_sel:DWORD
	v_mul_u32_u24_sdwa v28, v28, v9 dst_sel:DWORD dst_unused:UNUSED_PAD src0_sel:WORD_1 src1_sel:DWORD
	v_mul_u32_u24_sdwa v41, v29, v9 dst_sel:DWORD dst_unused:UNUSED_PAD src0_sel:WORD_0 src1_sel:DWORD
	ds_read_b128 v[1:4], v131 offset:320
	v_mul_u32_u24_sdwa v29, v29, v9 dst_sel:DWORD dst_unused:UNUSED_PAD src0_sel:WORD_1 src1_sel:DWORD
	v_pk_fma_f16 v30, v7, v25, v30
	v_pk_fma_f16 v31, v7, v26, v31
	v_pk_fma_f16 v32, v7, v39, v32
	v_pk_fma_f16 v33, v7, v27, v33
	v_pk_fma_f16 v34, v7, v40, v34
	v_pk_fma_f16 v35, v7, v28, v35
	ds_read2_b64 v[18:21], v46 offset0:112 offset1:140
	v_pk_fma_f16 v36, v7, v41, v36
	v_pk_fma_f16 v44, v7, v29, v5
	v_pk_fma_f16 v25, v8, v25, v42
	v_pk_fma_f16 v26, v8, v26, v43
	v_pk_fma_f16 v22, v8, v39, v22
	v_pk_fma_f16 v23, v8, v27, v23
	v_pk_fma_f16 v27, v8, v40, v37
	v_pk_fma_f16 v24, v8, v28, v24
	v_pk_fma_f16 v28, v8, v41, v38
	v_pk_fma_f16 v29, v8, v29, v6
	ds_read_b128 v[5:8], v131 offset:336
	s_waitcnt lgkmcnt(2)
	v_mul_u32_u24_sdwa v37, v1, v9 dst_sel:DWORD dst_unused:UNUSED_PAD src0_sel:WORD_0 src1_sel:DWORD
	v_mul_u32_u24_sdwa v1, v1, v9 dst_sel:DWORD dst_unused:UNUSED_PAD src0_sel:WORD_1 src1_sel:DWORD
	v_mul_u32_u24_sdwa v38, v2, v9 dst_sel:DWORD dst_unused:UNUSED_PAD src0_sel:WORD_0 src1_sel:DWORD
	v_mul_u32_u24_sdwa v2, v2, v9 dst_sel:DWORD dst_unused:UNUSED_PAD src0_sel:WORD_1 src1_sel:DWORD
	v_mul_u32_u24_sdwa v39, v3, v9 dst_sel:DWORD dst_unused:UNUSED_PAD src0_sel:WORD_0 src1_sel:DWORD
	v_mul_u32_u24_sdwa v3, v3, v9 dst_sel:DWORD dst_unused:UNUSED_PAD src0_sel:WORD_1 src1_sel:DWORD
	v_mul_u32_u24_sdwa v40, v4, v9 dst_sel:DWORD dst_unused:UNUSED_PAD src0_sel:WORD_0 src1_sel:DWORD
	v_mul_u32_u24_sdwa v4, v4, v9 dst_sel:DWORD dst_unused:UNUSED_PAD src0_sel:WORD_1 src1_sel:DWORD
	s_waitcnt lgkmcnt(1)
	v_pk_fma_f16 v30, v18, v37, v30
	v_pk_fma_f16 v31, v18, v1, v31
	v_pk_fma_f16 v32, v18, v38, v32
	v_pk_fma_f16 v33, v18, v2, v33
	v_pk_fma_f16 v34, v18, v39, v34
	v_pk_fma_f16 v35, v18, v3, v35
	v_pk_fma_f16 v36, v18, v40, v36
	v_pk_fma_f16 v18, v18, v4, v44
	v_pk_fma_f16 v25, v19, v37, v25
	v_pk_fma_f16 v26, v19, v1, v26
	v_pk_fma_f16 v22, v19, v38, v22
	v_pk_fma_f16 v23, v19, v2, v23
	v_pk_fma_f16 v27, v19, v39, v27
	v_pk_fma_f16 v24, v19, v3, v24
	v_pk_fma_f16 v28, v19, v40, v28
	v_pk_fma_f16 v19, v19, v4, v29
	s_waitcnt lgkmcnt(0)
	v_mul_u32_u24_sdwa v29, v5, v9 dst_sel:DWORD dst_unused:UNUSED_PAD src0_sel:WORD_0 src1_sel:DWORD
	v_mul_u32_u24_sdwa v37, v5, v9 dst_sel:DWORD dst_unused:UNUSED_PAD src0_sel:WORD_1 src1_sel:DWORD
	v_mul_u32_u24_sdwa v38, v6, v9 dst_sel:DWORD dst_unused:UNUSED_PAD src0_sel:WORD_0 src1_sel:DWORD
	v_mul_u32_u24_sdwa v39, v6, v9 dst_sel:DWORD dst_unused:UNUSED_PAD src0_sel:WORD_1 src1_sel:DWORD
	v_mul_u32_u24_sdwa v40, v7, v9 dst_sel:DWORD dst_unused:UNUSED_PAD src0_sel:WORD_0 src1_sel:DWORD
	v_mul_u32_u24_sdwa v41, v7, v9 dst_sel:DWORD dst_unused:UNUSED_PAD src0_sel:WORD_1 src1_sel:DWORD
	v_mul_u32_u24_sdwa v42, v8, v9 dst_sel:DWORD dst_unused:UNUSED_PAD src0_sel:WORD_0 src1_sel:DWORD
	ds_read_b128 v[1:4], v131 offset:352
	v_mul_u32_u24_sdwa v43, v8, v9 dst_sel:DWORD dst_unused:UNUSED_PAD src0_sel:WORD_1 src1_sel:DWORD
	v_pk_fma_f16 v30, v20, v29, v30
	v_pk_fma_f16 v31, v20, v37, v31
	v_pk_fma_f16 v32, v20, v38, v32
	v_pk_fma_f16 v33, v20, v39, v33
	v_pk_fma_f16 v34, v20, v40, v34
	v_pk_fma_f16 v35, v20, v41, v35
	ds_read2_b64 v[5:8], v46 offset0:168 offset1:196
	v_pk_fma_f16 v36, v20, v42, v36
	v_pk_fma_f16 v44, v20, v43, v18
	v_pk_fma_f16 v25, v21, v29, v25
	v_pk_fma_f16 v26, v21, v37, v26
	v_pk_fma_f16 v22, v21, v38, v22
	v_pk_fma_f16 v23, v21, v39, v23
	v_pk_fma_f16 v27, v21, v40, v27
	v_pk_fma_f16 v24, v21, v41, v24
	v_pk_fma_f16 v28, v21, v42, v28
	v_pk_fma_f16 v29, v21, v43, v19
	ds_read_b128 v[18:21], v131 offset:368
	s_waitcnt lgkmcnt(2)
	v_mul_u32_u24_sdwa v37, v1, v9 dst_sel:DWORD dst_unused:UNUSED_PAD src0_sel:WORD_0 src1_sel:DWORD
	v_mul_u32_u24_sdwa v1, v1, v9 dst_sel:DWORD dst_unused:UNUSED_PAD src0_sel:WORD_1 src1_sel:DWORD
	v_mul_u32_u24_sdwa v38, v2, v9 dst_sel:DWORD dst_unused:UNUSED_PAD src0_sel:WORD_0 src1_sel:DWORD
	v_mul_u32_u24_sdwa v2, v2, v9 dst_sel:DWORD dst_unused:UNUSED_PAD src0_sel:WORD_1 src1_sel:DWORD
	v_mul_u32_u24_sdwa v39, v3, v9 dst_sel:DWORD dst_unused:UNUSED_PAD src0_sel:WORD_0 src1_sel:DWORD
	v_mul_u32_u24_sdwa v3, v3, v9 dst_sel:DWORD dst_unused:UNUSED_PAD src0_sel:WORD_1 src1_sel:DWORD
	v_mul_u32_u24_sdwa v40, v4, v9 dst_sel:DWORD dst_unused:UNUSED_PAD src0_sel:WORD_0 src1_sel:DWORD
	v_mul_u32_u24_sdwa v4, v4, v9 dst_sel:DWORD dst_unused:UNUSED_PAD src0_sel:WORD_1 src1_sel:DWORD
	s_waitcnt lgkmcnt(1)
	v_pk_fma_f16 v30, v5, v37, v30
	v_pk_fma_f16 v31, v5, v1, v31
	v_pk_fma_f16 v32, v5, v38, v32
	v_pk_fma_f16 v33, v5, v2, v33
	v_pk_fma_f16 v34, v5, v39, v34
	v_pk_fma_f16 v35, v5, v3, v35
	v_pk_fma_f16 v36, v5, v40, v36
	v_pk_fma_f16 v5, v5, v4, v44
	v_pk_fma_f16 v25, v6, v37, v25
	v_pk_fma_f16 v26, v6, v1, v26
	v_pk_fma_f16 v22, v6, v38, v22
	v_pk_fma_f16 v23, v6, v2, v23
	v_pk_fma_f16 v27, v6, v39, v27
	v_pk_fma_f16 v24, v6, v3, v24
	v_pk_fma_f16 v28, v6, v40, v28
	v_pk_fma_f16 v6, v6, v4, v29
	s_waitcnt lgkmcnt(0)
	;; [unrolled: 54-line block ×3, first 2 shown]
	v_mul_u32_u24_sdwa v29, v5, v9 dst_sel:DWORD dst_unused:UNUSED_PAD src0_sel:WORD_0 src1_sel:DWORD
	v_mul_u32_u24_sdwa v37, v5, v9 dst_sel:DWORD dst_unused:UNUSED_PAD src0_sel:WORD_1 src1_sel:DWORD
	v_mul_u32_u24_sdwa v38, v6, v9 dst_sel:DWORD dst_unused:UNUSED_PAD src0_sel:WORD_0 src1_sel:DWORD
	v_mul_u32_u24_sdwa v39, v6, v9 dst_sel:DWORD dst_unused:UNUSED_PAD src0_sel:WORD_1 src1_sel:DWORD
	;; [unrolled: 2-line block ×4, first 2 shown]
	ds_read_b128 v[1:4], v131 offset:416
	v_add_nc_u32_e32 v44, 0x4000, v129
	v_pk_fma_f16 v30, v20, v29, v30
	v_pk_fma_f16 v31, v20, v37, v31
	;; [unrolled: 1-line block ×6, first 2 shown]
	ds_read2_b64 v[5:8], v44 offset0:24 offset1:52
	v_pk_fma_f16 v36, v20, v42, v36
	v_pk_fma_f16 v45, v20, v43, v18
	;; [unrolled: 1-line block ×10, first 2 shown]
	ds_read_b128 v[18:21], v131 offset:432
	s_waitcnt lgkmcnt(2)
	v_mul_u32_u24_sdwa v37, v1, v9 dst_sel:DWORD dst_unused:UNUSED_PAD src0_sel:WORD_0 src1_sel:DWORD
	v_mul_u32_u24_sdwa v1, v1, v9 dst_sel:DWORD dst_unused:UNUSED_PAD src0_sel:WORD_1 src1_sel:DWORD
	v_mul_u32_u24_sdwa v38, v2, v9 dst_sel:DWORD dst_unused:UNUSED_PAD src0_sel:WORD_0 src1_sel:DWORD
	v_mul_u32_u24_sdwa v2, v2, v9 dst_sel:DWORD dst_unused:UNUSED_PAD src0_sel:WORD_1 src1_sel:DWORD
	;; [unrolled: 2-line block ×4, first 2 shown]
	s_waitcnt lgkmcnt(1)
	v_pk_fma_f16 v30, v5, v37, v30
	v_pk_fma_f16 v31, v5, v1, v31
	;; [unrolled: 1-line block ×16, first 2 shown]
	s_waitcnt lgkmcnt(0)
	v_mul_u32_u24_sdwa v29, v18, v9 dst_sel:DWORD dst_unused:UNUSED_PAD src0_sel:WORD_0 src1_sel:DWORD
	v_mul_u32_u24_sdwa v37, v18, v9 dst_sel:DWORD dst_unused:UNUSED_PAD src0_sel:WORD_1 src1_sel:DWORD
	v_mul_u32_u24_sdwa v38, v19, v9 dst_sel:DWORD dst_unused:UNUSED_PAD src0_sel:WORD_0 src1_sel:DWORD
	v_mul_u32_u24_sdwa v39, v19, v9 dst_sel:DWORD dst_unused:UNUSED_PAD src0_sel:WORD_1 src1_sel:DWORD
	v_mul_u32_u24_sdwa v40, v20, v9 dst_sel:DWORD dst_unused:UNUSED_PAD src0_sel:WORD_0 src1_sel:DWORD
	v_mul_u32_u24_sdwa v41, v20, v9 dst_sel:DWORD dst_unused:UNUSED_PAD src0_sel:WORD_1 src1_sel:DWORD
	v_mul_u32_u24_sdwa v42, v21, v9 dst_sel:DWORD dst_unused:UNUSED_PAD src0_sel:WORD_0 src1_sel:DWORD
	ds_read_b128 v[1:4], v131 offset:448
	v_mul_u32_u24_sdwa v43, v21, v9 dst_sel:DWORD dst_unused:UNUSED_PAD src0_sel:WORD_1 src1_sel:DWORD
	v_pk_fma_f16 v30, v7, v29, v30
	v_pk_fma_f16 v31, v7, v37, v31
	;; [unrolled: 1-line block ×6, first 2 shown]
	ds_read2_b64 v[18:21], v44 offset0:80 offset1:108
	v_pk_fma_f16 v36, v7, v42, v36
	v_pk_fma_f16 v45, v7, v43, v5
	v_pk_fma_f16 v25, v8, v29, v25
	v_pk_fma_f16 v26, v8, v37, v26
	v_pk_fma_f16 v22, v8, v38, v22
	v_pk_fma_f16 v23, v8, v39, v23
	v_pk_fma_f16 v27, v8, v40, v27
	v_pk_fma_f16 v24, v8, v41, v24
	v_pk_fma_f16 v28, v8, v42, v28
	v_pk_fma_f16 v29, v8, v43, v6
	ds_read_b128 v[5:8], v131 offset:464
	s_waitcnt lgkmcnt(2)
	v_mul_u32_u24_sdwa v37, v1, v9 dst_sel:DWORD dst_unused:UNUSED_PAD src0_sel:WORD_0 src1_sel:DWORD
	v_mul_u32_u24_sdwa v1, v1, v9 dst_sel:DWORD dst_unused:UNUSED_PAD src0_sel:WORD_1 src1_sel:DWORD
	v_mul_u32_u24_sdwa v38, v2, v9 dst_sel:DWORD dst_unused:UNUSED_PAD src0_sel:WORD_0 src1_sel:DWORD
	v_mul_u32_u24_sdwa v2, v2, v9 dst_sel:DWORD dst_unused:UNUSED_PAD src0_sel:WORD_1 src1_sel:DWORD
	;; [unrolled: 2-line block ×4, first 2 shown]
	s_waitcnt lgkmcnt(1)
	v_pk_fma_f16 v30, v18, v37, v30
	v_pk_fma_f16 v31, v18, v1, v31
	;; [unrolled: 1-line block ×16, first 2 shown]
	s_waitcnt lgkmcnt(0)
	v_mul_u32_u24_sdwa v29, v5, v9 dst_sel:DWORD dst_unused:UNUSED_PAD src0_sel:WORD_0 src1_sel:DWORD
	v_mul_u32_u24_sdwa v37, v5, v9 dst_sel:DWORD dst_unused:UNUSED_PAD src0_sel:WORD_1 src1_sel:DWORD
	v_mul_u32_u24_sdwa v38, v6, v9 dst_sel:DWORD dst_unused:UNUSED_PAD src0_sel:WORD_0 src1_sel:DWORD
	v_mul_u32_u24_sdwa v39, v6, v9 dst_sel:DWORD dst_unused:UNUSED_PAD src0_sel:WORD_1 src1_sel:DWORD
	;; [unrolled: 2-line block ×3, first 2 shown]
	v_mul_u32_u24_sdwa v42, v8, v9 dst_sel:DWORD dst_unused:UNUSED_PAD src0_sel:WORD_0 src1_sel:DWORD
	ds_read_b128 v[1:4], v131 offset:480
	v_mul_u32_u24_sdwa v43, v8, v9 dst_sel:DWORD dst_unused:UNUSED_PAD src0_sel:WORD_1 src1_sel:DWORD
	v_pk_fma_f16 v30, v20, v29, v30
	v_pk_fma_f16 v31, v20, v37, v31
	;; [unrolled: 1-line block ×6, first 2 shown]
	ds_read2_b64 v[5:8], v44 offset0:136 offset1:164
	v_pk_fma_f16 v36, v20, v42, v36
	v_pk_fma_f16 v44, v20, v43, v18
	;; [unrolled: 1-line block ×10, first 2 shown]
	ds_read_b128 v[18:21], v131 offset:496
	s_waitcnt lgkmcnt(2)
	v_mul_u32_u24_sdwa v37, v1, v9 dst_sel:DWORD dst_unused:UNUSED_PAD src0_sel:WORD_0 src1_sel:DWORD
	v_mul_u32_u24_sdwa v1, v1, v9 dst_sel:DWORD dst_unused:UNUSED_PAD src0_sel:WORD_1 src1_sel:DWORD
	v_mul_u32_u24_sdwa v38, v2, v9 dst_sel:DWORD dst_unused:UNUSED_PAD src0_sel:WORD_0 src1_sel:DWORD
	v_mul_u32_u24_sdwa v2, v2, v9 dst_sel:DWORD dst_unused:UNUSED_PAD src0_sel:WORD_1 src1_sel:DWORD
	;; [unrolled: 2-line block ×4, first 2 shown]
	s_waitcnt lgkmcnt(1)
	v_pk_fma_f16 v30, v5, v37, v30
	v_pk_fma_f16 v31, v5, v1, v31
	;; [unrolled: 1-line block ×16, first 2 shown]
	s_waitcnt lgkmcnt(0)
	v_mul_u32_u24_sdwa v6, v18, v9 dst_sel:DWORD dst_unused:UNUSED_PAD src0_sel:WORD_0 src1_sel:DWORD
	v_mul_u32_u24_sdwa v18, v18, v9 dst_sel:DWORD dst_unused:UNUSED_PAD src0_sel:WORD_1 src1_sel:DWORD
	v_mul_u32_u24_sdwa v26, v19, v9 dst_sel:DWORD dst_unused:UNUSED_PAD src0_sel:WORD_0 src1_sel:DWORD
	v_mul_u32_u24_sdwa v19, v19, v9 dst_sel:DWORD dst_unused:UNUSED_PAD src0_sel:WORD_1 src1_sel:DWORD
	;; [unrolled: 2-line block ×4, first 2 shown]
	v_pk_fma_f16 v146, v7, v6, v30
	v_pk_fma_f16 v144, v7, v18, v31
	;; [unrolled: 1-line block ×16, first 2 shown]
	v_mov_b32_e32 v2, v10
	v_mov_b32_e32 v154, v165
	v_mov_b32_e32 v153, v164
	v_mov_b32_e32 v155, v163
	v_mov_b32_e32 v158, v152
	v_mov_b32_e32 v159, v151
	v_mov_b32_e32 v160, v148
	v_mov_b32_e32 v3, v11
	v_mov_b32_e32 v4, v12
	v_mov_b32_e32 v5, v13
	v_mov_b32_e32 v6, v14
	v_mov_b32_e32 v7, v15
	v_mov_b32_e32 v8, v16
	v_mov_b32_e32 v9, v17
	s_barrier
	buffer_gl0_inv
.LBB52_136:
	v_cmp_lt_i32_e32 vcc_lo, v169, v117
	s_cmp_eq_u64 s[44:45], 0
	s_cselect_b32 s7, -1, 0
	s_cmp_lg_u32 s30, 0
	v_cndmask_b32_e32 v1, v130, v169, vcc_lo
	v_cmp_lt_i32_e32 vcc_lo, v168, v117
	s_cselect_b32 s8, -1, 0
	s_or_b32 s7, s8, s7
	v_lshlrev_b32_e32 v1, 2, v1
	v_cndmask_b32_e32 v17, v130, v168, vcc_lo
	v_cmp_lt_i32_e32 vcc_lo, v167, v117
	ds_bpermute_b32 v10, v1, v160
	ds_bpermute_b32 v11, v1, v159
	;; [unrolled: 1-line block ×8, first 2 shown]
	v_lshlrev_b32_e32 v17, 2, v17
	v_cndmask_b32_e32 v25, v130, v167, vcc_lo
	v_cmp_lt_i32_e32 vcc_lo, v166, v117
	v_lshlrev_b32_e32 v25, 2, v25
	s_waitcnt lgkmcnt(7)
	v_add_f32_e32 v10, v160, v10
	s_waitcnt lgkmcnt(6)
	v_add_f32_e32 v11, v159, v11
	;; [unrolled: 2-line block ×8, first 2 shown]
	ds_bpermute_b32 v18, v17, v10
	ds_bpermute_b32 v19, v17, v11
	;; [unrolled: 1-line block ×8, first 2 shown]
	s_waitcnt lgkmcnt(7)
	v_add_f32_e32 v10, v10, v18
	s_waitcnt lgkmcnt(6)
	v_add_f32_e32 v11, v11, v19
	;; [unrolled: 2-line block ×8, first 2 shown]
	ds_bpermute_b32 v17, v25, v10
	ds_bpermute_b32 v18, v25, v11
	;; [unrolled: 1-line block ×8, first 2 shown]
	v_cndmask_b32_e32 v25, v130, v166, vcc_lo
	v_cmp_lt_i32_e32 vcc_lo, v118, v117
	v_lshlrev_b32_e32 v25, 2, v25
	s_waitcnt lgkmcnt(7)
	v_add_f32_e32 v10, v10, v17
	s_waitcnt lgkmcnt(6)
	v_add_f32_e32 v11, v11, v18
	;; [unrolled: 2-line block ×8, first 2 shown]
	ds_bpermute_b32 v17, v25, v10
	ds_bpermute_b32 v18, v25, v11
	;; [unrolled: 1-line block ×8, first 2 shown]
	v_cndmask_b32_e32 v25, v130, v118, vcc_lo
	s_and_b32 vcc_lo, exec_lo, s7
	v_lshlrev_b32_e32 v25, 2, v25
	s_waitcnt lgkmcnt(7)
	v_add_f32_e32 v10, v10, v17
	s_waitcnt lgkmcnt(6)
	v_add_f32_e32 v11, v11, v18
	;; [unrolled: 2-line block ×8, first 2 shown]
	ds_bpermute_b32 v17, v25, v10
	ds_bpermute_b32 v18, v25, v11
	;; [unrolled: 1-line block ×8, first 2 shown]
	s_waitcnt lgkmcnt(7)
	v_add_f32_e32 v10, v10, v17
	s_waitcnt lgkmcnt(6)
	v_add_f32_e32 v11, v11, v18
	;; [unrolled: 2-line block ×8, first 2 shown]
	s_cbranch_vccnz .LBB52_139
; %bb.137:
	s_lshl_b64 s[8:9], s[34:35], 2
	v_mov_b32_e32 v1, 0
	s_add_u32 s8, s44, s8
	s_addc_u32 s9, s45, s9
	v_max_f32_e32 v18, v2, v2
	v_max_f32_e32 v19, v3, v3
	global_load_dword v1, v1, s[8:9]
	v_max_f32_e32 v25, v8, v8
	v_max_f32_e32 v20, v4, v4
	;; [unrolled: 1-line block ×6, first 2 shown]
	v_mov_b32_e32 v34, 0x10001
	s_waitcnt vmcnt(0)
	v_max_f32_e32 v22, v1, v1
	v_max_f32_e32 v26, v18, v22
	;; [unrolled: 1-line block ×6, first 2 shown]
	v_sub_f32_e32 v2, v2, v26
	v_sub_f32_e32 v18, v1, v26
	;; [unrolled: 1-line block ×5, first 2 shown]
	v_mul_f32_e32 v25, 0x3fb8aa3b, v2
	v_mul_f32_e32 v35, 0x3fb8aa3b, v18
	;; [unrolled: 1-line block ×4, first 2 shown]
	v_sub_f32_e32 v20, v1, v28
	v_fma_f32 v50, 0x3fb8aa3b, v2, -v25
	v_rndne_f32_e32 v51, v25
	v_fma_f32 v52, 0x3fb8aa3b, v18, -v35
	v_rndne_f32_e32 v53, v35
	v_fma_f32 v54, 0x3fb8aa3b, v3, -v36
	v_fmac_f32_e32 v50, 0x32a5705f, v2
	v_sub_f32_e32 v25, v25, v51
	v_rndne_f32_e32 v55, v36
	v_fmac_f32_e32 v52, 0x32a5705f, v18
	v_sub_f32_e32 v35, v35, v53
	v_mul_f32_e32 v38, 0x3fb8aa3b, v4
	v_add_f32_e32 v25, v25, v50
	v_fma_f32 v56, 0x3fb8aa3b, v19, -v37
	v_rndne_f32_e32 v57, v37
	v_fmac_f32_e32 v54, 0x32a5705f, v3
	v_sub_f32_e32 v36, v36, v55
	v_add_f32_e32 v35, v35, v52
	v_exp_f32_e32 v25, v25
	v_sub_f32_e32 v5, v5, v29
	v_mul_f32_e32 v39, 0x3fb8aa3b, v20
	v_fma_f32 v58, 0x3fb8aa3b, v4, -v38
	v_rndne_f32_e32 v59, v38
	v_cvt_i32_f32_e32 v51, v51
	v_fmac_f32_e32 v56, 0x32a5705f, v19
	v_sub_f32_e32 v37, v37, v57
	v_add_f32_e32 v36, v36, v54
	v_exp_f32_e32 v35, v35
	v_max_f32_e32 v30, v23, v22
	v_sub_f32_e32 v21, v1, v29
	v_mul_f32_e32 v40, 0x3fb8aa3b, v5
	v_fma_f32 v60, 0x3fb8aa3b, v20, -v39
	v_rndne_f32_e32 v61, v39
	v_cvt_i32_f32_e32 v53, v53
	v_fmac_f32_e32 v58, 0x32a5705f, v4
	v_sub_f32_e32 v38, v38, v59
	v_add_f32_e32 v37, v37, v56
	v_exp_f32_e32 v36, v36
	v_ldexp_f32 v25, v25, v51
	v_cmp_ngt_f32_e32 vcc_lo, 0xc2ce8ed0, v2
	v_sub_f32_e32 v6, v6, v30
	v_mul_f32_e32 v41, 0x3fb8aa3b, v21
	v_fma_f32 v62, 0x3fb8aa3b, v5, -v40
	v_rndne_f32_e32 v63, v40
	v_cvt_i32_f32_e32 v55, v55
	v_fmac_f32_e32 v60, 0x32a5705f, v20
	v_sub_f32_e32 v39, v39, v61
	v_add_f32_e32 v38, v38, v58
	v_exp_f32_e32 v37, v37
	v_ldexp_f32 v35, v35, v53
	v_cndmask_b32_e32 v25, 0, v25, vcc_lo
	v_cmp_ngt_f32_e32 vcc_lo, 0xc2ce8ed0, v18
	v_max_f32_e32 v31, v24, v22
	v_max_f32_e32 v33, v33, v22
	v_sub_f32_e32 v22, v1, v30
	v_mul_f32_e32 v42, 0x3fb8aa3b, v6
	v_fma_f32 v64, 0x3fb8aa3b, v21, -v41
	v_rndne_f32_e32 v65, v41
	v_cvt_i32_f32_e32 v57, v57
	v_fmac_f32_e32 v62, 0x32a5705f, v5
	v_sub_f32_e32 v40, v40, v63
	v_add_f32_e32 v39, v39, v60
	v_exp_f32_e32 v38, v38
	v_ldexp_f32 v36, v36, v55
	v_cndmask_b32_e32 v35, 0, v35, vcc_lo
	v_cmp_ngt_f32_e32 vcc_lo, 0xc2ce8ed0, v3
	v_sub_f32_e32 v7, v7, v31
	v_mul_f32_e32 v43, 0x3fb8aa3b, v22
	v_fma_f32 v66, 0x3fb8aa3b, v6, -v42
	v_rndne_f32_e32 v67, v42
	v_cvt_i32_f32_e32 v59, v59
	v_fmac_f32_e32 v64, 0x32a5705f, v21
	v_sub_f32_e32 v41, v41, v65
	v_add_f32_e32 v40, v40, v62
	v_exp_f32_e32 v39, v39
	v_ldexp_f32 v37, v37, v57
	v_cndmask_b32_e32 v36, 0, v36, vcc_lo
	v_cmp_ngt_f32_e32 vcc_lo, 0xc2ce8ed0, v19
	;; [unrolled: 12-line block ×7, first 2 shown]
	v_mul_f32_e32 v49, 0x3fb8aa3b, v1
	v_fma_f32 v78, 0x3fb8aa3b, v9, -v48
	v_rndne_f32_e32 v79, v48
	v_cvt_i32_f32_e32 v71, v71
	v_fmac_f32_e32 v76, 0x32a5705f, v24
	v_sub_f32_e32 v47, v47, v77
	v_add_f32_e32 v46, v46, v74
	v_exp_f32_e32 v45, v45
	v_ldexp_f32 v43, v43, v69
	v_cndmask_b32_e32 v42, 0, v42, vcc_lo
	v_cmp_ngt_f32_e32 vcc_lo, 0xc2ce8ed0, v22
	v_fma_f32 v80, 0x3fb8aa3b, v1, -v49
	v_rndne_f32_e32 v81, v49
	v_cvt_i32_f32_e32 v73, v73
	v_fmac_f32_e32 v78, 0x32a5705f, v9
	v_sub_f32_e32 v48, v48, v79
	v_add_f32_e32 v47, v47, v76
	v_exp_f32_e32 v46, v46
	v_ldexp_f32 v44, v44, v71
	v_cndmask_b32_e32 v43, 0, v43, vcc_lo
	v_cmp_ngt_f32_e32 vcc_lo, 0xc2ce8ed0, v7
	v_cvt_i32_f32_e32 v75, v75
	v_fmac_f32_e32 v80, 0x32a5705f, v1
	v_sub_f32_e32 v49, v49, v81
	v_add_f32_e32 v48, v48, v78
	v_exp_f32_e32 v47, v47
	v_ldexp_f32 v45, v45, v73
	v_cndmask_b32_e32 v44, 0, v44, vcc_lo
	v_cmp_ngt_f32_e32 vcc_lo, 0xc2ce8ed0, v23
	v_cvt_i32_f32_e32 v77, v77
	v_add_f32_e32 v49, v49, v80
	v_exp_f32_e32 v48, v48
	v_ldexp_f32 v46, v46, v75
	v_cndmask_b32_e32 v45, 0, v45, vcc_lo
	v_cmp_ngt_f32_e32 vcc_lo, 0xc2ce8ed0, v8
	v_cvt_i32_f32_e32 v79, v79
	v_exp_f32_e32 v49, v49
	v_ldexp_f32 v47, v47, v77
	v_cvt_i32_f32_e32 v81, v81
	v_cndmask_b32_e32 v46, 0, v46, vcc_lo
	v_cmp_ngt_f32_e32 vcc_lo, 0xc2ce8ed0, v24
	v_ldexp_f32 v48, v48, v79
	v_cndmask_b32_e32 v47, 0, v47, vcc_lo
	v_cmp_ngt_f32_e32 vcc_lo, 0xc2ce8ed0, v9
	v_ldexp_f32 v49, v49, v81
	v_cndmask_b32_e32 v48, 0, v48, vcc_lo
	v_cmp_ngt_f32_e32 vcc_lo, 0xc2ce8ed0, v1
	v_cndmask_b32_e32 v49, 0, v49, vcc_lo
	v_cmp_nlt_f32_e32 vcc_lo, 0x42b17218, v2
	v_cndmask_b32_e32 v2, 0x7f800000, v25, vcc_lo
	v_cmp_nlt_f32_e32 vcc_lo, 0x42b17218, v18
	;; [unrolled: 2-line block ×3, first 2 shown]
	v_fmac_f32_e32 v18, v10, v2
	v_cndmask_b32_e32 v3, 0x7f800000, v36, vcc_lo
	v_cmp_nlt_f32_e32 vcc_lo, 0x42b17218, v19
	v_cndmask_b32_e32 v19, 0x7f800000, v37, vcc_lo
	v_cmp_nlt_f32_e32 vcc_lo, 0x42b17218, v4
	v_fmac_f32_e32 v19, v11, v3
	v_cndmask_b32_e32 v4, 0x7f800000, v38, vcc_lo
	v_cmp_nlt_f32_e32 vcc_lo, 0x42b17218, v20
	v_cndmask_b32_e32 v20, 0x7f800000, v39, vcc_lo
	v_cmp_nlt_f32_e32 vcc_lo, 0x42b17218, v5
	;; [unrolled: 5-line block ×6, first 2 shown]
	v_fmac_f32_e32 v24, v16, v8
	v_cndmask_b32_e32 v9, 0x7f800000, v48, vcc_lo
	v_cmp_nlt_f32_e32 vcc_lo, 0x42b17218, v1
	v_cvt_f16_f32_e32 v1, v2
	v_cvt_f16_f32_e32 v2, v3
	;; [unrolled: 1-line block ×8, first 2 shown]
	v_cndmask_b32_e32 v25, 0x7f800000, v49, vcc_lo
	v_mul_u32_u24_sdwa v2, v2, v34 dst_sel:DWORD dst_unused:UNUSED_PAD src0_sel:WORD_0 src1_sel:DWORD
	v_mul_u32_u24_sdwa v3, v3, v34 dst_sel:DWORD dst_unused:UNUSED_PAD src0_sel:WORD_0 src1_sel:DWORD
	;; [unrolled: 1-line block ×7, first 2 shown]
	v_fmac_f32_e32 v25, v17, v9
	v_mul_u32_u24_sdwa v1, v1, v34 dst_sel:DWORD dst_unused:UNUSED_PAD src0_sel:WORD_0 src1_sel:DWORD
	v_mov_b32_e32 v10, v18
	v_pk_mul_f16 v144, v144, v2
	v_pk_mul_f16 v145, v145, v2
	v_pk_mul_f16 v142, v142, v3
	v_pk_mul_f16 v143, v143, v3
	v_pk_mul_f16 v140, v140, v4
	v_pk_mul_f16 v141, v141, v4
	v_pk_mul_f16 v138, v138, v5
	v_pk_mul_f16 v139, v139, v5
	v_pk_mul_f16 v136, v136, v6
	v_pk_mul_f16 v137, v137, v6
	v_pk_mul_f16 v134, v134, v7
	v_pk_mul_f16 v135, v135, v7
	v_pk_mul_f16 v133, v133, v8
	v_pk_mul_f16 v132, v132, v8
	v_mov_b32_e32 v2, v26
	v_mov_b32_e32 v11, v19
	;; [unrolled: 1-line block ×8, first 2 shown]
	v_pk_mul_f16 v146, v146, v1
	v_pk_mul_f16 v147, v147, v1
	v_mov_b32_e32 v3, v27
	v_mov_b32_e32 v4, v28
	;; [unrolled: 1-line block ×7, first 2 shown]
	s_mov_b32 s7, exec_lo
	v_cmpx_gt_i32_e64 s54, v128
	s_cbranch_execnz .LBB52_140
.LBB52_138:
	s_endpgm
.LBB52_139:
	v_mov_b32_e32 v18, v10
	v_mov_b32_e32 v19, v11
	;; [unrolled: 1-line block ×8, first 2 shown]
	s_mov_b32 s7, exec_lo
	v_cmpx_gt_i32_e64 s54, v128
	s_cbranch_execz .LBB52_138
.LBB52_140:
	s_load_dword s4, s[4:5], 0xd4
	v_mov_b32_e32 v1, 1.0
	s_waitcnt lgkmcnt(0)
	s_cmp_lg_u32 s4, 1
	s_cselect_b32 s7, -1, 0
	s_cmp_eq_u32 s4, 1
	s_cselect_b32 s8, -1, 0
	s_and_b32 vcc_lo, exec_lo, s7
	s_cbranch_vccnz .LBB52_142
; %bb.141:
	v_div_scale_f32 v1, null, v18, v18, 1.0
	v_rcp_f32_e32 v26, v1
	v_fma_f32 v27, -v1, v26, 1.0
	v_fmac_f32_e32 v26, v27, v26
	v_div_scale_f32 v27, vcc_lo, 1.0, v18, 1.0
	v_mul_f32_e32 v28, v27, v26
	v_fma_f32 v29, -v1, v28, v27
	v_fmac_f32_e32 v28, v29, v26
	v_fma_f32 v1, -v1, v28, v27
	v_div_fmas_f32 v1, v1, v26, v28
	v_div_fixup_f32 v1, v1, v18, 1.0
.LBB52_142:
	s_mul_i32 s5, s33, s54
	s_add_i32 s5, s5, s31
	v_add_nc_u32_e32 v18, s5, v126
	v_mad_u64_u32 v[26:27], null, v18, s55, s[34:35]
	v_mad_u64_u32 v[26:27], null, s4, v26, s[30:31]
	s_and_saveexec_b32 s9, s6
	s_cbranch_execz .LBB52_144
; %bb.143:
	v_mad_u64_u32 v[27:28], null, 0x70, v26, v[106:107]
	v_mov_b32_e32 v28, 0
	v_cvt_f32_f16_sdwa v18, v147 dst_sel:DWORD dst_unused:UNUSED_PAD src0_sel:WORD_1
	v_cvt_f32_f16_e32 v29, v147
	v_cvt_f32_f16_sdwa v33, v146 dst_sel:DWORD dst_unused:UNUSED_PAD src0_sel:WORD_1
	v_mul_f32_e32 v30, v1, v18
	v_lshlrev_b64 v[31:32], 2, v[27:28]
	v_cvt_f32_f16_e32 v27, v146
	v_mul_f32_e32 v29, v1, v29
	v_mul_f32_e32 v28, v1, v33
	v_mul_f32_e32 v27, v1, v27
	v_add_co_u32 v31, vcc_lo, s48, v31
	v_add_co_ci_u32_e64 v32, null, s49, v32, vcc_lo
	global_store_dwordx4 v[31:32], v[27:30], off
.LBB52_144:
	s_or_b32 exec_lo, exec_lo, s9
	v_cmp_eq_u32_e32 vcc_lo, 0, v0
	s_and_b32 s7, vcc_lo, s7
	s_and_saveexec_b32 s9, s7
	s_cbranch_execz .LBB52_146
; %bb.145:
	v_ashrrev_i32_e32 v27, 31, v26
	v_lshlrev_b64 v[0:1], 3, v[26:27]
	v_mov_b32_e32 v26, v2
	v_mov_b32_e32 v27, v10
	v_add_co_u32 v0, vcc_lo, s50, v0
	v_add_co_ci_u32_e64 v1, null, s51, v1, vcc_lo
	global_store_dwordx2 v[0:1], v[26:27], off
.LBB52_146:
	s_or_b32 exec_lo, exec_lo, s9
	v_cmp_gt_i32_e32 vcc_lo, s54, v127
	s_and_b32 exec_lo, exec_lo, vcc_lo
	s_cbranch_execz .LBB52_138
; %bb.147:
	v_cndmask_b32_e64 v2, 0, 1, s8
	v_mov_b32_e32 v10, 1.0
	s_andn2_b32 vcc_lo, exec_lo, s8
	s_cbranch_vccnz .LBB52_149
; %bb.148:
	v_div_scale_f32 v0, null, v19, v19, 1.0
	v_rcp_f32_e32 v1, v0
	v_fma_f32 v10, -v0, v1, 1.0
	v_fmac_f32_e32 v1, v10, v1
	v_div_scale_f32 v10, vcc_lo, 1.0, v19, 1.0
	v_mul_f32_e32 v18, v10, v1
	v_fma_f32 v26, -v0, v18, v10
	v_fmac_f32_e32 v18, v26, v1
	v_fma_f32 v0, -v0, v18, v10
	v_div_fmas_f32 v0, v0, v1, v18
	v_div_fixup_f32 v10, v0, v19, 1.0
.LBB52_149:
	v_add_nc_u32_e32 v0, s5, v125
	v_mad_u64_u32 v[0:1], null, v0, s55, s[34:35]
	v_mad_u64_u32 v[0:1], null, s4, v0, s[30:31]
	s_and_saveexec_b32 s8, s6
	s_cbranch_execz .LBB52_151
; %bb.150:
	v_mad_u64_u32 v[18:19], null, 0x70, v0, v[106:107]
	v_mov_b32_e32 v19, 0
	v_cvt_f32_f16_sdwa v1, v145 dst_sel:DWORD dst_unused:UNUSED_PAD src0_sel:WORD_1
	v_cvt_f32_f16_e32 v26, v145
	v_cvt_f32_f16_sdwa v27, v144 dst_sel:DWORD dst_unused:UNUSED_PAD src0_sel:WORD_1
	v_cvt_f32_f16_e32 v30, v144
	v_mul_f32_e32 v29, v10, v1
	v_lshlrev_b64 v[18:19], 2, v[18:19]
	v_mul_f32_e32 v28, v10, v26
	v_mul_f32_e32 v27, v10, v27
	v_mul_f32_e32 v26, v10, v30
	v_add_co_u32 v18, vcc_lo, s48, v18
	v_add_co_ci_u32_e64 v19, null, s49, v19, vcc_lo
	global_store_dwordx4 v[18:19], v[26:29], off
.LBB52_151:
	s_or_b32 exec_lo, exec_lo, s8
	s_and_saveexec_b32 s8, s7
	s_cbranch_execz .LBB52_153
; %bb.152:
	v_ashrrev_i32_e32 v1, 31, v0
	v_mov_b32_e32 v10, v3
	v_lshlrev_b64 v[0:1], 3, v[0:1]
	v_add_co_u32 v0, vcc_lo, s50, v0
	v_add_co_ci_u32_e64 v1, null, s51, v1, vcc_lo
	global_store_dwordx2 v[0:1], v[10:11], off
.LBB52_153:
	s_or_b32 exec_lo, exec_lo, s8
	v_add_nc_u32_e32 v0, s31, v124
	v_cmp_gt_i32_e32 vcc_lo, s54, v0
	s_and_b32 exec_lo, exec_lo, vcc_lo
	s_cbranch_execz .LBB52_138
; %bb.154:
	v_cmp_ne_u32_e32 vcc_lo, 1, v2
	v_mov_b32_e32 v3, 1.0
	s_cbranch_vccnz .LBB52_156
; %bb.155:
	v_div_scale_f32 v0, null, v20, v20, 1.0
	v_rcp_f32_e32 v1, v0
	v_fma_f32 v3, -v0, v1, 1.0
	v_fmac_f32_e32 v1, v3, v1
	v_div_scale_f32 v3, vcc_lo, 1.0, v20, 1.0
	v_mul_f32_e32 v10, v3, v1
	v_fma_f32 v11, -v0, v10, v3
	v_fmac_f32_e32 v10, v11, v1
	v_fma_f32 v0, -v0, v10, v3
	v_div_fmas_f32 v0, v0, v1, v10
	v_div_fixup_f32 v3, v0, v20, 1.0
.LBB52_156:
	v_add_nc_u32_e32 v0, s5, v124
	v_mad_u64_u32 v[0:1], null, v0, s55, s[34:35]
	v_mad_u64_u32 v[0:1], null, s4, v0, s[30:31]
	s_and_saveexec_b32 s8, s6
	s_cbranch_execz .LBB52_158
; %bb.157:
	v_mad_u64_u32 v[10:11], null, 0x70, v0, v[106:107]
	v_mov_b32_e32 v11, 0
	v_cvt_f32_f16_sdwa v1, v143 dst_sel:DWORD dst_unused:UNUSED_PAD src0_sel:WORD_1
	v_cvt_f32_f16_e32 v18, v143
	v_cvt_f32_f16_sdwa v19, v142 dst_sel:DWORD dst_unused:UNUSED_PAD src0_sel:WORD_1
	v_cvt_f32_f16_e32 v20, v142
	v_mul_f32_e32 v29, v3, v1
	v_lshlrev_b64 v[10:11], 2, v[10:11]
	v_mul_f32_e32 v28, v3, v18
	v_mul_f32_e32 v27, v3, v19
	v_mul_f32_e32 v26, v3, v20
	v_add_co_u32 v10, vcc_lo, s48, v10
	v_add_co_ci_u32_e64 v11, null, s49, v11, vcc_lo
	global_store_dwordx4 v[10:11], v[26:29], off
.LBB52_158:
	s_or_b32 exec_lo, exec_lo, s8
	s_and_saveexec_b32 s8, s7
	s_cbranch_execz .LBB52_160
; %bb.159:
	v_ashrrev_i32_e32 v1, 31, v0
	v_mov_b32_e32 v11, v4
	v_lshlrev_b64 v[0:1], 3, v[0:1]
	v_add_co_u32 v0, vcc_lo, s50, v0
	v_add_co_ci_u32_e64 v1, null, s51, v1, vcc_lo
	global_store_dwordx2 v[0:1], v[11:12], off
.LBB52_160:
	s_or_b32 exec_lo, exec_lo, s8
	v_add_nc_u32_e32 v0, s31, v123
	v_cmp_gt_i32_e32 vcc_lo, s54, v0
	s_and_b32 exec_lo, exec_lo, vcc_lo
	s_cbranch_execz .LBB52_138
; %bb.161:
	v_cmp_ne_u32_e32 vcc_lo, 1, v2
	v_mov_b32_e32 v3, 1.0
	;; [unrolled: 54-line block ×6, first 2 shown]
	s_cbranch_vccnz .LBB52_191
; %bb.190:
	v_div_scale_f32 v0, null, v25, v25, 1.0
	v_rcp_f32_e32 v1, v0
	v_fma_f32 v2, -v0, v1, 1.0
	v_fmac_f32_e32 v1, v2, v1
	v_div_scale_f32 v2, vcc_lo, 1.0, v25, 1.0
	v_mul_f32_e32 v3, v2, v1
	v_fma_f32 v4, -v0, v3, v2
	v_fmac_f32_e32 v3, v4, v1
	v_fma_f32 v0, -v0, v3, v2
	v_div_fmas_f32 v0, v0, v1, v3
	v_div_fixup_f32 v2, v0, v25, 1.0
.LBB52_191:
	v_add_nc_u32_e32 v0, s5, v119
	v_mad_u64_u32 v[0:1], null, v0, s55, s[34:35]
	v_mad_u64_u32 v[0:1], null, s4, v0, s[30:31]
	s_and_saveexec_b32 s4, s6
	s_cbranch_execz .LBB52_193
; %bb.192:
	v_mad_u64_u32 v[3:4], null, 0x70, v0, v[106:107]
	v_mov_b32_e32 v4, 0
	v_cvt_f32_f16_sdwa v1, v132 dst_sel:DWORD dst_unused:UNUSED_PAD src0_sel:WORD_1
	v_cvt_f32_f16_e32 v8, v132
	v_cvt_f32_f16_sdwa v10, v133 dst_sel:DWORD dst_unused:UNUSED_PAD src0_sel:WORD_1
	v_cvt_f32_f16_e32 v11, v133
	v_mul_f32_e32 v5, v2, v1
	v_lshlrev_b64 v[6:7], 2, v[3:4]
	v_mul_f32_e32 v4, v2, v8
	v_mul_f32_e32 v3, v2, v10
	;; [unrolled: 1-line block ×3, first 2 shown]
	v_add_co_u32 v6, vcc_lo, s48, v6
	v_add_co_ci_u32_e64 v7, null, s49, v7, vcc_lo
	global_store_dwordx4 v[6:7], v[2:5], off
.LBB52_193:
	s_or_b32 exec_lo, exec_lo, s4
	s_and_b32 exec_lo, exec_lo, s7
	s_cbranch_execz .LBB52_138
; %bb.194:
	v_ashrrev_i32_e32 v1, 31, v0
	v_mov_b32_e32 v16, v9
	v_lshlrev_b64 v[0:1], 3, v[0:1]
	v_add_co_u32 v0, vcc_lo, s50, v0
	v_add_co_ci_u32_e64 v1, null, s51, v1, vcc_lo
	global_store_dwordx2 v[0:1], v[16:17], off
	s_endpgm
	.section	.rodata,"a",@progbits
	.p2align	6, 0x0
	.amdhsa_kernel _ZL15flash_attn_tileILi112ELi112ELi64ELi1ELb0EEvPKcS1_S1_S1_S1_PKiPfP15HIP_vector_typeIfLj2EEffffjfiS5_IjLj3EEiiiiiiiiiiiliiliiiiil
		.amdhsa_group_segment_fixed_size 22592
		.amdhsa_private_segment_fixed_size 32
		.amdhsa_kernarg_size 464
		.amdhsa_user_sgpr_count 8
		.amdhsa_user_sgpr_private_segment_buffer 1
		.amdhsa_user_sgpr_dispatch_ptr 0
		.amdhsa_user_sgpr_queue_ptr 0
		.amdhsa_user_sgpr_kernarg_segment_ptr 1
		.amdhsa_user_sgpr_dispatch_id 0
		.amdhsa_user_sgpr_flat_scratch_init 1
		.amdhsa_user_sgpr_private_segment_size 0
		.amdhsa_wavefront_size32 1
		.amdhsa_uses_dynamic_stack 0
		.amdhsa_system_sgpr_private_segment_wavefront_offset 1
		.amdhsa_system_sgpr_workgroup_id_x 1
		.amdhsa_system_sgpr_workgroup_id_y 1
		.amdhsa_system_sgpr_workgroup_id_z 1
		.amdhsa_system_sgpr_workgroup_info 0
		.amdhsa_system_vgpr_workitem_id 1
		.amdhsa_next_free_vgpr 247
		.amdhsa_next_free_sgpr 64
		.amdhsa_reserve_vcc 1
		.amdhsa_reserve_flat_scratch 1
		.amdhsa_float_round_mode_32 0
		.amdhsa_float_round_mode_16_64 0
		.amdhsa_float_denorm_mode_32 3
		.amdhsa_float_denorm_mode_16_64 3
		.amdhsa_dx10_clamp 1
		.amdhsa_ieee_mode 1
		.amdhsa_fp16_overflow 0
		.amdhsa_workgroup_processor_mode 1
		.amdhsa_memory_ordered 1
		.amdhsa_forward_progress 1
		.amdhsa_shared_vgpr_count 0
		.amdhsa_exception_fp_ieee_invalid_op 0
		.amdhsa_exception_fp_denorm_src 0
		.amdhsa_exception_fp_ieee_div_zero 0
		.amdhsa_exception_fp_ieee_overflow 0
		.amdhsa_exception_fp_ieee_underflow 0
		.amdhsa_exception_fp_ieee_inexact 0
		.amdhsa_exception_int_div_zero 0
	.end_amdhsa_kernel
	.section	.text._ZL15flash_attn_tileILi112ELi112ELi64ELi1ELb0EEvPKcS1_S1_S1_S1_PKiPfP15HIP_vector_typeIfLj2EEffffjfiS5_IjLj3EEiiiiiiiiiiiliiliiiiil,"axG",@progbits,_ZL15flash_attn_tileILi112ELi112ELi64ELi1ELb0EEvPKcS1_S1_S1_S1_PKiPfP15HIP_vector_typeIfLj2EEffffjfiS5_IjLj3EEiiiiiiiiiiiliiliiiiil,comdat
.Lfunc_end52:
	.size	_ZL15flash_attn_tileILi112ELi112ELi64ELi1ELb0EEvPKcS1_S1_S1_S1_PKiPfP15HIP_vector_typeIfLj2EEffffjfiS5_IjLj3EEiiiiiiiiiiiliiliiiiil, .Lfunc_end52-_ZL15flash_attn_tileILi112ELi112ELi64ELi1ELb0EEvPKcS1_S1_S1_S1_PKiPfP15HIP_vector_typeIfLj2EEffffjfiS5_IjLj3EEiiiiiiiiiiiliiliiiiil
                                        ; -- End function
	.set _ZL15flash_attn_tileILi112ELi112ELi64ELi1ELb0EEvPKcS1_S1_S1_S1_PKiPfP15HIP_vector_typeIfLj2EEffffjfiS5_IjLj3EEiiiiiiiiiiiliiliiiiil.num_vgpr, 247
	.set _ZL15flash_attn_tileILi112ELi112ELi64ELi1ELb0EEvPKcS1_S1_S1_S1_PKiPfP15HIP_vector_typeIfLj2EEffffjfiS5_IjLj3EEiiiiiiiiiiiliiliiiiil.num_agpr, 0
	.set _ZL15flash_attn_tileILi112ELi112ELi64ELi1ELb0EEvPKcS1_S1_S1_S1_PKiPfP15HIP_vector_typeIfLj2EEffffjfiS5_IjLj3EEiiiiiiiiiiiliiliiiiil.numbered_sgpr, 64
	.set _ZL15flash_attn_tileILi112ELi112ELi64ELi1ELb0EEvPKcS1_S1_S1_S1_PKiPfP15HIP_vector_typeIfLj2EEffffjfiS5_IjLj3EEiiiiiiiiiiiliiliiiiil.num_named_barrier, 0
	.set _ZL15flash_attn_tileILi112ELi112ELi64ELi1ELb0EEvPKcS1_S1_S1_S1_PKiPfP15HIP_vector_typeIfLj2EEffffjfiS5_IjLj3EEiiiiiiiiiiiliiliiiiil.private_seg_size, 32
	.set _ZL15flash_attn_tileILi112ELi112ELi64ELi1ELb0EEvPKcS1_S1_S1_S1_PKiPfP15HIP_vector_typeIfLj2EEffffjfiS5_IjLj3EEiiiiiiiiiiiliiliiiiil.uses_vcc, 1
	.set _ZL15flash_attn_tileILi112ELi112ELi64ELi1ELb0EEvPKcS1_S1_S1_S1_PKiPfP15HIP_vector_typeIfLj2EEffffjfiS5_IjLj3EEiiiiiiiiiiiliiliiiiil.uses_flat_scratch, 1
	.set _ZL15flash_attn_tileILi112ELi112ELi64ELi1ELb0EEvPKcS1_S1_S1_S1_PKiPfP15HIP_vector_typeIfLj2EEffffjfiS5_IjLj3EEiiiiiiiiiiiliiliiiiil.has_dyn_sized_stack, 0
	.set _ZL15flash_attn_tileILi112ELi112ELi64ELi1ELb0EEvPKcS1_S1_S1_S1_PKiPfP15HIP_vector_typeIfLj2EEffffjfiS5_IjLj3EEiiiiiiiiiiiliiliiiiil.has_recursion, 0
	.set _ZL15flash_attn_tileILi112ELi112ELi64ELi1ELb0EEvPKcS1_S1_S1_S1_PKiPfP15HIP_vector_typeIfLj2EEffffjfiS5_IjLj3EEiiiiiiiiiiiliiliiiiil.has_indirect_call, 0
	.section	.AMDGPU.csdata,"",@progbits
; Kernel info:
; codeLenInByte = 54480
; TotalNumSgprs: 66
; NumVgprs: 247
; ScratchSize: 32
; MemoryBound: 0
; FloatMode: 240
; IeeeMode: 1
; LDSByteSize: 22592 bytes/workgroup (compile time only)
; SGPRBlocks: 0
; VGPRBlocks: 30
; NumSGPRsForWavesPerEU: 66
; NumVGPRsForWavesPerEU: 247
; Occupancy: 4
; WaveLimiterHint : 1
; COMPUTE_PGM_RSRC2:SCRATCH_EN: 1
; COMPUTE_PGM_RSRC2:USER_SGPR: 8
; COMPUTE_PGM_RSRC2:TRAP_HANDLER: 0
; COMPUTE_PGM_RSRC2:TGID_X_EN: 1
; COMPUTE_PGM_RSRC2:TGID_Y_EN: 1
; COMPUTE_PGM_RSRC2:TGID_Z_EN: 1
; COMPUTE_PGM_RSRC2:TIDIG_COMP_CNT: 1
	.section	.text._ZL25flash_attn_mask_to_KV_maxILi64EEvPK7__half2Piiii,"axG",@progbits,_ZL25flash_attn_mask_to_KV_maxILi64EEvPK7__half2Piiii,comdat
	.globl	_ZL25flash_attn_mask_to_KV_maxILi64EEvPK7__half2Piiii ; -- Begin function _ZL25flash_attn_mask_to_KV_maxILi64EEvPK7__half2Piiii
	.p2align	8
	.type	_ZL25flash_attn_mask_to_KV_maxILi64EEvPK7__half2Piiii,@function
_ZL25flash_attn_mask_to_KV_maxILi64EEvPK7__half2Piiii: ; @_ZL25flash_attn_mask_to_KV_maxILi64EEvPK7__half2Piiii
; %bb.0:
	s_load_dwordx4 s[8:11], s[4:5], 0x0
	s_mov_b32 s0, exec_lo
	v_cmpx_gt_u32_e32 32, v0
; %bb.1:
	v_lshlrev_b32_e32 v1, 2, v0
	v_mov_b32_e32 v2, 1
	ds_write_b32 v1, v2
; %bb.2:
	s_or_b32 exec_lo, exec_lo, s0
	s_clause 0x1
	s_load_dwordx4 s[12:15], s[4:5], 0x10
	s_load_dword s1, s[4:5], 0x20
	v_and_b32_e32 v1, 31, v0
	v_lshrrev_b32_e32 v5, 3, v0
	v_mov_b32_e32 v2, 0
	v_mov_b32_e32 v6, 0x204
	s_waitcnt lgkmcnt(0)
	v_lshlrev_b32_e32 v7, 2, v1
	s_barrier
	buffer_gl0_inv
	s_mul_i32 s0, s6, s13
	s_mul_i32 s2, s14, s7
	s_lshl_b32 s0, s0, 6
	s_add_i32 s2, s2, s0
	v_cmp_eq_u32_e64 s0, 0, v1
	s_ashr_i32 s3, s2, 31
	s_lshl_b64 s[4:5], s[2:3], 2
	s_add_u32 s3, s8, s4
	s_addc_u32 s4, s9, s5
	s_lshl_b32 s5, s12, 8
	s_branch .LBB53_4
.LBB53_3:                               ;   in Loop: Header=BB53_4 Depth=1
	s_or_b32 exec_lo, exec_lo, s8
	s_waitcnt lgkmcnt(0)
	s_barrier
	buffer_gl0_inv
	ds_read_b32 v1, v7
	s_waitcnt lgkmcnt(0)
	s_barrier
	buffer_gl0_inv
	v_cmp_ne_u32_e32 vcc_lo, 0, v1
	s_cmp_lg_u32 vcc_lo, exec_lo
	s_cselect_b32 s8, -1, 0
	s_and_b32 vcc_lo, exec_lo, s8
	s_cbranch_vccnz .LBB53_260
.LBB53_4:                               ; =>This Inner Loop Header: Depth=1
	s_mov_b32 s2, s5
	s_addk_i32 s5, 0xff00
	s_cmp_lt_i32 s5, 0
	s_cbranch_scc1 .LBB53_259
; %bb.5:                                ;   in Loop: Header=BB53_4 Depth=1
	s_lshr_b32 s8, s5, 1
	v_add_nc_u32_e32 v1, s8, v0
	v_lshlrev_b64 v[3:4], 2, v[1:2]
	v_add_co_u32 v3, vcc_lo, s3, v3
	v_add_co_ci_u32_e64 v4, null, s4, v4, vcc_lo
	global_load_dword v3, v[3:4], off
	s_waitcnt vmcnt(0)
	v_cmp_class_f16_e64 s8, v3, 0x204
	v_cmp_class_f16_sdwa s9, v3, v6 src0_sel:WORD_1 src1_sel:DWORD
	s_and_b32 s12, s8, s9
	s_mov_b32 s9, 0
	s_and_saveexec_b32 s8, s12
	s_cbranch_execz .LBB53_257
; %bb.6:                                ;   in Loop: Header=BB53_4 Depth=1
	v_add_nc_u32_e32 v3, s13, v1
	s_mov_b32 s12, 0
	v_ashrrev_i32_e32 v4, 31, v3
	v_lshlrev_b64 v[8:9], 2, v[3:4]
	v_add_co_u32 v8, vcc_lo, s3, v8
	v_add_co_ci_u32_e64 v9, null, s4, v9, vcc_lo
	global_load_dword v1, v[8:9], off
	s_waitcnt vmcnt(0)
	v_cmp_class_f16_e64 s14, v1, 0x204
	s_and_saveexec_b32 s9, s14
	s_cbranch_execz .LBB53_256
; %bb.7:                                ;   in Loop: Header=BB53_4 Depth=1
	v_cmp_class_f16_sdwa s15, v1, v6 src0_sel:WORD_1 src1_sel:DWORD
	s_mov_b32 s14, 0
	s_and_saveexec_b32 s12, s15
	s_cbranch_execz .LBB53_255
; %bb.8:                                ;   in Loop: Header=BB53_4 Depth=1
	v_add_nc_u32_e32 v3, s13, v3
	s_mov_b32 s15, 0
	v_ashrrev_i32_e32 v4, 31, v3
	v_lshlrev_b64 v[8:9], 2, v[3:4]
	v_add_co_u32 v8, vcc_lo, s3, v8
	v_add_co_ci_u32_e64 v9, null, s4, v9, vcc_lo
	global_load_dword v1, v[8:9], off
	s_waitcnt vmcnt(0)
	v_cmp_class_f16_e64 s16, v1, 0x204
	s_and_saveexec_b32 s14, s16
	s_cbranch_execz .LBB53_254
; %bb.9:                                ;   in Loop: Header=BB53_4 Depth=1
	v_cmp_class_f16_sdwa s17, v1, v6 src0_sel:WORD_1 src1_sel:DWORD
	s_mov_b32 s16, 0
	s_and_saveexec_b32 s15, s17
	s_cbranch_execz .LBB53_253
; %bb.10:                               ;   in Loop: Header=BB53_4 Depth=1
	v_add_nc_u32_e32 v3, s13, v3
	s_mov_b32 s17, 0
	v_ashrrev_i32_e32 v4, 31, v3
	v_lshlrev_b64 v[8:9], 2, v[3:4]
	v_add_co_u32 v8, vcc_lo, s3, v8
	v_add_co_ci_u32_e64 v9, null, s4, v9, vcc_lo
	global_load_dword v1, v[8:9], off
	s_waitcnt vmcnt(0)
	v_cmp_class_f16_e64 s18, v1, 0x204
	s_and_saveexec_b32 s16, s18
	s_cbranch_execz .LBB53_252
; %bb.11:                               ;   in Loop: Header=BB53_4 Depth=1
	v_cmp_class_f16_sdwa s19, v1, v6 src0_sel:WORD_1 src1_sel:DWORD
	s_mov_b32 s18, 0
	s_and_saveexec_b32 s17, s19
	s_cbranch_execz .LBB53_251
; %bb.12:                               ;   in Loop: Header=BB53_4 Depth=1
	v_add_nc_u32_e32 v3, s13, v3
	s_mov_b32 s19, 0
	v_ashrrev_i32_e32 v4, 31, v3
	v_lshlrev_b64 v[8:9], 2, v[3:4]
	v_add_co_u32 v8, vcc_lo, s3, v8
	v_add_co_ci_u32_e64 v9, null, s4, v9, vcc_lo
	global_load_dword v1, v[8:9], off
	s_waitcnt vmcnt(0)
	v_cmp_class_f16_e64 s20, v1, 0x204
	s_and_saveexec_b32 s18, s20
	s_cbranch_execz .LBB53_250
; %bb.13:                               ;   in Loop: Header=BB53_4 Depth=1
	;; [unrolled: 17-line block ×24, first 2 shown]
	v_cmp_class_f16_sdwa s66, v1, v6 src0_sel:WORD_1 src1_sel:DWORD
	s_mov_b32 s65, 0
	s_and_saveexec_b32 s64, s66
	s_cbranch_execz .LBB53_205
; %bb.58:                               ;   in Loop: Header=BB53_4 Depth=1
	v_add_nc_u32_e32 v3, s13, v3
	v_ashrrev_i32_e32 v4, 31, v3
	v_lshlrev_b64 v[8:9], 2, v[3:4]
	v_add_co_u32 v8, vcc_lo, s3, v8
	v_add_co_ci_u32_e64 v9, null, s4, v9, vcc_lo
	global_load_dword v1, v[8:9], off
	s_waitcnt vmcnt(0)
	v_cmp_class_f16_e64 s66, v1, 0x204
	s_mov_b32 s67, exec_lo
	s_and_b32 s66, s67, s66
                                        ; implicit-def: $vgpr11 : SGPR spill to VGPR lane
	v_writelane_b32 v11, s67, 0
	s_mov_b32 exec_lo, s66
	s_cbranch_execz .LBB53_204
; %bb.59:                               ;   in Loop: Header=BB53_4 Depth=1
	v_cmp_class_f16_sdwa s66, v1, v6 src0_sel:WORD_1 src1_sel:DWORD
	s_mov_b32 s67, exec_lo
	s_and_b32 s66, s67, s66
	v_writelane_b32 v11, s67, 1
	s_mov_b32 exec_lo, s66
	s_cbranch_execz .LBB53_203
; %bb.60:                               ;   in Loop: Header=BB53_4 Depth=1
	v_add_nc_u32_e32 v3, s13, v3
	v_ashrrev_i32_e32 v4, 31, v3
	v_lshlrev_b64 v[8:9], 2, v[3:4]
	v_add_co_u32 v8, vcc_lo, s3, v8
	v_add_co_ci_u32_e64 v9, null, s4, v9, vcc_lo
	global_load_dword v1, v[8:9], off
	s_waitcnt vmcnt(0)
	v_cmp_class_f16_e64 s66, v1, 0x204
	s_mov_b32 s67, exec_lo
	s_and_b32 s66, s67, s66
	v_writelane_b32 v11, s67, 2
	s_mov_b32 exec_lo, s66
	s_cbranch_execz .LBB53_202
; %bb.61:                               ;   in Loop: Header=BB53_4 Depth=1
	v_cmp_class_f16_sdwa s66, v1, v6 src0_sel:WORD_1 src1_sel:DWORD
	s_mov_b32 s67, exec_lo
	s_and_b32 s66, s67, s66
	v_writelane_b32 v11, s67, 3
	s_mov_b32 exec_lo, s66
	s_cbranch_execz .LBB53_201
; %bb.62:                               ;   in Loop: Header=BB53_4 Depth=1
	v_add_nc_u32_e32 v3, s13, v3
	v_ashrrev_i32_e32 v4, 31, v3
	v_lshlrev_b64 v[8:9], 2, v[3:4]
	v_add_co_u32 v8, vcc_lo, s3, v8
	v_add_co_ci_u32_e64 v9, null, s4, v9, vcc_lo
	global_load_dword v1, v[8:9], off
	s_waitcnt vmcnt(0)
	v_cmp_class_f16_e64 s66, v1, 0x204
	s_mov_b32 s67, exec_lo
	s_and_b32 s66, s67, s66
	;; [unrolled: 21-line block ×16, first 2 shown]
                                        ; implicit-def: $vgpr10 : SGPR spill to VGPR lane
	v_writelane_b32 v10, s67, 0
	s_mov_b32 exec_lo, s66
	s_cbranch_execz .LBB53_172
; %bb.91:                               ;   in Loop: Header=BB53_4 Depth=1
	v_cmp_class_f16_sdwa s66, v1, v6 src0_sel:WORD_1 src1_sel:DWORD
	s_mov_b32 s67, exec_lo
	s_and_b32 s66, s67, s66
	v_writelane_b32 v10, s67, 1
	s_mov_b32 exec_lo, s66
	s_cbranch_execz .LBB53_171
; %bb.92:                               ;   in Loop: Header=BB53_4 Depth=1
	v_add_nc_u32_e32 v3, s13, v3
	v_ashrrev_i32_e32 v4, 31, v3
	v_lshlrev_b64 v[8:9], 2, v[3:4]
	v_add_co_u32 v8, vcc_lo, s3, v8
	v_add_co_ci_u32_e64 v9, null, s4, v9, vcc_lo
	global_load_dword v1, v[8:9], off
	s_waitcnt vmcnt(0)
	v_cmp_class_f16_e64 s66, v1, 0x204
	s_mov_b32 s67, exec_lo
	s_and_b32 s66, s67, s66
	v_writelane_b32 v10, s67, 2
	s_mov_b32 exec_lo, s66
	s_cbranch_execz .LBB53_170
; %bb.93:                               ;   in Loop: Header=BB53_4 Depth=1
	v_cmp_class_f16_sdwa s66, v1, v6 src0_sel:WORD_1 src1_sel:DWORD
	s_mov_b32 s67, exec_lo
	s_and_b32 s66, s67, s66
	v_writelane_b32 v10, s67, 3
	s_mov_b32 exec_lo, s66
	s_cbranch_execz .LBB53_169
; %bb.94:                               ;   in Loop: Header=BB53_4 Depth=1
	v_add_nc_u32_e32 v3, s13, v3
	v_ashrrev_i32_e32 v4, 31, v3
	v_lshlrev_b64 v[8:9], 2, v[3:4]
	v_add_co_u32 v8, vcc_lo, s3, v8
	v_add_co_ci_u32_e64 v9, null, s4, v9, vcc_lo
	global_load_dword v1, v[8:9], off
	s_waitcnt vmcnt(0)
	v_cmp_class_f16_e64 s66, v1, 0x204
	s_mov_b32 s67, exec_lo
	s_and_b32 s66, s67, s66
	v_writelane_b32 v10, s67, 4
	s_mov_b32 exec_lo, s66
	s_cbranch_execz .LBB53_168
; %bb.95:                               ;   in Loop: Header=BB53_4 Depth=1
	v_cmp_class_f16_sdwa s67, v1, v6 src0_sel:WORD_1 src1_sel:DWORD
	s_mov_b32 s66, 0
	s_and_saveexec_b32 s65, s67
	s_cbranch_execz .LBB53_167
; %bb.96:                               ;   in Loop: Header=BB53_4 Depth=1
	v_add_nc_u32_e32 v3, s13, v3
	s_mov_b32 s67, 0
	v_ashrrev_i32_e32 v4, 31, v3
	v_lshlrev_b64 v[8:9], 2, v[3:4]
	v_add_co_u32 v8, vcc_lo, s3, v8
	v_add_co_ci_u32_e64 v9, null, s4, v9, vcc_lo
	global_load_dword v1, v[8:9], off
	s_waitcnt vmcnt(0)
	v_cmp_class_f16_e64 s68, v1, 0x204
	s_and_saveexec_b32 s66, s68
	s_cbranch_execz .LBB53_166
; %bb.97:                               ;   in Loop: Header=BB53_4 Depth=1
	v_cmp_class_f16_sdwa s69, v1, v6 src0_sel:WORD_1 src1_sel:DWORD
	s_mov_b32 s68, 0
	s_and_saveexec_b32 s67, s69
	s_cbranch_execz .LBB53_165
; %bb.98:                               ;   in Loop: Header=BB53_4 Depth=1
	v_add_nc_u32_e32 v3, s13, v3
	s_mov_b32 s69, 0
	v_ashrrev_i32_e32 v4, 31, v3
	v_lshlrev_b64 v[8:9], 2, v[3:4]
	v_add_co_u32 v8, vcc_lo, s3, v8
	v_add_co_ci_u32_e64 v9, null, s4, v9, vcc_lo
	global_load_dword v1, v[8:9], off
	s_waitcnt vmcnt(0)
	v_cmp_class_f16_e64 s70, v1, 0x204
	s_and_saveexec_b32 s68, s70
	s_cbranch_execz .LBB53_164
; %bb.99:                               ;   in Loop: Header=BB53_4 Depth=1
	v_cmp_class_f16_sdwa s71, v1, v6 src0_sel:WORD_1 src1_sel:DWORD
	s_mov_b32 s70, 0
	s_and_saveexec_b32 s69, s71
	s_cbranch_execz .LBB53_163
; %bb.100:                              ;   in Loop: Header=BB53_4 Depth=1
	v_add_nc_u32_e32 v3, s13, v3
	s_mov_b32 s71, 0
	v_ashrrev_i32_e32 v4, 31, v3
	v_lshlrev_b64 v[8:9], 2, v[3:4]
	v_add_co_u32 v8, vcc_lo, s3, v8
	v_add_co_ci_u32_e64 v9, null, s4, v9, vcc_lo
	global_load_dword v1, v[8:9], off
	s_waitcnt vmcnt(0)
	v_cmp_class_f16_e64 s72, v1, 0x204
	s_and_saveexec_b32 s70, s72
	s_cbranch_execz .LBB53_162
; %bb.101:                              ;   in Loop: Header=BB53_4 Depth=1
	v_cmp_class_f16_sdwa s73, v1, v6 src0_sel:WORD_1 src1_sel:DWORD
	s_mov_b32 s72, 0
	s_and_saveexec_b32 s71, s73
	s_cbranch_execz .LBB53_161
; %bb.102:                              ;   in Loop: Header=BB53_4 Depth=1
	v_add_nc_u32_e32 v3, s13, v3
	s_mov_b32 s73, 0
	v_ashrrev_i32_e32 v4, 31, v3
	v_lshlrev_b64 v[8:9], 2, v[3:4]
	v_add_co_u32 v8, vcc_lo, s3, v8
	v_add_co_ci_u32_e64 v9, null, s4, v9, vcc_lo
	global_load_dword v1, v[8:9], off
	s_waitcnt vmcnt(0)
	v_cmp_class_f16_e64 s74, v1, 0x204
	s_and_saveexec_b32 s72, s74
	s_cbranch_execz .LBB53_160
; %bb.103:                              ;   in Loop: Header=BB53_4 Depth=1
	;; [unrolled: 17-line block ×15, first 2 shown]
	v_cmp_class_f16_sdwa s104, v1, v6 src0_sel:WORD_1 src1_sel:DWORD
	s_mov_b32 vcc_lo, 0
	s_and_saveexec_b32 s99, s104
	s_cbranch_execz .LBB53_133
; %bb.130:                              ;   in Loop: Header=BB53_4 Depth=1
	v_add_nc_u32_e32 v3, s13, v3
	v_ashrrev_i32_e32 v4, 31, v3
	v_lshlrev_b64 v[3:4], 2, v[3:4]
	v_add_co_u32 v3, vcc_lo, s3, v3
	v_add_co_ci_u32_e64 v4, null, s4, v4, vcc_lo
	s_mov_b32 vcc_lo, 0
	global_load_dword v1, v[3:4], off
	s_waitcnt vmcnt(0)
	v_cmp_class_f16_e64 vcc_hi, v1, 0x204
	s_and_saveexec_b32 s104, vcc_hi
; %bb.131:                              ;   in Loop: Header=BB53_4 Depth=1
	v_cmp_class_f16_sdwa vcc_hi, v1, v6 src0_sel:WORD_1 src1_sel:DWORD
	s_and_b32 vcc_lo, vcc_hi, exec_lo
; %bb.132:                              ;   in Loop: Header=BB53_4 Depth=1
	s_or_b32 exec_lo, exec_lo, s104
	s_and_b32 vcc_lo, vcc_lo, exec_lo
.LBB53_133:                             ;   in Loop: Header=BB53_4 Depth=1
	s_or_b32 exec_lo, exec_lo, s99
	s_and_b32 s99, vcc_lo, exec_lo
.LBB53_134:                             ;   in Loop: Header=BB53_4 Depth=1
	s_or_b32 exec_lo, exec_lo, s98
	s_and_b32 s98, s99, exec_lo
.LBB53_135:                             ;   in Loop: Header=BB53_4 Depth=1
	s_or_b32 exec_lo, exec_lo, s97
	s_and_b32 s97, s98, exec_lo
.LBB53_136:                             ;   in Loop: Header=BB53_4 Depth=1
	s_or_b32 exec_lo, exec_lo, s96
	s_and_b32 s96, s97, exec_lo
.LBB53_137:                             ;   in Loop: Header=BB53_4 Depth=1
	s_or_b32 exec_lo, exec_lo, s95
	s_and_b32 s95, s96, exec_lo
.LBB53_138:                             ;   in Loop: Header=BB53_4 Depth=1
	s_or_b32 exec_lo, exec_lo, s94
	s_and_b32 s94, s95, exec_lo
.LBB53_139:                             ;   in Loop: Header=BB53_4 Depth=1
	s_or_b32 exec_lo, exec_lo, s93
	s_and_b32 s93, s94, exec_lo
.LBB53_140:                             ;   in Loop: Header=BB53_4 Depth=1
	s_or_b32 exec_lo, exec_lo, s92
	s_and_b32 s92, s93, exec_lo
.LBB53_141:                             ;   in Loop: Header=BB53_4 Depth=1
	s_or_b32 exec_lo, exec_lo, s91
	s_and_b32 s91, s92, exec_lo
.LBB53_142:                             ;   in Loop: Header=BB53_4 Depth=1
	s_or_b32 exec_lo, exec_lo, s90
	s_and_b32 s90, s91, exec_lo
.LBB53_143:                             ;   in Loop: Header=BB53_4 Depth=1
	s_or_b32 exec_lo, exec_lo, s89
	s_and_b32 s89, s90, exec_lo
.LBB53_144:                             ;   in Loop: Header=BB53_4 Depth=1
	s_or_b32 exec_lo, exec_lo, s88
	s_and_b32 s88, s89, exec_lo
.LBB53_145:                             ;   in Loop: Header=BB53_4 Depth=1
	s_or_b32 exec_lo, exec_lo, s87
	s_and_b32 s87, s88, exec_lo
.LBB53_146:                             ;   in Loop: Header=BB53_4 Depth=1
	s_or_b32 exec_lo, exec_lo, s86
	s_and_b32 s86, s87, exec_lo
.LBB53_147:                             ;   in Loop: Header=BB53_4 Depth=1
	s_or_b32 exec_lo, exec_lo, s85
	s_and_b32 s85, s86, exec_lo
.LBB53_148:                             ;   in Loop: Header=BB53_4 Depth=1
	s_or_b32 exec_lo, exec_lo, s84
	s_and_b32 s84, s85, exec_lo
.LBB53_149:                             ;   in Loop: Header=BB53_4 Depth=1
	s_or_b32 exec_lo, exec_lo, s83
	s_and_b32 s83, s84, exec_lo
.LBB53_150:                             ;   in Loop: Header=BB53_4 Depth=1
	s_or_b32 exec_lo, exec_lo, s82
	s_and_b32 s82, s83, exec_lo
.LBB53_151:                             ;   in Loop: Header=BB53_4 Depth=1
	s_or_b32 exec_lo, exec_lo, s81
	s_and_b32 s81, s82, exec_lo
.LBB53_152:                             ;   in Loop: Header=BB53_4 Depth=1
	s_or_b32 exec_lo, exec_lo, s80
	s_and_b32 s80, s81, exec_lo
.LBB53_153:                             ;   in Loop: Header=BB53_4 Depth=1
	s_or_b32 exec_lo, exec_lo, s79
	s_and_b32 s79, s80, exec_lo
.LBB53_154:                             ;   in Loop: Header=BB53_4 Depth=1
	s_or_b32 exec_lo, exec_lo, s78
	s_and_b32 s78, s79, exec_lo
.LBB53_155:                             ;   in Loop: Header=BB53_4 Depth=1
	s_or_b32 exec_lo, exec_lo, s77
	s_and_b32 s77, s78, exec_lo
.LBB53_156:                             ;   in Loop: Header=BB53_4 Depth=1
	s_or_b32 exec_lo, exec_lo, s76
	s_and_b32 s76, s77, exec_lo
.LBB53_157:                             ;   in Loop: Header=BB53_4 Depth=1
	s_or_b32 exec_lo, exec_lo, s75
	s_and_b32 s75, s76, exec_lo
.LBB53_158:                             ;   in Loop: Header=BB53_4 Depth=1
	s_or_b32 exec_lo, exec_lo, s74
	s_and_b32 s74, s75, exec_lo
.LBB53_159:                             ;   in Loop: Header=BB53_4 Depth=1
	s_or_b32 exec_lo, exec_lo, s73
	s_and_b32 s73, s74, exec_lo
.LBB53_160:                             ;   in Loop: Header=BB53_4 Depth=1
	s_or_b32 exec_lo, exec_lo, s72
	s_and_b32 s72, s73, exec_lo
.LBB53_161:                             ;   in Loop: Header=BB53_4 Depth=1
	s_or_b32 exec_lo, exec_lo, s71
	s_and_b32 s71, s72, exec_lo
.LBB53_162:                             ;   in Loop: Header=BB53_4 Depth=1
	s_or_b32 exec_lo, exec_lo, s70
	s_and_b32 s70, s71, exec_lo
.LBB53_163:                             ;   in Loop: Header=BB53_4 Depth=1
	s_or_b32 exec_lo, exec_lo, s69
	s_and_b32 s69, s70, exec_lo
.LBB53_164:                             ;   in Loop: Header=BB53_4 Depth=1
	s_or_b32 exec_lo, exec_lo, s68
	s_and_b32 s68, s69, exec_lo
.LBB53_165:                             ;   in Loop: Header=BB53_4 Depth=1
	s_or_b32 exec_lo, exec_lo, s67
	s_and_b32 s67, s68, exec_lo
.LBB53_166:                             ;   in Loop: Header=BB53_4 Depth=1
	s_or_b32 exec_lo, exec_lo, s66
	s_and_b32 s66, s67, exec_lo
.LBB53_167:                             ;   in Loop: Header=BB53_4 Depth=1
	s_or_b32 exec_lo, exec_lo, s65
	s_and_b32 s65, s66, exec_lo
.LBB53_168:                             ;   in Loop: Header=BB53_4 Depth=1
	v_readlane_b32 s66, v10, 4
	s_or_b32 exec_lo, exec_lo, s66
	s_and_b32 s65, s65, exec_lo
.LBB53_169:                             ;   in Loop: Header=BB53_4 Depth=1
	v_readlane_b32 s66, v10, 3
	s_or_b32 exec_lo, exec_lo, s66
	s_and_b32 s65, s65, exec_lo
.LBB53_170:                             ;   in Loop: Header=BB53_4 Depth=1
	v_readlane_b32 s66, v10, 2
	s_or_b32 exec_lo, exec_lo, s66
	s_and_b32 s65, s65, exec_lo
.LBB53_171:                             ;   in Loop: Header=BB53_4 Depth=1
	v_readlane_b32 s66, v10, 1
	s_or_b32 exec_lo, exec_lo, s66
	s_and_b32 s65, s65, exec_lo
.LBB53_172:                             ;   in Loop: Header=BB53_4 Depth=1
	v_readlane_b32 s66, v10, 0
	s_or_b32 exec_lo, exec_lo, s66
	s_and_b32 s65, s65, exec_lo
.LBB53_173:                             ;   in Loop: Header=BB53_4 Depth=1
	v_readlane_b32 s66, v11, 31
	s_or_b32 exec_lo, exec_lo, s66
	s_and_b32 s65, s65, exec_lo
.LBB53_174:                             ;   in Loop: Header=BB53_4 Depth=1
	v_readlane_b32 s66, v11, 30
	s_or_b32 exec_lo, exec_lo, s66
	s_and_b32 s65, s65, exec_lo
.LBB53_175:                             ;   in Loop: Header=BB53_4 Depth=1
	v_readlane_b32 s66, v11, 29
	s_or_b32 exec_lo, exec_lo, s66
	s_and_b32 s65, s65, exec_lo
.LBB53_176:                             ;   in Loop: Header=BB53_4 Depth=1
	v_readlane_b32 s66, v11, 28
	s_or_b32 exec_lo, exec_lo, s66
	s_and_b32 s65, s65, exec_lo
.LBB53_177:                             ;   in Loop: Header=BB53_4 Depth=1
	v_readlane_b32 s66, v11, 27
	s_or_b32 exec_lo, exec_lo, s66
	s_and_b32 s65, s65, exec_lo
.LBB53_178:                             ;   in Loop: Header=BB53_4 Depth=1
	v_readlane_b32 s66, v11, 26
	s_or_b32 exec_lo, exec_lo, s66
	s_and_b32 s65, s65, exec_lo
.LBB53_179:                             ;   in Loop: Header=BB53_4 Depth=1
	v_readlane_b32 s66, v11, 25
	s_or_b32 exec_lo, exec_lo, s66
	s_and_b32 s65, s65, exec_lo
.LBB53_180:                             ;   in Loop: Header=BB53_4 Depth=1
	v_readlane_b32 s66, v11, 24
	s_or_b32 exec_lo, exec_lo, s66
	s_and_b32 s65, s65, exec_lo
.LBB53_181:                             ;   in Loop: Header=BB53_4 Depth=1
	v_readlane_b32 s66, v11, 23
	s_or_b32 exec_lo, exec_lo, s66
	s_and_b32 s65, s65, exec_lo
.LBB53_182:                             ;   in Loop: Header=BB53_4 Depth=1
	v_readlane_b32 s66, v11, 22
	s_or_b32 exec_lo, exec_lo, s66
	s_and_b32 s65, s65, exec_lo
.LBB53_183:                             ;   in Loop: Header=BB53_4 Depth=1
	v_readlane_b32 s66, v11, 21
	s_or_b32 exec_lo, exec_lo, s66
	s_and_b32 s65, s65, exec_lo
.LBB53_184:                             ;   in Loop: Header=BB53_4 Depth=1
	v_readlane_b32 s66, v11, 20
	s_or_b32 exec_lo, exec_lo, s66
	s_and_b32 s65, s65, exec_lo
.LBB53_185:                             ;   in Loop: Header=BB53_4 Depth=1
	v_readlane_b32 s66, v11, 19
	s_or_b32 exec_lo, exec_lo, s66
	s_and_b32 s65, s65, exec_lo
.LBB53_186:                             ;   in Loop: Header=BB53_4 Depth=1
	v_readlane_b32 s66, v11, 18
	s_or_b32 exec_lo, exec_lo, s66
	s_and_b32 s65, s65, exec_lo
.LBB53_187:                             ;   in Loop: Header=BB53_4 Depth=1
	v_readlane_b32 s66, v11, 17
	s_or_b32 exec_lo, exec_lo, s66
	s_and_b32 s65, s65, exec_lo
.LBB53_188:                             ;   in Loop: Header=BB53_4 Depth=1
	v_readlane_b32 s66, v11, 16
	s_or_b32 exec_lo, exec_lo, s66
	s_and_b32 s65, s65, exec_lo
.LBB53_189:                             ;   in Loop: Header=BB53_4 Depth=1
	v_readlane_b32 s66, v11, 15
	s_or_b32 exec_lo, exec_lo, s66
	s_and_b32 s65, s65, exec_lo
.LBB53_190:                             ;   in Loop: Header=BB53_4 Depth=1
	v_readlane_b32 s66, v11, 14
	s_or_b32 exec_lo, exec_lo, s66
	s_and_b32 s65, s65, exec_lo
.LBB53_191:                             ;   in Loop: Header=BB53_4 Depth=1
	v_readlane_b32 s66, v11, 13
	s_or_b32 exec_lo, exec_lo, s66
	s_and_b32 s65, s65, exec_lo
.LBB53_192:                             ;   in Loop: Header=BB53_4 Depth=1
	v_readlane_b32 s66, v11, 12
	s_or_b32 exec_lo, exec_lo, s66
	s_and_b32 s65, s65, exec_lo
.LBB53_193:                             ;   in Loop: Header=BB53_4 Depth=1
	v_readlane_b32 s66, v11, 11
	s_or_b32 exec_lo, exec_lo, s66
	s_and_b32 s65, s65, exec_lo
.LBB53_194:                             ;   in Loop: Header=BB53_4 Depth=1
	v_readlane_b32 s66, v11, 10
	s_or_b32 exec_lo, exec_lo, s66
	s_and_b32 s65, s65, exec_lo
.LBB53_195:                             ;   in Loop: Header=BB53_4 Depth=1
	v_readlane_b32 s66, v11, 9
	s_or_b32 exec_lo, exec_lo, s66
	s_and_b32 s65, s65, exec_lo
.LBB53_196:                             ;   in Loop: Header=BB53_4 Depth=1
	v_readlane_b32 s66, v11, 8
	s_or_b32 exec_lo, exec_lo, s66
	s_and_b32 s65, s65, exec_lo
.LBB53_197:                             ;   in Loop: Header=BB53_4 Depth=1
	v_readlane_b32 s66, v11, 7
	s_or_b32 exec_lo, exec_lo, s66
	s_and_b32 s65, s65, exec_lo
.LBB53_198:                             ;   in Loop: Header=BB53_4 Depth=1
	v_readlane_b32 s66, v11, 6
	s_or_b32 exec_lo, exec_lo, s66
	s_and_b32 s65, s65, exec_lo
.LBB53_199:                             ;   in Loop: Header=BB53_4 Depth=1
	v_readlane_b32 s66, v11, 5
	s_or_b32 exec_lo, exec_lo, s66
	s_and_b32 s65, s65, exec_lo
.LBB53_200:                             ;   in Loop: Header=BB53_4 Depth=1
	v_readlane_b32 s66, v11, 4
	s_or_b32 exec_lo, exec_lo, s66
	s_and_b32 s65, s65, exec_lo
.LBB53_201:                             ;   in Loop: Header=BB53_4 Depth=1
	v_readlane_b32 s66, v11, 3
	s_or_b32 exec_lo, exec_lo, s66
	s_and_b32 s65, s65, exec_lo
.LBB53_202:                             ;   in Loop: Header=BB53_4 Depth=1
	v_readlane_b32 s66, v11, 2
	s_or_b32 exec_lo, exec_lo, s66
	s_and_b32 s65, s65, exec_lo
.LBB53_203:                             ;   in Loop: Header=BB53_4 Depth=1
	v_readlane_b32 s66, v11, 1
	s_or_b32 exec_lo, exec_lo, s66
	s_and_b32 s65, s65, exec_lo
.LBB53_204:                             ;   in Loop: Header=BB53_4 Depth=1
	v_readlane_b32 s66, v11, 0
	s_or_b32 exec_lo, exec_lo, s66
	s_and_b32 s65, s65, exec_lo
.LBB53_205:                             ;   in Loop: Header=BB53_4 Depth=1
	s_or_b32 exec_lo, exec_lo, s64
	s_and_b32 s64, s65, exec_lo
.LBB53_206:                             ;   in Loop: Header=BB53_4 Depth=1
	s_or_b32 exec_lo, exec_lo, s63
	s_and_b32 s63, s64, exec_lo
.LBB53_207:                             ;   in Loop: Header=BB53_4 Depth=1
	s_or_b32 exec_lo, exec_lo, s62
	s_and_b32 s62, s63, exec_lo
.LBB53_208:                             ;   in Loop: Header=BB53_4 Depth=1
	s_or_b32 exec_lo, exec_lo, s61
	s_and_b32 s61, s62, exec_lo
.LBB53_209:                             ;   in Loop: Header=BB53_4 Depth=1
	s_or_b32 exec_lo, exec_lo, s60
	s_and_b32 s60, s61, exec_lo
.LBB53_210:                             ;   in Loop: Header=BB53_4 Depth=1
	s_or_b32 exec_lo, exec_lo, s59
	s_and_b32 s59, s60, exec_lo
.LBB53_211:                             ;   in Loop: Header=BB53_4 Depth=1
	s_or_b32 exec_lo, exec_lo, s58
	s_and_b32 s58, s59, exec_lo
.LBB53_212:                             ;   in Loop: Header=BB53_4 Depth=1
	s_or_b32 exec_lo, exec_lo, s57
	s_and_b32 s57, s58, exec_lo
.LBB53_213:                             ;   in Loop: Header=BB53_4 Depth=1
	s_or_b32 exec_lo, exec_lo, s56
	s_and_b32 s56, s57, exec_lo
.LBB53_214:                             ;   in Loop: Header=BB53_4 Depth=1
	s_or_b32 exec_lo, exec_lo, s55
	s_and_b32 s55, s56, exec_lo
.LBB53_215:                             ;   in Loop: Header=BB53_4 Depth=1
	s_or_b32 exec_lo, exec_lo, s54
	s_and_b32 s54, s55, exec_lo
.LBB53_216:                             ;   in Loop: Header=BB53_4 Depth=1
	s_or_b32 exec_lo, exec_lo, s53
	s_and_b32 s53, s54, exec_lo
.LBB53_217:                             ;   in Loop: Header=BB53_4 Depth=1
	s_or_b32 exec_lo, exec_lo, s52
	s_and_b32 s52, s53, exec_lo
.LBB53_218:                             ;   in Loop: Header=BB53_4 Depth=1
	s_or_b32 exec_lo, exec_lo, s51
	s_and_b32 s51, s52, exec_lo
.LBB53_219:                             ;   in Loop: Header=BB53_4 Depth=1
	s_or_b32 exec_lo, exec_lo, s50
	s_and_b32 s50, s51, exec_lo
.LBB53_220:                             ;   in Loop: Header=BB53_4 Depth=1
	s_or_b32 exec_lo, exec_lo, s49
	s_and_b32 s49, s50, exec_lo
.LBB53_221:                             ;   in Loop: Header=BB53_4 Depth=1
	s_or_b32 exec_lo, exec_lo, s48
	s_and_b32 s48, s49, exec_lo
.LBB53_222:                             ;   in Loop: Header=BB53_4 Depth=1
	s_or_b32 exec_lo, exec_lo, s47
	s_and_b32 s47, s48, exec_lo
.LBB53_223:                             ;   in Loop: Header=BB53_4 Depth=1
	s_or_b32 exec_lo, exec_lo, s46
	s_and_b32 s46, s47, exec_lo
.LBB53_224:                             ;   in Loop: Header=BB53_4 Depth=1
	s_or_b32 exec_lo, exec_lo, s45
	s_and_b32 s45, s46, exec_lo
.LBB53_225:                             ;   in Loop: Header=BB53_4 Depth=1
	s_or_b32 exec_lo, exec_lo, s44
	s_and_b32 s44, s45, exec_lo
.LBB53_226:                             ;   in Loop: Header=BB53_4 Depth=1
	s_or_b32 exec_lo, exec_lo, s43
	s_and_b32 s43, s44, exec_lo
.LBB53_227:                             ;   in Loop: Header=BB53_4 Depth=1
	s_or_b32 exec_lo, exec_lo, s42
	s_and_b32 s42, s43, exec_lo
.LBB53_228:                             ;   in Loop: Header=BB53_4 Depth=1
	s_or_b32 exec_lo, exec_lo, s41
	s_and_b32 s41, s42, exec_lo
.LBB53_229:                             ;   in Loop: Header=BB53_4 Depth=1
	s_or_b32 exec_lo, exec_lo, s40
	s_and_b32 s40, s41, exec_lo
.LBB53_230:                             ;   in Loop: Header=BB53_4 Depth=1
	s_or_b32 exec_lo, exec_lo, s39
	s_and_b32 s39, s40, exec_lo
.LBB53_231:                             ;   in Loop: Header=BB53_4 Depth=1
	s_or_b32 exec_lo, exec_lo, s38
	s_and_b32 s38, s39, exec_lo
.LBB53_232:                             ;   in Loop: Header=BB53_4 Depth=1
	s_or_b32 exec_lo, exec_lo, s37
	s_and_b32 s37, s38, exec_lo
.LBB53_233:                             ;   in Loop: Header=BB53_4 Depth=1
	s_or_b32 exec_lo, exec_lo, s36
	s_and_b32 s36, s37, exec_lo
.LBB53_234:                             ;   in Loop: Header=BB53_4 Depth=1
	s_or_b32 exec_lo, exec_lo, s35
	s_and_b32 s35, s36, exec_lo
.LBB53_235:                             ;   in Loop: Header=BB53_4 Depth=1
	s_or_b32 exec_lo, exec_lo, s34
	s_and_b32 s34, s35, exec_lo
.LBB53_236:                             ;   in Loop: Header=BB53_4 Depth=1
	s_or_b32 exec_lo, exec_lo, s33
	s_and_b32 s33, s34, exec_lo
.LBB53_237:                             ;   in Loop: Header=BB53_4 Depth=1
	s_or_b32 exec_lo, exec_lo, s31
	s_and_b32 s31, s33, exec_lo
.LBB53_238:                             ;   in Loop: Header=BB53_4 Depth=1
	s_or_b32 exec_lo, exec_lo, s30
	s_and_b32 s30, s31, exec_lo
.LBB53_239:                             ;   in Loop: Header=BB53_4 Depth=1
	s_or_b32 exec_lo, exec_lo, s29
	s_and_b32 s29, s30, exec_lo
.LBB53_240:                             ;   in Loop: Header=BB53_4 Depth=1
	s_or_b32 exec_lo, exec_lo, s28
	s_and_b32 s28, s29, exec_lo
.LBB53_241:                             ;   in Loop: Header=BB53_4 Depth=1
	s_or_b32 exec_lo, exec_lo, s27
	s_and_b32 s27, s28, exec_lo
.LBB53_242:                             ;   in Loop: Header=BB53_4 Depth=1
	s_or_b32 exec_lo, exec_lo, s26
	s_and_b32 s26, s27, exec_lo
.LBB53_243:                             ;   in Loop: Header=BB53_4 Depth=1
	s_or_b32 exec_lo, exec_lo, s25
	s_and_b32 s25, s26, exec_lo
.LBB53_244:                             ;   in Loop: Header=BB53_4 Depth=1
	s_or_b32 exec_lo, exec_lo, s24
	s_and_b32 s24, s25, exec_lo
.LBB53_245:                             ;   in Loop: Header=BB53_4 Depth=1
	s_or_b32 exec_lo, exec_lo, s23
	s_and_b32 s23, s24, exec_lo
.LBB53_246:                             ;   in Loop: Header=BB53_4 Depth=1
	s_or_b32 exec_lo, exec_lo, s22
	s_and_b32 s22, s23, exec_lo
.LBB53_247:                             ;   in Loop: Header=BB53_4 Depth=1
	s_or_b32 exec_lo, exec_lo, s21
	s_and_b32 s21, s22, exec_lo
.LBB53_248:                             ;   in Loop: Header=BB53_4 Depth=1
	s_or_b32 exec_lo, exec_lo, s20
	s_and_b32 s20, s21, exec_lo
.LBB53_249:                             ;   in Loop: Header=BB53_4 Depth=1
	s_or_b32 exec_lo, exec_lo, s19
	s_and_b32 s19, s20, exec_lo
.LBB53_250:                             ;   in Loop: Header=BB53_4 Depth=1
	s_or_b32 exec_lo, exec_lo, s18
	s_and_b32 s18, s19, exec_lo
.LBB53_251:                             ;   in Loop: Header=BB53_4 Depth=1
	s_or_b32 exec_lo, exec_lo, s17
	s_and_b32 s17, s18, exec_lo
.LBB53_252:                             ;   in Loop: Header=BB53_4 Depth=1
	s_or_b32 exec_lo, exec_lo, s16
	s_and_b32 s16, s17, exec_lo
.LBB53_253:                             ;   in Loop: Header=BB53_4 Depth=1
	s_or_b32 exec_lo, exec_lo, s15
	s_and_b32 s15, s16, exec_lo
.LBB53_254:                             ;   in Loop: Header=BB53_4 Depth=1
	s_or_b32 exec_lo, exec_lo, s14
	s_and_b32 s14, s15, exec_lo
.LBB53_255:                             ;   in Loop: Header=BB53_4 Depth=1
	s_or_b32 exec_lo, exec_lo, s12
	s_and_b32 s12, s14, exec_lo
.LBB53_256:                             ;   in Loop: Header=BB53_4 Depth=1
	s_or_b32 exec_lo, exec_lo, s9
	s_and_b32 s9, s12, exec_lo
.LBB53_257:                             ;   in Loop: Header=BB53_4 Depth=1
	s_or_b32 exec_lo, exec_lo, s8
	v_cndmask_b32_e64 v1, 0, 1, s9
	s_mov_b32 s12, exec_lo
	v_cmp_ne_u32_e32 vcc_lo, 0, v1
	s_and_saveexec_b32 s8, s0
	s_cbranch_execz .LBB53_3
; %bb.258:                              ;   in Loop: Header=BB53_4 Depth=1
	s_cmp_eq_u32 vcc_lo, s12
	s_cselect_b32 s9, -1, 0
	v_cndmask_b32_e64 v1, 0, 1, s9
	ds_write_b32 v5, v1
	s_branch .LBB53_3
.LBB53_259:                             ;   in Loop: Header=BB53_4 Depth=1
	s_cbranch_execz .LBB53_4
.LBB53_260:
	s_mov_b32 s0, exec_lo
	v_cmpx_eq_u32_e32 0, v0
	s_cbranch_execz .LBB53_262
; %bb.261:
	s_mul_i32 s0, s1, s7
	v_mov_b32_e32 v0, 0
	s_add_i32 s0, s0, s6
	v_mov_b32_e32 v1, s2
	s_ashr_i32 s1, s0, 31
	s_lshl_b64 s[0:1], s[0:1], 2
	s_add_u32 s0, s10, s0
	s_addc_u32 s1, s11, s1
	global_store_dword v0, v1, s[0:1]
.LBB53_262:
	s_endpgm
	.section	.rodata,"a",@progbits
	.p2align	6, 0x0
	.amdhsa_kernel _ZL25flash_attn_mask_to_KV_maxILi64EEvPK7__half2Piiii
		.amdhsa_group_segment_fixed_size 128
		.amdhsa_private_segment_fixed_size 0
		.amdhsa_kernarg_size 288
		.amdhsa_user_sgpr_count 6
		.amdhsa_user_sgpr_private_segment_buffer 1
		.amdhsa_user_sgpr_dispatch_ptr 0
		.amdhsa_user_sgpr_queue_ptr 0
		.amdhsa_user_sgpr_kernarg_segment_ptr 1
		.amdhsa_user_sgpr_dispatch_id 0
		.amdhsa_user_sgpr_flat_scratch_init 0
		.amdhsa_user_sgpr_private_segment_size 0
		.amdhsa_wavefront_size32 1
		.amdhsa_uses_dynamic_stack 0
		.amdhsa_system_sgpr_private_segment_wavefront_offset 0
		.amdhsa_system_sgpr_workgroup_id_x 1
		.amdhsa_system_sgpr_workgroup_id_y 1
		.amdhsa_system_sgpr_workgroup_id_z 0
		.amdhsa_system_sgpr_workgroup_info 0
		.amdhsa_system_vgpr_workitem_id 0
		.amdhsa_next_free_vgpr 12
		.amdhsa_next_free_sgpr 105
		.amdhsa_reserve_vcc 1
		.amdhsa_reserve_flat_scratch 0
		.amdhsa_float_round_mode_32 0
		.amdhsa_float_round_mode_16_64 0
		.amdhsa_float_denorm_mode_32 3
		.amdhsa_float_denorm_mode_16_64 3
		.amdhsa_dx10_clamp 1
		.amdhsa_ieee_mode 1
		.amdhsa_fp16_overflow 0
		.amdhsa_workgroup_processor_mode 1
		.amdhsa_memory_ordered 1
		.amdhsa_forward_progress 1
		.amdhsa_shared_vgpr_count 0
		.amdhsa_exception_fp_ieee_invalid_op 0
		.amdhsa_exception_fp_denorm_src 0
		.amdhsa_exception_fp_ieee_div_zero 0
		.amdhsa_exception_fp_ieee_overflow 0
		.amdhsa_exception_fp_ieee_underflow 0
		.amdhsa_exception_fp_ieee_inexact 0
		.amdhsa_exception_int_div_zero 0
	.end_amdhsa_kernel
	.section	.text._ZL25flash_attn_mask_to_KV_maxILi64EEvPK7__half2Piiii,"axG",@progbits,_ZL25flash_attn_mask_to_KV_maxILi64EEvPK7__half2Piiii,comdat
.Lfunc_end53:
	.size	_ZL25flash_attn_mask_to_KV_maxILi64EEvPK7__half2Piiii, .Lfunc_end53-_ZL25flash_attn_mask_to_KV_maxILi64EEvPK7__half2Piiii
                                        ; -- End function
	.set _ZL25flash_attn_mask_to_KV_maxILi64EEvPK7__half2Piiii.num_vgpr, 12
	.set _ZL25flash_attn_mask_to_KV_maxILi64EEvPK7__half2Piiii.num_agpr, 0
	.set _ZL25flash_attn_mask_to_KV_maxILi64EEvPK7__half2Piiii.numbered_sgpr, 105
	.set _ZL25flash_attn_mask_to_KV_maxILi64EEvPK7__half2Piiii.num_named_barrier, 0
	.set _ZL25flash_attn_mask_to_KV_maxILi64EEvPK7__half2Piiii.private_seg_size, 0
	.set _ZL25flash_attn_mask_to_KV_maxILi64EEvPK7__half2Piiii.uses_vcc, 1
	.set _ZL25flash_attn_mask_to_KV_maxILi64EEvPK7__half2Piiii.uses_flat_scratch, 0
	.set _ZL25flash_attn_mask_to_KV_maxILi64EEvPK7__half2Piiii.has_dyn_sized_stack, 0
	.set _ZL25flash_attn_mask_to_KV_maxILi64EEvPK7__half2Piiii.has_recursion, 0
	.set _ZL25flash_attn_mask_to_KV_maxILi64EEvPK7__half2Piiii.has_indirect_call, 0
	.section	.AMDGPU.csdata,"",@progbits
; Kernel info:
; codeLenInByte = 7692
; TotalNumSgprs: 107
; NumVgprs: 12
; ScratchSize: 0
; MemoryBound: 0
; FloatMode: 240
; IeeeMode: 1
; LDSByteSize: 128 bytes/workgroup (compile time only)
; SGPRBlocks: 0
; VGPRBlocks: 1
; NumSGPRsForWavesPerEU: 107
; NumVGPRsForWavesPerEU: 12
; Occupancy: 16
; WaveLimiterHint : 0
; COMPUTE_PGM_RSRC2:SCRATCH_EN: 0
; COMPUTE_PGM_RSRC2:USER_SGPR: 6
; COMPUTE_PGM_RSRC2:TRAP_HANDLER: 0
; COMPUTE_PGM_RSRC2:TGID_X_EN: 1
; COMPUTE_PGM_RSRC2:TGID_Y_EN: 1
; COMPUTE_PGM_RSRC2:TGID_Z_EN: 0
; COMPUTE_PGM_RSRC2:TIDIG_COMP_CNT: 0
	.section	.text._ZL33flash_attn_stream_k_fixup_uniformILi112ELi64ELi1EEvPfPK15HIP_vector_typeIfLj2EEiiiiiiS1_IjLj3EES5_S5_,"axG",@progbits,_ZL33flash_attn_stream_k_fixup_uniformILi112ELi64ELi1EEvPfPK15HIP_vector_typeIfLj2EEiiiiiiS1_IjLj3EES5_S5_,comdat
	.globl	_ZL33flash_attn_stream_k_fixup_uniformILi112ELi64ELi1EEvPfPK15HIP_vector_typeIfLj2EEiiiiiiS1_IjLj3EES5_S5_ ; -- Begin function _ZL33flash_attn_stream_k_fixup_uniformILi112ELi64ELi1EEvPfPK15HIP_vector_typeIfLj2EEiiiiiiS1_IjLj3EES5_S5_
	.p2align	8
	.type	_ZL33flash_attn_stream_k_fixup_uniformILi112ELi64ELi1EEvPfPK15HIP_vector_typeIfLj2EEiiiiiiS1_IjLj3EES5_S5_,@function
_ZL33flash_attn_stream_k_fixup_uniformILi112ELi64ELi1EEvPfPK15HIP_vector_typeIfLj2EEiiiiiiS1_IjLj3EES5_S5_: ; @_ZL33flash_attn_stream_k_fixup_uniformILi112ELi64ELi1EEvPfPK15HIP_vector_typeIfLj2EEiiiiiiS1_IjLj3EES5_S5_
; %bb.0:
	s_clause 0x1
	s_load_dwordx8 s[12:19], s[4:5], 0x1c
	s_load_dwordx4 s[20:23], s[4:5], 0x3c
	s_waitcnt lgkmcnt(0)
	s_mul_hi_u32 s0, s15, s6
	s_add_i32 s0, s6, s0
	s_lshr_b32 s2, s0, s16
	s_mul_i32 s0, s2, s17
	s_sub_i32 s9, s6, s0
	s_mul_hi_u32 s0, s9, s18
	s_add_i32 s3, s9, s0
	s_load_dwordx2 s[0:1], s[4:5], 0x10
	s_lshr_b32 s3, s3, s19
	s_mul_i32 s10, s3, s20
	s_sub_i32 s9, s9, s10
	s_mul_hi_u32 s10, s9, s21
	s_add_i32 s10, s9, s10
	s_lshr_b32 s11, s10, s22
	s_mul_i32 s10, s11, s23
	s_sub_i32 s10, s9, s10
	s_lshl_b32 s9, s10, 6
	s_add_i32 s9, s9, s7
	s_waitcnt lgkmcnt(0)
	s_cmp_lt_i32 s9, s0
	s_cselect_b32 s15, -1, 0
	s_add_i32 s9, s11, s8
	s_cmp_lt_i32 s9, s13
	s_cselect_b32 s11, -1, 0
	s_and_b32 s11, s15, s11
	s_andn2_b32 vcc_lo, exec_lo, s11
	s_cbranch_vccnz .LBB54_6
; %bb.1:
	s_mul_i32 s0, s2, s0
	s_mul_i32 s2, s1, s10
	;; [unrolled: 1-line block ×3, first 2 shown]
	s_mulk_i32 s2, 0x1c00
	s_add_i32 s0, s0, s7
	v_or_b32_e32 v1, s2, v0
	s_mul_i32 s10, s0, s1
	s_add_i32 s9, s9, s3
	s_load_dwordx4 s[0:3], s[4:5], 0x0
	s_add_i32 s9, s9, s10
	s_mul_i32 s4, s14, s6
	v_mad_u64_u32 v[1:2], null, 0x70, s9, v[1:2]
	s_add_i32 s9, s4, s14
	s_add_i32 s8, s7, s8
	v_ashrrev_i32_e32 v2, 31, v1
	v_lshlrev_b64 v[1:2], 2, v[1:2]
	s_waitcnt lgkmcnt(0)
	v_add_co_u32 v1, vcc_lo, s0, v1
	v_add_co_ci_u32_e64 v2, null, s1, v2, vcc_lo
	s_lshl_b32 s0, s9, 6
	s_add_i32 s0, s8, s0
	global_load_dword v5, v[1:2], off
	s_sub_i32 s0, s0, 64
	s_ashr_i32 s1, s0, 31
	s_lshl_b64 s[0:1], s[0:1], 3
	s_add_u32 s0, s2, s0
	s_addc_u32 s1, s3, s1
	s_add_i32 s5, s9, -2
	s_load_dword s10, s[0:1], 0x4
	s_cmp_lt_i32 s5, s4
	s_cbranch_scc1 .LBB54_4
; %bb.2:
	s_load_dword s11, s[0:1], 0x0
	s_lshl_b32 s0, s12, 8
	s_waitcnt lgkmcnt(0)
	v_mov_b32_e32 v6, s10
	s_ashr_i32 s1, s0, 31
	s_lshl_b64 s[0:1], s[0:1], 2
	s_add_u32 s5, s2, s0
	s_addc_u32 s7, s3, s1
	s_add_i32 s6, s6, 1
	s_mul_i32 s1, s8, 0x70
	s_mul_i32 s0, s14, s6
	s_lshl_b32 s6, s0, 6
	s_mulk_i32 s0, 0x1c00
	s_add_i32 s6, s8, s6
	s_add_i32 s1, s1, s0
	s_lshl_b32 s0, s12, 6
	v_add3_u32 v3, s1, v0, 0xffffc800
	s_add_i32 s0, s6, s0
	v_mov_b32_e32 v0, s11
	s_add_i32 s6, s9, -1
	s_addk_i32 s0, 0xff80
.LBB54_3:                               ; =>This Inner Loop Header: Depth=1
	v_ashrrev_i32_e32 v4, 31, v3
	s_ashr_i32 s1, s0, 31
	s_lshl_b64 s[8:9], s[0:1], 3
	s_add_u32 s8, s2, s8
	v_lshlrev_b64 v[7:8], 2, v[3:4]
	s_addc_u32 s9, s3, s9
	v_add_nc_u32_e32 v3, 0xffffe400, v3
	s_add_i32 s6, s6, -1
	s_sub_i32 s0, s0, 64
	s_cmp_le_i32 s6, s4
	v_add_co_u32 v7, vcc_lo, s5, v7
	v_add_co_ci_u32_e64 v8, null, s7, v8, vcc_lo
	s_load_dwordx2 s[8:9], s[8:9], 0x0
	global_load_dword v4, v[7:8], off
	v_max_f32_e32 v7, v0, v0
	s_waitcnt lgkmcnt(0)
	v_max_f32_e64 v8, s8, s8
	v_max_f32_e32 v7, v7, v8
	v_sub_f32_e32 v8, s8, v7
	v_sub_f32_e32 v0, v0, v7
	v_mul_f32_e32 v9, 0x3fb8aa3b, v8
	v_mul_f32_e32 v12, 0x3fb8aa3b, v0
	v_cmp_ngt_f32_e32 vcc_lo, 0xc2ce8ed0, v8
	v_fma_f32 v10, 0x3fb8aa3b, v8, -v9
	v_rndne_f32_e32 v11, v9
	v_fma_f32 v13, 0x3fb8aa3b, v0, -v12
	v_rndne_f32_e32 v14, v12
	v_fmac_f32_e32 v10, 0x32a5705f, v8
	v_sub_f32_e32 v9, v9, v11
	v_fmac_f32_e32 v13, 0x32a5705f, v0
	v_cvt_i32_f32_e32 v11, v11
	v_add_f32_e32 v9, v9, v10
	v_sub_f32_e32 v10, v12, v14
	v_exp_f32_e32 v9, v9
	v_add_f32_e32 v10, v10, v13
	v_exp_f32_e32 v10, v10
	v_ldexp_f32 v9, v9, v11
	v_cvt_i32_f32_e32 v11, v14
	v_cndmask_b32_e32 v9, 0, v9, vcc_lo
	v_cmp_nlt_f32_e32 vcc_lo, 0x42b17218, v8
	v_ldexp_f32 v10, v10, v11
	v_mov_b32_e32 v11, v6
	v_cndmask_b32_e32 v9, 0x7f800000, v9, vcc_lo
	v_cmp_ngt_f32_e32 vcc_lo, 0xc2ce8ed0, v0
	v_cndmask_b32_e32 v10, 0, v10, vcc_lo
	v_cmp_le_f32_e32 vcc_lo, 0xc1a00000, v8
	v_cndmask_b32_e32 v8, 0, v9, vcc_lo
	v_cmp_nlt_f32_e32 vcc_lo, 0x42b17218, v0
	s_waitcnt vmcnt(1)
	v_mov_b32_e32 v9, v5
	v_cndmask_b32_e32 v5, 0x7f800000, v10, vcc_lo
	v_mul_f32_e32 v10, s9, v8
	v_cmp_le_f32_e32 vcc_lo, 0xc1a00000, v0
	v_mov_b32_e32 v0, v7
	v_mov_b32_e32 v6, v10
	v_cndmask_b32_e32 v12, 0, v5, vcc_lo
	v_fmac_f32_e32 v6, v11, v12
	s_waitcnt vmcnt(0)
	v_mul_f32_e32 v5, v4, v8
	v_fmac_f32_e32 v5, v9, v12
	s_cbranch_scc0 .LBB54_3
	s_branch .LBB54_5
.LBB54_4:
	s_waitcnt lgkmcnt(0)
	v_mov_b32_e32 v6, s10
.LBB54_5:
	s_waitcnt vmcnt(0)
	v_div_scale_f32 v0, null, v6, v6, v5
	v_rcp_f32_e32 v3, v0
	v_fma_f32 v4, -v0, v3, 1.0
	v_fmac_f32_e32 v3, v4, v3
	v_div_scale_f32 v4, vcc_lo, v5, v6, v5
	v_mul_f32_e32 v7, v4, v3
	v_fma_f32 v8, -v0, v7, v4
	v_fmac_f32_e32 v7, v8, v3
	v_fma_f32 v0, -v0, v7, v4
	v_div_fmas_f32 v0, v0, v3, v7
	v_div_fixup_f32 v0, v0, v6, v5
	global_store_dword v[1:2], v0, off
.LBB54_6:
	s_endpgm
	.section	.rodata,"a",@progbits
	.p2align	6, 0x0
	.amdhsa_kernel _ZL33flash_attn_stream_k_fixup_uniformILi112ELi64ELi1EEvPfPK15HIP_vector_typeIfLj2EEiiiiiiS1_IjLj3EES5_S5_
		.amdhsa_group_segment_fixed_size 0
		.amdhsa_private_segment_fixed_size 0
		.amdhsa_kernarg_size 76
		.amdhsa_user_sgpr_count 6
		.amdhsa_user_sgpr_private_segment_buffer 1
		.amdhsa_user_sgpr_dispatch_ptr 0
		.amdhsa_user_sgpr_queue_ptr 0
		.amdhsa_user_sgpr_kernarg_segment_ptr 1
		.amdhsa_user_sgpr_dispatch_id 0
		.amdhsa_user_sgpr_flat_scratch_init 0
		.amdhsa_user_sgpr_private_segment_size 0
		.amdhsa_wavefront_size32 1
		.amdhsa_uses_dynamic_stack 0
		.amdhsa_system_sgpr_private_segment_wavefront_offset 0
		.amdhsa_system_sgpr_workgroup_id_x 1
		.amdhsa_system_sgpr_workgroup_id_y 1
		.amdhsa_system_sgpr_workgroup_id_z 1
		.amdhsa_system_sgpr_workgroup_info 0
		.amdhsa_system_vgpr_workitem_id 0
		.amdhsa_next_free_vgpr 15
		.amdhsa_next_free_sgpr 24
		.amdhsa_reserve_vcc 1
		.amdhsa_reserve_flat_scratch 0
		.amdhsa_float_round_mode_32 0
		.amdhsa_float_round_mode_16_64 0
		.amdhsa_float_denorm_mode_32 3
		.amdhsa_float_denorm_mode_16_64 3
		.amdhsa_dx10_clamp 1
		.amdhsa_ieee_mode 1
		.amdhsa_fp16_overflow 0
		.amdhsa_workgroup_processor_mode 1
		.amdhsa_memory_ordered 1
		.amdhsa_forward_progress 1
		.amdhsa_shared_vgpr_count 0
		.amdhsa_exception_fp_ieee_invalid_op 0
		.amdhsa_exception_fp_denorm_src 0
		.amdhsa_exception_fp_ieee_div_zero 0
		.amdhsa_exception_fp_ieee_overflow 0
		.amdhsa_exception_fp_ieee_underflow 0
		.amdhsa_exception_fp_ieee_inexact 0
		.amdhsa_exception_int_div_zero 0
	.end_amdhsa_kernel
	.section	.text._ZL33flash_attn_stream_k_fixup_uniformILi112ELi64ELi1EEvPfPK15HIP_vector_typeIfLj2EEiiiiiiS1_IjLj3EES5_S5_,"axG",@progbits,_ZL33flash_attn_stream_k_fixup_uniformILi112ELi64ELi1EEvPfPK15HIP_vector_typeIfLj2EEiiiiiiS1_IjLj3EES5_S5_,comdat
.Lfunc_end54:
	.size	_ZL33flash_attn_stream_k_fixup_uniformILi112ELi64ELi1EEvPfPK15HIP_vector_typeIfLj2EEiiiiiiS1_IjLj3EES5_S5_, .Lfunc_end54-_ZL33flash_attn_stream_k_fixup_uniformILi112ELi64ELi1EEvPfPK15HIP_vector_typeIfLj2EEiiiiiiS1_IjLj3EES5_S5_
                                        ; -- End function
	.set _ZL33flash_attn_stream_k_fixup_uniformILi112ELi64ELi1EEvPfPK15HIP_vector_typeIfLj2EEiiiiiiS1_IjLj3EES5_S5_.num_vgpr, 15
	.set _ZL33flash_attn_stream_k_fixup_uniformILi112ELi64ELi1EEvPfPK15HIP_vector_typeIfLj2EEiiiiiiS1_IjLj3EES5_S5_.num_agpr, 0
	.set _ZL33flash_attn_stream_k_fixup_uniformILi112ELi64ELi1EEvPfPK15HIP_vector_typeIfLj2EEiiiiiiS1_IjLj3EES5_S5_.numbered_sgpr, 24
	.set _ZL33flash_attn_stream_k_fixup_uniformILi112ELi64ELi1EEvPfPK15HIP_vector_typeIfLj2EEiiiiiiS1_IjLj3EES5_S5_.num_named_barrier, 0
	.set _ZL33flash_attn_stream_k_fixup_uniformILi112ELi64ELi1EEvPfPK15HIP_vector_typeIfLj2EEiiiiiiS1_IjLj3EES5_S5_.private_seg_size, 0
	.set _ZL33flash_attn_stream_k_fixup_uniformILi112ELi64ELi1EEvPfPK15HIP_vector_typeIfLj2EEiiiiiiS1_IjLj3EES5_S5_.uses_vcc, 1
	.set _ZL33flash_attn_stream_k_fixup_uniformILi112ELi64ELi1EEvPfPK15HIP_vector_typeIfLj2EEiiiiiiS1_IjLj3EES5_S5_.uses_flat_scratch, 0
	.set _ZL33flash_attn_stream_k_fixup_uniformILi112ELi64ELi1EEvPfPK15HIP_vector_typeIfLj2EEiiiiiiS1_IjLj3EES5_S5_.has_dyn_sized_stack, 0
	.set _ZL33flash_attn_stream_k_fixup_uniformILi112ELi64ELi1EEvPfPK15HIP_vector_typeIfLj2EEiiiiiiS1_IjLj3EES5_S5_.has_recursion, 0
	.set _ZL33flash_attn_stream_k_fixup_uniformILi112ELi64ELi1EEvPfPK15HIP_vector_typeIfLj2EEiiiiiiS1_IjLj3EES5_S5_.has_indirect_call, 0
	.section	.AMDGPU.csdata,"",@progbits
; Kernel info:
; codeLenInByte = 836
; TotalNumSgprs: 26
; NumVgprs: 15
; ScratchSize: 0
; MemoryBound: 0
; FloatMode: 240
; IeeeMode: 1
; LDSByteSize: 0 bytes/workgroup (compile time only)
; SGPRBlocks: 0
; VGPRBlocks: 1
; NumSGPRsForWavesPerEU: 26
; NumVGPRsForWavesPerEU: 15
; Occupancy: 16
; WaveLimiterHint : 0
; COMPUTE_PGM_RSRC2:SCRATCH_EN: 0
; COMPUTE_PGM_RSRC2:USER_SGPR: 6
; COMPUTE_PGM_RSRC2:TRAP_HANDLER: 0
; COMPUTE_PGM_RSRC2:TGID_X_EN: 1
; COMPUTE_PGM_RSRC2:TGID_Y_EN: 1
; COMPUTE_PGM_RSRC2:TGID_Z_EN: 1
; COMPUTE_PGM_RSRC2:TIDIG_COMP_CNT: 0
	.section	.text._ZL33flash_attn_stream_k_fixup_generalILi112ELi64ELi1EEvPfPK15HIP_vector_typeIfLj2EEiiiiS1_IjLj3EES5_S5_S5_,"axG",@progbits,_ZL33flash_attn_stream_k_fixup_generalILi112ELi64ELi1EEvPfPK15HIP_vector_typeIfLj2EEiiiiS1_IjLj3EES5_S5_S5_,comdat
	.globl	_ZL33flash_attn_stream_k_fixup_generalILi112ELi64ELi1EEvPfPK15HIP_vector_typeIfLj2EEiiiiS1_IjLj3EES5_S5_S5_ ; -- Begin function _ZL33flash_attn_stream_k_fixup_generalILi112ELi64ELi1EEvPfPK15HIP_vector_typeIfLj2EEiiiiS1_IjLj3EES5_S5_S5_
	.p2align	8
	.type	_ZL33flash_attn_stream_k_fixup_generalILi112ELi64ELi1EEvPfPK15HIP_vector_typeIfLj2EEiiiiS1_IjLj3EES5_S5_S5_,@function
_ZL33flash_attn_stream_k_fixup_generalILi112ELi64ELi1EEvPfPK15HIP_vector_typeIfLj2EEiiiiS1_IjLj3EES5_S5_S5_: ; @_ZL33flash_attn_stream_k_fixup_generalILi112ELi64ELi1EEvPfPK15HIP_vector_typeIfLj2EEiiiiS1_IjLj3EES5_S5_S5_
; %bb.0:
	s_clause 0x1
	s_load_dwordx4 s[0:3], s[4:5], 0x10
	s_load_dword s9, s[4:5], 0x50
	s_mov_b32 s16, 0
	s_waitcnt lgkmcnt(0)
	s_mul_hi_i32 s17, s3, s6
	s_mul_i32 s18, s3, s6
	s_cmp_lg_u64 s[16:17], 0
	s_cbranch_scc0 .LBB55_21
; %bb.1:
	s_add_u32 s10, s9, 0
	s_addc_u32 s11, 0, 0
	s_xor_b64 s[10:11], s[10:11], 0
	v_cvt_f32_u32_e32 v1, s10
	v_cvt_f32_u32_e32 v2, s11
	s_sub_u32 s14, 0, s10
	s_subb_u32 s15, 0, s11
	v_fmamk_f32 v1, v2, 0x4f800000, v1
	v_rcp_f32_e32 v1, v1
	v_mul_f32_e32 v1, 0x5f7ffffc, v1
	v_mul_f32_e32 v2, 0x2f800000, v1
	v_trunc_f32_e32 v2, v2
	v_fmamk_f32 v1, v2, 0xcf800000, v1
	v_cvt_u32_f32_e32 v2, v2
	v_cvt_u32_f32_e32 v1, v1
	v_readfirstlane_b32 s12, v2
	v_readfirstlane_b32 s13, v1
	s_mul_i32 s19, s14, s12
	s_mul_hi_u32 s21, s14, s13
	s_mul_i32 s20, s15, s13
	s_add_i32 s19, s21, s19
	s_mul_i32 s22, s14, s13
	s_add_i32 s19, s19, s20
	s_mul_hi_u32 s21, s13, s22
	s_mul_i32 s24, s13, s19
	s_mul_hi_u32 s23, s12, s22
	s_mul_i32 s20, s12, s22
	s_mul_hi_u32 s22, s13, s19
	s_add_u32 s21, s21, s24
	s_addc_u32 s22, 0, s22
	s_mul_hi_u32 s25, s12, s19
	s_add_u32 s20, s21, s20
	s_mul_i32 s19, s12, s19
	s_addc_u32 s20, s22, s23
	s_addc_u32 s21, s25, 0
	s_add_u32 s19, s20, s19
	s_addc_u32 s20, 0, s21
	s_add_u32 s13, s13, s19
	s_cselect_b32 s19, -1, 0
	s_mul_hi_u32 s21, s14, s13
	s_cmp_lg_u32 s19, 0
	s_mul_i32 s19, s14, s13
	s_addc_u32 s12, s12, s20
	s_mul_i32 s15, s15, s13
	s_mul_i32 s14, s14, s12
	s_mul_hi_u32 s20, s13, s19
	s_add_i32 s14, s21, s14
	s_mul_hi_u32 s21, s12, s19
	s_add_i32 s14, s14, s15
	s_mul_i32 s15, s12, s19
	s_mul_i32 s23, s13, s14
	s_mul_hi_u32 s22, s13, s14
	s_add_u32 s20, s20, s23
	s_addc_u32 s22, 0, s22
	s_mul_hi_u32 s19, s12, s14
	s_add_u32 s15, s20, s15
	s_mul_i32 s14, s12, s14
	s_addc_u32 s15, s22, s21
	s_addc_u32 s19, s19, 0
	s_add_u32 s14, s15, s14
	s_addc_u32 s15, 0, s19
	s_add_u32 s19, s13, s14
	s_cselect_b32 s13, -1, 0
	s_cmp_lg_u32 s13, 0
	s_addc_u32 s20, s12, s15
	s_ashr_i32 s12, s17, 31
	s_add_u32 s14, s18, s12
	s_mov_b32 s13, s12
	s_addc_u32 s15, s17, s12
	s_xor_b64 s[14:15], s[14:15], s[12:13]
	s_mul_i32 s21, s14, s20
	s_mul_hi_u32 s22, s14, s19
	s_mul_hi_u32 s17, s14, s20
	;; [unrolled: 1-line block ×3, first 2 shown]
	s_mul_i32 s19, s15, s19
	s_add_u32 s21, s22, s21
	s_addc_u32 s17, 0, s17
	s_mul_hi_u32 s23, s15, s20
	s_add_u32 s19, s21, s19
	s_mul_i32 s20, s15, s20
	s_addc_u32 s17, s17, s24
	s_addc_u32 s19, s23, 0
	s_add_u32 s17, s17, s20
	s_addc_u32 s19, 0, s19
	s_mul_hi_u32 s20, s10, s17
	s_mul_i32 s21, s10, s19
	s_mul_i32 s22, s11, s17
	s_add_i32 s20, s20, s21
	s_mul_i32 s21, s10, s17
	s_add_i32 s20, s20, s22
	s_sub_i32 s22, s15, s20
	s_sub_u32 s14, s14, s21
	s_cselect_b32 s21, -1, 0
	s_cmp_lg_u32 s21, 0
	s_subb_u32 s22, s22, s11
	s_sub_u32 s23, s14, s10
	s_cselect_b32 s24, -1, 0
	s_cmp_lg_u32 s24, 0
	s_subb_u32 s22, s22, 0
	s_cmp_ge_u32 s22, s11
	s_cselect_b32 s24, -1, 0
	s_cmp_ge_u32 s23, s10
	s_cselect_b32 s23, -1, 0
	s_cmp_eq_u32 s22, s11
	s_cselect_b32 s22, s23, s24
	s_add_u32 s23, s17, 1
	s_addc_u32 s24, s19, 0
	s_add_u32 s25, s17, 2
	s_addc_u32 s26, s19, 0
	s_cmp_lg_u32 s22, 0
	s_cselect_b32 s22, s25, s23
	s_cselect_b32 s23, s26, s24
	s_cmp_lg_u32 s21, 0
	s_subb_u32 s15, s15, s20
	s_cmp_ge_u32 s15, s11
	s_cselect_b32 s20, -1, 0
	s_cmp_ge_u32 s14, s10
	s_cselect_b32 s10, -1, 0
	s_cmp_eq_u32 s15, s11
	s_cselect_b32 s10, s10, s20
	s_cmp_lg_u32 s10, 0
	s_cselect_b32 s11, s23, s19
	s_cselect_b32 s10, s22, s17
	s_xor_b64 s[12:13], s[12:13], 0
	s_xor_b64 s[10:11], s[10:11], s[12:13]
	s_sub_u32 s10, s10, s12
	s_load_dwordx4 s[12:15], s[4:5], 0x44
	s_andn2_b32 vcc_lo, exec_lo, s16
	s_cbranch_vccnz .LBB55_3
.LBB55_2:
	v_cvt_f32_u32_e32 v1, s9
	s_sub_i32 s11, 0, s9
	v_rcp_iflag_f32_e32 v1, v1
	v_mul_f32_e32 v1, 0x4f7ffffe, v1
	v_cvt_u32_f32_e32 v1, v1
	v_readfirstlane_b32 s10, v1
	s_mul_i32 s11, s11, s10
	s_mul_hi_u32 s11, s10, s11
	s_add_i32 s10, s10, s11
	s_mul_hi_u32 s10, s18, s10
	s_mul_i32 s11, s10, s9
	s_waitcnt lgkmcnt(0)
	s_add_i32 s15, s10, 1
	s_sub_i32 s11, s18, s11
	s_sub_i32 s16, s11, s9
	s_cmp_ge_u32 s11, s9
	s_cselect_b32 s10, s15, s10
	s_cselect_b32 s11, s16, s11
	s_add_i32 s15, s10, 1
	s_cmp_ge_u32 s11, s9
	s_cselect_b32 s10, s15, s10
.LBB55_3:
	s_add_i32 s11, s6, 1
	s_mov_b32 s16, 0
	s_mul_hi_i32 s17, s3, s11
	s_mul_i32 s11, s3, s11
	s_cmp_lg_u64 s[16:17], 0
	s_cbranch_scc0 .LBB55_22
; %bb.4:
	s_add_u32 s18, s9, 0
	s_addc_u32 s19, 0, 0
	s_xor_b64 s[18:19], s[18:19], 0
	v_cvt_f32_u32_e32 v1, s18
	v_cvt_f32_u32_e32 v2, s19
	s_sub_u32 s21, 0, s18
	s_subb_u32 s22, 0, s19
	v_fmamk_f32 v1, v2, 0x4f800000, v1
	v_rcp_f32_e32 v1, v1
	v_mul_f32_e32 v1, 0x5f7ffffc, v1
	v_mul_f32_e32 v2, 0x2f800000, v1
	v_trunc_f32_e32 v2, v2
	v_fmamk_f32 v1, v2, 0xcf800000, v1
	v_cvt_u32_f32_e32 v2, v2
	v_cvt_u32_f32_e32 v1, v1
	s_waitcnt lgkmcnt(0)
	v_readfirstlane_b32 s15, v2
	v_readfirstlane_b32 s20, v1
	s_mul_i32 s23, s21, s15
	s_mul_hi_u32 s25, s21, s20
	s_mul_i32 s24, s22, s20
	s_add_i32 s23, s25, s23
	s_mul_i32 s26, s21, s20
	s_add_i32 s23, s23, s24
	s_mul_hi_u32 s25, s20, s26
	s_mul_i32 s28, s20, s23
	s_mul_hi_u32 s27, s15, s26
	s_mul_i32 s24, s15, s26
	s_mul_hi_u32 s26, s20, s23
	s_add_u32 s25, s25, s28
	s_addc_u32 s26, 0, s26
	s_mul_hi_u32 s29, s15, s23
	s_add_u32 s24, s25, s24
	s_mul_i32 s23, s15, s23
	s_addc_u32 s24, s26, s27
	s_addc_u32 s25, s29, 0
	s_add_u32 s23, s24, s23
	s_addc_u32 s24, 0, s25
	s_add_u32 s20, s20, s23
	s_cselect_b32 s23, -1, 0
	s_mul_hi_u32 s25, s21, s20
	s_cmp_lg_u32 s23, 0
	s_mul_i32 s23, s21, s20
	s_addc_u32 s15, s15, s24
	s_mul_i32 s22, s22, s20
	s_mul_i32 s21, s21, s15
	s_mul_hi_u32 s24, s20, s23
	s_add_i32 s21, s25, s21
	s_mul_hi_u32 s25, s15, s23
	s_add_i32 s21, s21, s22
	s_mul_i32 s22, s15, s23
	s_mul_i32 s27, s20, s21
	s_mul_hi_u32 s26, s20, s21
	s_add_u32 s24, s24, s27
	s_addc_u32 s26, 0, s26
	s_mul_hi_u32 s23, s15, s21
	s_add_u32 s22, s24, s22
	s_mul_i32 s21, s15, s21
	s_addc_u32 s22, s26, s25
	s_addc_u32 s23, s23, 0
	s_add_u32 s21, s22, s21
	s_addc_u32 s22, 0, s23
	s_add_u32 s24, s20, s21
	s_cselect_b32 s20, -1, 0
	s_cmp_lg_u32 s20, 0
	s_addc_u32 s15, s15, s22
	s_ashr_i32 s20, s17, 31
	s_add_u32 s22, s11, s20
	s_mov_b32 s21, s20
	s_addc_u32 s23, s17, s20
	s_xor_b64 s[22:23], s[22:23], s[20:21]
	s_mul_i32 s25, s22, s15
	s_mul_hi_u32 s26, s22, s24
	s_mul_hi_u32 s17, s22, s15
	;; [unrolled: 1-line block ×3, first 2 shown]
	s_mul_i32 s24, s23, s24
	s_add_u32 s25, s26, s25
	s_addc_u32 s17, 0, s17
	s_mul_hi_u32 s27, s23, s15
	s_add_u32 s24, s25, s24
	s_mul_i32 s15, s23, s15
	s_addc_u32 s17, s17, s28
	s_addc_u32 s24, s27, 0
	s_add_u32 s15, s17, s15
	s_addc_u32 s17, 0, s24
	s_mul_hi_u32 s24, s18, s15
	s_mul_i32 s25, s18, s17
	s_mul_i32 s26, s19, s15
	s_add_i32 s24, s24, s25
	s_mul_i32 s25, s18, s15
	s_add_i32 s24, s24, s26
	s_sub_i32 s26, s23, s24
	s_sub_u32 s22, s22, s25
	s_cselect_b32 s25, -1, 0
	s_cmp_lg_u32 s25, 0
	s_subb_u32 s26, s26, s19
	s_sub_u32 s27, s22, s18
	s_cselect_b32 s28, -1, 0
	s_cmp_lg_u32 s28, 0
	s_subb_u32 s26, s26, 0
	s_cmp_ge_u32 s26, s19
	s_cselect_b32 s28, -1, 0
	s_cmp_ge_u32 s27, s18
	s_cselect_b32 s27, -1, 0
	s_cmp_eq_u32 s26, s19
	s_cselect_b32 s26, s27, s28
	s_add_u32 s27, s15, 1
	s_addc_u32 s28, s17, 0
	s_add_u32 s29, s15, 2
	s_addc_u32 s30, s17, 0
	s_cmp_lg_u32 s26, 0
	s_cselect_b32 s26, s29, s27
	s_cselect_b32 s27, s30, s28
	s_cmp_lg_u32 s25, 0
	s_subb_u32 s23, s23, s24
	s_cmp_ge_u32 s23, s19
	s_cselect_b32 s24, -1, 0
	s_cmp_ge_u32 s22, s18
	s_cselect_b32 s18, -1, 0
	s_cmp_eq_u32 s23, s19
	s_cselect_b32 s18, s18, s24
	s_cmp_lg_u32 s18, 0
	s_cselect_b32 s19, s27, s17
	s_cselect_b32 s18, s26, s15
	s_xor_b64 s[20:21], s[20:21], 0
	s_xor_b64 s[18:19], s[18:19], s[20:21]
	s_sub_u32 s18, s18, s20
	s_andn2_b32 vcc_lo, exec_lo, s16
	s_cbranch_vccnz .LBB55_6
.LBB55_5:
	v_cvt_f32_u32_e32 v1, s9
	s_sub_i32 s16, 0, s9
	v_rcp_iflag_f32_e32 v1, v1
	v_mul_f32_e32 v1, 0x4f7ffffe, v1
	v_cvt_u32_f32_e32 v1, v1
	s_waitcnt lgkmcnt(0)
	v_readfirstlane_b32 s15, v1
	s_mul_i32 s16, s16, s15
	s_mul_hi_u32 s16, s15, s16
	s_add_i32 s15, s15, s16
	s_mul_hi_u32 s15, s11, s15
	s_mul_i32 s16, s15, s9
	s_sub_i32 s11, s11, s16
	s_add_i32 s16, s15, 1
	s_sub_i32 s17, s11, s9
	s_cmp_ge_u32 s11, s9
	s_cselect_b32 s15, s16, s15
	s_cselect_b32 s11, s17, s11
	s_add_i32 s16, s15, 1
	s_cmp_ge_u32 s11, s9
	s_cselect_b32 s18, s16, s15
.LBB55_6:
	s_cmp_eq_u32 s10, s18
	s_waitcnt lgkmcnt(0)
	s_mul_hi_u32 s11, s10, s12
	s_cselect_b32 s15, -1, 0
	s_add_i32 s11, s11, s10
	s_lshr_b32 s11, s11, s13
	s_mul_i32 s16, s11, s14
	s_cmp_eq_u32 s16, s10
	s_mul_hi_u32 s16, s18, s12
	s_cselect_b32 s17, -1, 0
	s_add_i32 s16, s16, s18
	s_lshr_b32 s16, s16, s13
	s_cmp_eq_u32 s11, s16
	s_mul_i32 s16, s16, s14
	s_cselect_b32 s19, -1, 0
	s_cmp_lg_u32 s16, s18
	s_cselect_b32 s16, -1, 0
	s_or_b32 s15, s15, s17
	s_and_b32 s16, s19, s16
	s_or_b32 s15, s15, s16
	s_and_b32 vcc_lo, exec_lo, s15
	s_cbranch_vccnz .LBB55_24
; %bb.7:
	s_clause 0x1
	s_load_dwordx8 s[20:27], s[4:5], 0x20
	s_load_dword s16, s[4:5], 0x40
	s_waitcnt lgkmcnt(0)
	s_mul_hi_u32 s15, s10, s20
	s_add_i32 s15, s15, s10
	s_lshr_b32 s15, s15, s21
	s_mul_i32 s17, s15, s22
	s_sub_i32 s17, s10, s17
	s_mul_hi_u32 s18, s17, s23
	s_add_i32 s18, s17, s18
	s_lshr_b32 s21, s18, s24
	s_mul_i32 s18, s21, s25
	s_sub_i32 s17, s17, s18
	;; [unrolled: 5-line block ×3, first 2 shown]
	s_mul_hi_u32 s17, s16, s12
	s_add_i32 s16, s16, s17
	s_lshr_b32 s20, s16, s13
	s_lshl_b32 s16, s20, 6
	s_add_i32 s16, s16, s7
	s_cmp_lt_i32 s16, s0
	s_cselect_b32 s16, -1, 0
	s_add_i32 s22, s22, s8
	s_cmp_lt_i32 s22, s2
	s_cselect_b32 s17, -1, 0
	s_and_b32 s16, s16, s17
	s_andn2_b32 vcc_lo, exec_lo, s16
	s_cbranch_vccnz .LBB55_24
; %bb.8:
	s_load_dwordx4 s[16:19], s[4:5], 0x0
	s_mov_b32 s4, 0
	s_lshl_b32 s24, s9, 8
	s_mov_b32 s25, s4
	s_add_i32 s8, s7, s8
	s_lshl_b64 s[24:25], s[24:25], 2
	s_mul_i32 s0, s15, s0
	s_mul_i32 s21, s21, s2
	v_cvt_f32_u32_e32 v3, s9
	v_rcp_iflag_f32_e32 v3, v3
	s_waitcnt lgkmcnt(0)
	s_add_u32 s2, s18, s24
	s_addc_u32 s15, s19, s25
	s_add_i32 s0, s0, s7
	s_add_i32 s5, s22, s21
	s_mul_i32 s0, s0, s1
	s_mul_i32 s1, s1, s20
	s_add_i32 s0, s5, s0
	s_mulk_i32 s1, 0x1c00
	s_mulk_i32 s0, 0x70
	v_mul_f32_e32 v7, 0x4f7ffffe, v3
	v_add3_u32 v1, s1, s0, v0
	s_lshl_b32 s0, s6, 6
	s_add_i32 s0, s0, s8
	v_ashrrev_i32_e32 v2, 31, v1
	s_ashr_i32 s1, s0, 31
	s_lshl_b64 s[0:1], s[0:1], 3
	v_lshlrev_b64 v[1:2], 2, v[1:2]
	s_add_u32 s0, s18, s0
	s_addc_u32 s1, s19, s1
	s_load_dwordx2 s[0:1], s[0:1], 0x0
	v_add_co_u32 v1, vcc_lo, s16, v1
	v_add_co_ci_u32_e64 v2, null, s17, v2, vcc_lo
	s_add_i32 s17, s6, -1
	v_mad_u64_u32 v[3:4], null, 0x70, s8, v[0:1]
	global_load_dword v5, v[1:2], off
	v_cvt_u32_f32_e32 v0, v7
	s_sub_i32 s16, 0, s9
	s_waitcnt lgkmcnt(0)
	v_mov_b32_e32 v4, s1
	v_mov_b32_e32 v6, s0
.LBB55_9:                               ; =>This Inner Loop Header: Depth=1
	s_mul_hi_i32 s5, s17, s3
	s_mul_i32 s6, s17, s3
	s_cmp_lg_u64 s[4:5], 0
	s_mov_b32 s7, -1
                                        ; implicit-def: $sgpr0_sgpr1
	s_cbranch_scc0 .LBB55_11
; %bb.10:                               ;   in Loop: Header=BB55_9 Depth=1
	s_add_u32 s0, s9, 0
	s_addc_u32 s1, 0, 0
	s_xor_b64 s[0:1], s[0:1], 0
	v_cvt_f32_u32_e32 v7, s0
	v_cvt_f32_u32_e32 v8, s1
	s_sub_u32 s21, 0, s0
	s_subb_u32 s22, 0, s1
	v_fmac_f32_e32 v7, 0x4f800000, v8
	v_rcp_f32_e32 v7, v7
	v_mul_f32_e32 v7, 0x5f7ffffc, v7
	v_mul_f32_e32 v8, 0x2f800000, v7
	v_trunc_f32_e32 v8, v8
	v_fmac_f32_e32 v7, 0xcf800000, v8
	v_cvt_u32_f32_e32 v8, v8
	v_cvt_u32_f32_e32 v7, v7
	v_readfirstlane_b32 s7, v8
	v_readfirstlane_b32 s20, v7
	s_mul_i32 s23, s21, s7
	s_mul_hi_u32 s25, s21, s20
	s_mul_i32 s24, s22, s20
	s_add_i32 s23, s25, s23
	s_mul_i32 s26, s21, s20
	s_add_i32 s23, s23, s24
	s_mul_hi_u32 s25, s20, s26
	s_mul_i32 s28, s20, s23
	s_mul_hi_u32 s27, s7, s26
	s_mul_i32 s24, s7, s26
	s_mul_hi_u32 s26, s20, s23
	s_add_u32 s25, s25, s28
	s_addc_u32 s26, 0, s26
	s_mul_hi_u32 s29, s7, s23
	s_add_u32 s24, s25, s24
	s_mul_i32 s23, s7, s23
	s_addc_u32 s24, s26, s27
	s_addc_u32 s25, s29, 0
	s_add_u32 s23, s24, s23
	s_addc_u32 s24, 0, s25
	s_add_u32 s20, s20, s23
	s_cselect_b32 s23, -1, 0
	s_mul_hi_u32 s25, s21, s20
	s_cmp_lg_u32 s23, 0
	s_mul_i32 s23, s21, s20
	s_addc_u32 s7, s7, s24
	s_mul_i32 s22, s22, s20
	s_mul_i32 s21, s21, s7
	s_mul_hi_u32 s24, s20, s23
	s_add_i32 s21, s25, s21
	s_mul_hi_u32 s25, s7, s23
	s_add_i32 s21, s21, s22
	s_mul_i32 s22, s7, s23
	s_mul_i32 s27, s20, s21
	s_mul_hi_u32 s26, s20, s21
	s_add_u32 s24, s24, s27
	s_addc_u32 s26, 0, s26
	s_mul_hi_u32 s23, s7, s21
	s_add_u32 s22, s24, s22
	s_mul_i32 s21, s7, s21
	s_addc_u32 s22, s26, s25
	s_addc_u32 s23, s23, 0
	s_add_u32 s21, s22, s21
	s_addc_u32 s22, 0, s23
	s_add_u32 s24, s20, s21
	s_cselect_b32 s20, -1, 0
	s_cmp_lg_u32 s20, 0
	s_addc_u32 s7, s7, s22
	s_ashr_i32 s20, s5, 31
	s_add_u32 s22, s6, s20
	s_mov_b32 s21, s20
	s_addc_u32 s23, s5, s20
	s_xor_b64 s[22:23], s[22:23], s[20:21]
	s_mul_i32 s25, s22, s7
	s_mul_hi_u32 s26, s22, s24
	s_mul_hi_u32 s5, s22, s7
	;; [unrolled: 1-line block ×3, first 2 shown]
	s_mul_i32 s24, s23, s24
	s_add_u32 s25, s26, s25
	s_addc_u32 s5, 0, s5
	s_mul_hi_u32 s27, s23, s7
	s_add_u32 s24, s25, s24
	s_mul_i32 s7, s23, s7
	s_addc_u32 s5, s5, s28
	s_addc_u32 s24, s27, 0
	s_add_u32 s5, s5, s7
	s_addc_u32 s7, 0, s24
	s_mul_hi_u32 s24, s0, s5
	s_mul_i32 s25, s0, s7
	s_mul_i32 s26, s1, s5
	s_add_i32 s24, s24, s25
	s_mul_i32 s25, s0, s5
	s_add_i32 s24, s24, s26
	s_sub_i32 s26, s23, s24
	s_sub_u32 s22, s22, s25
	s_cselect_b32 s25, -1, 0
	s_cmp_lg_u32 s25, 0
	s_subb_u32 s26, s26, s1
	s_sub_u32 s27, s22, s0
	s_cselect_b32 s28, -1, 0
	s_cmp_lg_u32 s28, 0
	s_subb_u32 s26, s26, 0
	s_cmp_ge_u32 s26, s1
	s_cselect_b32 s28, -1, 0
	s_cmp_ge_u32 s27, s0
	s_cselect_b32 s27, -1, 0
	s_cmp_eq_u32 s26, s1
	s_cselect_b32 s26, s27, s28
	s_add_u32 s27, s5, 1
	s_addc_u32 s28, s7, 0
	s_add_u32 s29, s5, 2
	s_addc_u32 s30, s7, 0
	s_cmp_lg_u32 s26, 0
	s_cselect_b32 s26, s29, s27
	s_cselect_b32 s27, s30, s28
	s_cmp_lg_u32 s25, 0
	s_subb_u32 s23, s23, s24
	s_cmp_ge_u32 s23, s1
	s_cselect_b32 s24, -1, 0
	s_cmp_ge_u32 s22, s0
	s_cselect_b32 s0, -1, 0
	s_cmp_eq_u32 s23, s1
	s_cselect_b32 s0, s0, s24
	s_cmp_lg_u32 s0, 0
	s_cselect_b32 s1, s27, s7
	s_cselect_b32 s0, s26, s5
	s_xor_b64 s[20:21], s[20:21], 0
	s_mov_b32 s7, 0
	s_xor_b64 s[0:1], s[0:1], s[20:21]
	s_sub_u32 s0, s0, s20
.LBB55_11:                              ;   in Loop: Header=BB55_9 Depth=1
	s_andn2_b32 vcc_lo, exec_lo, s7
	s_cbranch_vccnz .LBB55_13
; %bb.12:                               ;   in Loop: Header=BB55_9 Depth=1
	v_readfirstlane_b32 s0, v0
	s_mul_i32 s1, s16, s0
	s_mul_hi_u32 s1, s0, s1
	s_add_i32 s0, s0, s1
	s_mul_hi_u32 s0, s6, s0
	s_mul_i32 s1, s0, s9
	s_add_i32 s5, s0, 1
	s_sub_i32 s1, s6, s1
	s_sub_i32 s6, s1, s9
	s_cmp_ge_u32 s1, s9
	s_cselect_b32 s0, s5, s0
	s_cselect_b32 s1, s6, s1
	s_add_i32 s5, s0, 1
	s_cmp_ge_u32 s1, s9
	s_cselect_b32 s0, s5, s0
.LBB55_13:                              ;   in Loop: Header=BB55_9 Depth=1
	s_cmp_lg_u32 s10, s0
	s_mov_b32 s6, -1
                                        ; implicit-def: $sgpr5
                                        ; implicit-def: $vgpr8
                                        ; implicit-def: $vgpr7
                                        ; implicit-def: $vgpr9
                                        ; implicit-def: $sgpr1
                                        ; implicit-def: $sgpr20
	s_cbranch_scc0 .LBB55_18
; %bb.14:                               ;   in Loop: Header=BB55_9 Depth=1
	s_add_i32 s1, s17, s9
	s_mov_b32 s7, s4
	s_lshl_b32 s1, s1, 6
	s_mov_b32 s20, s10
	s_add_i32 s6, s1, s8
	s_mul_hi_u32 s1, s0, s12
	s_lshl_b64 s[6:7], s[6:7], 3
	s_add_u32 s6, s18, s6
	s_addc_u32 s7, s19, s7
	s_add_i32 s1, s1, s0
	s_lshr_b32 s1, s1, s13
	s_mul_i32 s5, s1, s14
	s_cmp_eq_u32 s5, s0
	s_cselect_b32 s5, -1, 0
	s_cmp_lt_u32 s1, s11
	s_cselect_b32 s1, -1, 0
	s_or_b32 s1, s1, s5
	s_mov_b32 s5, -1
	s_and_b32 vcc_lo, exec_lo, s1
	s_mov_b32 s1, s17
	s_cbranch_vccnz .LBB55_16
; %bb.15:                               ;   in Loop: Header=BB55_9 Depth=1
	s_add_i32 s1, s17, -1
	s_mov_b32 s5, 0
	s_mov_b32 s20, s0
.LBB55_16:                              ;   in Loop: Header=BB55_9 Depth=1
	v_mad_u64_u32 v[7:8], null, 0x1c00, s17, v[3:4]
	s_load_dwordx2 s[6:7], s[6:7], 0x0
	v_ashrrev_i32_e32 v8, 31, v7
	v_lshlrev_b64 v[7:8], 2, v[7:8]
	v_add_co_u32 v7, vcc_lo, s2, v7
	v_add_co_ci_u32_e64 v8, null, s15, v8, vcc_lo
	s_waitcnt lgkmcnt(0)
	v_max_f32_e64 v9, s6, s6
	global_load_dword v8, v[7:8], off
	v_max_f32_e32 v7, v6, v6
	v_max_f32_e32 v7, v7, v9
	v_sub_f32_e32 v9, s6, v7
	v_sub_f32_e32 v10, v6, v7
	v_mul_f32_e32 v11, 0x3fb8aa3b, v9
	v_mul_f32_e32 v12, 0x3fb8aa3b, v10
	v_cmp_ngt_f32_e32 vcc_lo, 0xc2ce8ed0, v9
	v_fma_f32 v13, 0x3fb8aa3b, v9, -v11
	v_rndne_f32_e32 v14, v11
	v_fma_f32 v15, 0x3fb8aa3b, v10, -v12
	v_rndne_f32_e32 v16, v12
	v_fmac_f32_e32 v13, 0x32a5705f, v9
	v_sub_f32_e32 v11, v11, v14
	v_fmac_f32_e32 v15, 0x32a5705f, v10
	v_sub_f32_e32 v12, v12, v16
	v_add_f32_e32 v11, v11, v13
	v_cvt_i32_f32_e32 v13, v14
	v_add_f32_e32 v12, v12, v15
	v_cvt_i32_f32_e32 v14, v16
	v_exp_f32_e32 v11, v11
	v_exp_f32_e32 v12, v12
	v_ldexp_f32 v11, v11, v13
	v_ldexp_f32 v12, v12, v14
	v_cndmask_b32_e32 v11, 0, v11, vcc_lo
	v_cmp_ngt_f32_e32 vcc_lo, 0xc2ce8ed0, v10
	v_cndmask_b32_e32 v12, 0, v12, vcc_lo
	v_cmp_nlt_f32_e32 vcc_lo, 0x42b17218, v9
	v_cndmask_b32_e32 v11, 0x7f800000, v11, vcc_lo
	v_cmp_nlt_f32_e32 vcc_lo, 0x42b17218, v10
	v_cndmask_b32_e32 v12, 0x7f800000, v12, vcc_lo
	v_cmp_le_f32_e32 vcc_lo, 0xc1a00000, v9
	v_cndmask_b32_e32 v9, 0, v11, vcc_lo
	v_cmp_le_f32_e32 vcc_lo, 0xc1a00000, v10
	v_cndmask_b32_e32 v10, 0, v12, vcc_lo
	s_waitcnt vmcnt(0)
	v_mul_f32_e32 v8, v8, v9
	v_mul_f32_e32 v9, s7, v9
	v_fmac_f32_e32 v8, v5, v10
	v_fmac_f32_e32 v9, v4, v10
	s_cbranch_execz .LBB55_19
.LBB55_17:                              ;   in Loop: Header=BB55_9 Depth=1
	s_andn2_b32 vcc_lo, exec_lo, s5
	s_cbranch_vccnz .LBB55_20
	s_branch .LBB55_23
.LBB55_18:                              ;   in Loop: Header=BB55_9 Depth=1
	s_andn2_b32 vcc_lo, exec_lo, s6
	s_cbranch_vccnz .LBB55_17
.LBB55_19:                              ;   in Loop: Header=BB55_9 Depth=1
	v_mov_b32_e32 v9, v4
	v_mov_b32_e32 v7, v6
	s_waitcnt vmcnt(0)
	v_mov_b32_e32 v8, v5
	s_add_i32 s1, s17, -1
	s_mov_b32 s20, s10
	s_cbranch_execz .LBB55_23
.LBB55_20:                              ;   in Loop: Header=BB55_9 Depth=1
	v_mov_b32_e32 v4, v9
	v_mov_b32_e32 v6, v7
	s_waitcnt vmcnt(0)
	v_mov_b32_e32 v5, v8
	s_mov_b32 s10, s20
	s_mov_b32 s17, s1
	s_branch .LBB55_9
.LBB55_21:
                                        ; implicit-def: $sgpr10_sgpr11
	s_load_dwordx4 s[12:15], s[4:5], 0x44
	s_branch .LBB55_2
.LBB55_22:
                                        ; implicit-def: $sgpr18_sgpr19
	s_branch .LBB55_5
.LBB55_23:
	v_div_scale_f32 v0, null, v9, v9, v8
	v_rcp_f32_e32 v3, v0
	v_fma_f32 v4, -v0, v3, 1.0
	v_fmac_f32_e32 v3, v4, v3
	v_div_scale_f32 v4, vcc_lo, v8, v9, v8
	s_waitcnt vmcnt(0)
	v_mul_f32_e32 v5, v4, v3
	v_fma_f32 v6, -v0, v5, v4
	v_fmac_f32_e32 v5, v6, v3
	v_fma_f32 v0, -v0, v5, v4
	v_div_fmas_f32 v0, v0, v3, v5
	v_div_fixup_f32 v0, v0, v9, v8
	global_store_dword v[1:2], v0, off
.LBB55_24:
	s_endpgm
	.section	.rodata,"a",@progbits
	.p2align	6, 0x0
	.amdhsa_kernel _ZL33flash_attn_stream_k_fixup_generalILi112ELi64ELi1EEvPfPK15HIP_vector_typeIfLj2EEiiiiS1_IjLj3EES5_S5_S5_
		.amdhsa_group_segment_fixed_size 0
		.amdhsa_private_segment_fixed_size 0
		.amdhsa_kernarg_size 336
		.amdhsa_user_sgpr_count 6
		.amdhsa_user_sgpr_private_segment_buffer 1
		.amdhsa_user_sgpr_dispatch_ptr 0
		.amdhsa_user_sgpr_queue_ptr 0
		.amdhsa_user_sgpr_kernarg_segment_ptr 1
		.amdhsa_user_sgpr_dispatch_id 0
		.amdhsa_user_sgpr_flat_scratch_init 0
		.amdhsa_user_sgpr_private_segment_size 0
		.amdhsa_wavefront_size32 1
		.amdhsa_uses_dynamic_stack 0
		.amdhsa_system_sgpr_private_segment_wavefront_offset 0
		.amdhsa_system_sgpr_workgroup_id_x 1
		.amdhsa_system_sgpr_workgroup_id_y 1
		.amdhsa_system_sgpr_workgroup_id_z 1
		.amdhsa_system_sgpr_workgroup_info 0
		.amdhsa_system_vgpr_workitem_id 0
		.amdhsa_next_free_vgpr 17
		.amdhsa_next_free_sgpr 31
		.amdhsa_reserve_vcc 1
		.amdhsa_reserve_flat_scratch 0
		.amdhsa_float_round_mode_32 0
		.amdhsa_float_round_mode_16_64 0
		.amdhsa_float_denorm_mode_32 3
		.amdhsa_float_denorm_mode_16_64 3
		.amdhsa_dx10_clamp 1
		.amdhsa_ieee_mode 1
		.amdhsa_fp16_overflow 0
		.amdhsa_workgroup_processor_mode 1
		.amdhsa_memory_ordered 1
		.amdhsa_forward_progress 1
		.amdhsa_shared_vgpr_count 0
		.amdhsa_exception_fp_ieee_invalid_op 0
		.amdhsa_exception_fp_denorm_src 0
		.amdhsa_exception_fp_ieee_div_zero 0
		.amdhsa_exception_fp_ieee_overflow 0
		.amdhsa_exception_fp_ieee_underflow 0
		.amdhsa_exception_fp_ieee_inexact 0
		.amdhsa_exception_int_div_zero 0
	.end_amdhsa_kernel
	.section	.text._ZL33flash_attn_stream_k_fixup_generalILi112ELi64ELi1EEvPfPK15HIP_vector_typeIfLj2EEiiiiS1_IjLj3EES5_S5_S5_,"axG",@progbits,_ZL33flash_attn_stream_k_fixup_generalILi112ELi64ELi1EEvPfPK15HIP_vector_typeIfLj2EEiiiiS1_IjLj3EES5_S5_S5_,comdat
.Lfunc_end55:
	.size	_ZL33flash_attn_stream_k_fixup_generalILi112ELi64ELi1EEvPfPK15HIP_vector_typeIfLj2EEiiiiS1_IjLj3EES5_S5_S5_, .Lfunc_end55-_ZL33flash_attn_stream_k_fixup_generalILi112ELi64ELi1EEvPfPK15HIP_vector_typeIfLj2EEiiiiS1_IjLj3EES5_S5_S5_
                                        ; -- End function
	.set _ZL33flash_attn_stream_k_fixup_generalILi112ELi64ELi1EEvPfPK15HIP_vector_typeIfLj2EEiiiiS1_IjLj3EES5_S5_S5_.num_vgpr, 17
	.set _ZL33flash_attn_stream_k_fixup_generalILi112ELi64ELi1EEvPfPK15HIP_vector_typeIfLj2EEiiiiS1_IjLj3EES5_S5_S5_.num_agpr, 0
	.set _ZL33flash_attn_stream_k_fixup_generalILi112ELi64ELi1EEvPfPK15HIP_vector_typeIfLj2EEiiiiS1_IjLj3EES5_S5_S5_.numbered_sgpr, 31
	.set _ZL33flash_attn_stream_k_fixup_generalILi112ELi64ELi1EEvPfPK15HIP_vector_typeIfLj2EEiiiiS1_IjLj3EES5_S5_S5_.num_named_barrier, 0
	.set _ZL33flash_attn_stream_k_fixup_generalILi112ELi64ELi1EEvPfPK15HIP_vector_typeIfLj2EEiiiiS1_IjLj3EES5_S5_S5_.private_seg_size, 0
	.set _ZL33flash_attn_stream_k_fixup_generalILi112ELi64ELi1EEvPfPK15HIP_vector_typeIfLj2EEiiiiS1_IjLj3EES5_S5_S5_.uses_vcc, 1
	.set _ZL33flash_attn_stream_k_fixup_generalILi112ELi64ELi1EEvPfPK15HIP_vector_typeIfLj2EEiiiiS1_IjLj3EES5_S5_S5_.uses_flat_scratch, 0
	.set _ZL33flash_attn_stream_k_fixup_generalILi112ELi64ELi1EEvPfPK15HIP_vector_typeIfLj2EEiiiiS1_IjLj3EES5_S5_S5_.has_dyn_sized_stack, 0
	.set _ZL33flash_attn_stream_k_fixup_generalILi112ELi64ELi1EEvPfPK15HIP_vector_typeIfLj2EEiiiiS1_IjLj3EES5_S5_S5_.has_recursion, 0
	.set _ZL33flash_attn_stream_k_fixup_generalILi112ELi64ELi1EEvPfPK15HIP_vector_typeIfLj2EEiiiiS1_IjLj3EES5_S5_S5_.has_indirect_call, 0
	.section	.AMDGPU.csdata,"",@progbits
; Kernel info:
; codeLenInByte = 2940
; TotalNumSgprs: 33
; NumVgprs: 17
; ScratchSize: 0
; MemoryBound: 0
; FloatMode: 240
; IeeeMode: 1
; LDSByteSize: 0 bytes/workgroup (compile time only)
; SGPRBlocks: 0
; VGPRBlocks: 2
; NumSGPRsForWavesPerEU: 33
; NumVGPRsForWavesPerEU: 17
; Occupancy: 16
; WaveLimiterHint : 0
; COMPUTE_PGM_RSRC2:SCRATCH_EN: 0
; COMPUTE_PGM_RSRC2:USER_SGPR: 6
; COMPUTE_PGM_RSRC2:TRAP_HANDLER: 0
; COMPUTE_PGM_RSRC2:TGID_X_EN: 1
; COMPUTE_PGM_RSRC2:TGID_Y_EN: 1
; COMPUTE_PGM_RSRC2:TGID_Z_EN: 1
; COMPUTE_PGM_RSRC2:TIDIG_COMP_CNT: 0
	.section	.text._ZL15flash_attn_tileILi112ELi112ELi32ELi1ELb0EEvPKcS1_S1_S1_S1_PKiPfP15HIP_vector_typeIfLj2EEffffjfiS5_IjLj3EEiiiiiiiiiiiliiliiiiil,"axG",@progbits,_ZL15flash_attn_tileILi112ELi112ELi32ELi1ELb0EEvPKcS1_S1_S1_S1_PKiPfP15HIP_vector_typeIfLj2EEffffjfiS5_IjLj3EEiiiiiiiiiiiliiliiiiil,comdat
	.globl	_ZL15flash_attn_tileILi112ELi112ELi32ELi1ELb0EEvPKcS1_S1_S1_S1_PKiPfP15HIP_vector_typeIfLj2EEffffjfiS5_IjLj3EEiiiiiiiiiiiliiliiiiil ; -- Begin function _ZL15flash_attn_tileILi112ELi112ELi32ELi1ELb0EEvPKcS1_S1_S1_S1_PKiPfP15HIP_vector_typeIfLj2EEffffjfiS5_IjLj3EEiiiiiiiiiiiliiliiiiil
	.p2align	8
	.type	_ZL15flash_attn_tileILi112ELi112ELi32ELi1ELb0EEvPKcS1_S1_S1_S1_PKiPfP15HIP_vector_typeIfLj2EEffffjfiS5_IjLj3EEiiiiiiiiiiiliiliiiiil,@function
_ZL15flash_attn_tileILi112ELi112ELi32ELi1ELb0EEvPKcS1_S1_S1_S1_PKiPfP15HIP_vector_typeIfLj2EEffffjfiS5_IjLj3EEiiiiiiiiiiiliiliiiiil: ; @_ZL15flash_attn_tileILi112ELi112ELi32ELi1ELb0EEvPKcS1_S1_S1_S1_PKiPfP15HIP_vector_typeIfLj2EEffffjfiS5_IjLj3EEiiiiiiiiiiiliiliiiiil
; %bb.0:
	s_add_u32 s6, s6, s11
	s_addc_u32 s7, s7, 0
	s_setreg_b32 hwreg(HW_REG_FLAT_SCR_LO), s6
	s_setreg_b32 hwreg(HW_REG_FLAT_SCR_HI), s7
	s_clause 0x1
	s_load_dwordx4 s[36:39], s[4:5], 0x5c
	s_load_dwordx2 s[42:43], s[4:5], 0x80
	s_add_u32 s0, s0, s11
	s_addc_u32 s1, s1, 0
	s_mov_b32 s34, s9
	s_clause 0x1
	s_load_dwordx16 s[16:31], s[4:5], 0x0
	s_load_dwordx2 s[44:45], s[4:5], 0xb8
	s_mov_b64 s[40:41], 0
	s_waitcnt lgkmcnt(0)
	v_cvt_f32_u32_e32 v2, s39
	s_sub_i32 s7, 0, s39
	v_rcp_iflag_f32_e32 v2, v2
	v_mul_f32_e32 v2, 0x4f7ffffe, v2
	v_cvt_u32_f32_e32 v2, v2
	v_readfirstlane_b32 s6, v2
	s_mul_i32 s7, s7, s6
	s_mul_hi_u32 s7, s6, s7
	s_add_i32 s6, s6, s7
	s_mul_hi_u32 s6, s10, s6
	s_mul_i32 s7, s6, s39
	s_add_i32 s9, s6, 1
	s_sub_i32 s7, s10, s7
	s_sub_i32 s11, s7, s39
	s_cmp_ge_u32 s7, s39
	s_cselect_b32 s6, s9, s6
	s_cselect_b32 s7, s11, s7
	s_add_i32 s9, s6, 1
	s_cmp_ge_u32 s7, s39
	s_cselect_b32 s33, s9, s6
	s_abs_i32 s6, s43
	s_abs_i32 s11, s39
	v_cvt_f32_u32_e32 v2, s6
	s_sub_i32 s9, 0, s6
	v_rcp_iflag_f32_e32 v2, v2
	v_mul_f32_e32 v2, 0x4f7ffffe, v2
	v_cvt_u32_f32_e32 v2, v2
	v_readfirstlane_b32 s7, v2
	s_mul_i32 s9, s9, s7
	s_mul_hi_u32 s9, s7, s9
	s_add_i32 s7, s7, s9
	s_xor_b32 s9, s39, s43
	s_mul_hi_u32 s7, s11, s7
	s_ashr_i32 s9, s9, 31
	s_mul_i32 s12, s7, s6
	s_sub_i32 s11, s11, s12
	s_add_i32 s12, s7, 1
	s_sub_i32 s13, s11, s6
	s_cmp_ge_u32 s11, s6
	s_cselect_b32 s7, s12, s7
	s_cselect_b32 s11, s13, s11
	s_add_i32 s12, s7, 1
	s_cmp_ge_u32 s11, s6
	s_cselect_b32 s6, s12, s7
	s_xor_b32 s6, s6, s9
	s_sub_i32 s43, s6, s9
	s_mul_i32 s6, s33, s39
	s_abs_i32 s48, s43
	s_cmp_eq_u64 s[22:23], 0
	v_cvt_f32_u32_e32 v2, s48
	v_rcp_iflag_f32_e32 v2, v2
	v_mul_f32_e32 v2, 0x4f7ffffe, v2
	v_cvt_u32_f32_e32 v2, v2
	v_readfirstlane_b32 s46, v2
	s_cbranch_scc1 .LBB56_2
; %bb.1:
	s_abs_i32 s7, s44
	s_abs_i32 s14, s33
	v_cvt_f32_u32_e32 v2, s7
	s_sub_i32 s11, 0, s7
	s_load_dwordx2 s[12:13], s[4:5], 0xc8
	v_rcp_iflag_f32_e32 v2, v2
	v_mul_f32_e32 v2, 0x4f7ffffe, v2
	v_cvt_u32_f32_e32 v2, v2
	v_readfirstlane_b32 s9, v2
	s_mul_i32 s11, s11, s9
	s_mul_hi_u32 s11, s9, s11
	s_add_i32 s9, s9, s11
	s_ashr_i32 s11, s33, 31
	s_mul_hi_u32 s9, s14, s9
	s_mul_i32 s9, s9, s7
	s_sub_i32 s9, s14, s9
	s_sub_i32 s14, s9, s7
	s_cmp_ge_u32 s9, s7
	s_cselect_b32 s9, s14, s9
	s_sub_i32 s14, s9, s7
	s_cmp_ge_u32 s9, s7
	s_cselect_b32 s7, s14, s9
	s_xor_b32 s7, s7, s11
	s_sub_i32 s7, s7, s11
	s_ashr_i32 s9, s7, 31
	s_waitcnt lgkmcnt(0)
	s_mul_hi_u32 s11, s12, s7
	s_mul_i32 s9, s12, s9
	s_add_i32 s9, s11, s9
	s_mul_i32 s11, s13, s7
	s_mul_i32 s7, s12, s7
	s_add_i32 s9, s9, s11
	s_add_u32 s40, s22, s7
	s_addc_u32 s41, s23, s9
.LBB56_2:
	s_clause 0x1
	s_load_dwordx4 s[12:15], s[4:5], 0x40
	s_load_dword s7, s[4:5], 0x50
	v_mov_b32_e32 v100, 1.0
	s_sub_i32 s11, 0, s48
	s_sub_i32 s22, s10, s6
	s_waitcnt lgkmcnt(0)
	v_cmp_le_f32_e64 s9, s13, 0
	s_and_b32 vcc_lo, exec_lo, s9
	s_cbranch_vccnz .LBB56_4
; %bb.3:
	v_sub_co_u32 v3, vcc_lo, s22, s7
	v_mov_b32_e32 v2, s14
	s_add_i32 s6, s22, 1
	v_lshlrev_b32_e32 v3, 1, v3
	v_cndmask_b32_e32 v2, s15, v2, vcc_lo
	v_or_b32_e32 v3, 1, v3
	v_cndmask_b32_e64 v3, v3, s6, vcc_lo
	v_cmp_neq_f32_e32 vcc_lo, 1.0, v2
	s_mov_b32 s6, 0x3e76c4e1
	v_cvt_f32_i32_e32 v3, v3
	v_cndmask_b32_e32 v4, 1.0, v3, vcc_lo
	v_cmp_neq_f32_e32 vcc_lo, 0, v4
	v_cndmask_b32_e32 v5, 1.0, v2, vcc_lo
	v_frexp_mant_f32_e64 v2, |v5|
	v_cmp_eq_f32_e64 s9, 0, v5
	v_cmp_gt_f32_e32 vcc_lo, 0x3f2aaaab, v2
	v_cndmask_b32_e64 v3, 1.0, 2.0, vcc_lo
	v_mul_f32_e32 v2, v2, v3
	v_add_f32_e32 v3, 1.0, v2
	v_add_f32_e32 v7, -1.0, v2
	v_rcp_f32_e32 v6, v3
	v_add_f32_e32 v9, -1.0, v3
	v_sub_f32_e32 v2, v2, v9
	v_mul_f32_e32 v8, v7, v6
	v_mul_f32_e32 v10, v3, v8
	v_fma_f32 v3, v8, v3, -v10
	v_fmac_f32_e32 v3, v8, v2
	v_add_f32_e32 v2, v10, v3
	v_sub_f32_e32 v9, v7, v2
	v_sub_f32_e32 v10, v2, v10
	;; [unrolled: 1-line block ×5, first 2 shown]
	v_add_f32_e32 v2, v3, v2
	v_add_f32_e32 v2, v9, v2
	v_mul_f32_e32 v2, v6, v2
	v_add_f32_e32 v6, v8, v2
	v_sub_f32_e32 v3, v6, v8
	v_mul_f32_e32 v7, v6, v6
	v_sub_f32_e32 v8, v2, v3
	v_fma_f32 v2, v6, v6, -v7
	v_add_f32_e32 v3, v8, v8
	v_fmac_f32_e32 v2, v6, v3
	v_add_f32_e32 v9, v7, v2
	v_fmaak_f32 v3, s6, v9, 0x3e91f4c4
	v_sub_f32_e32 v7, v9, v7
	v_mul_f32_e32 v14, v6, v9
	v_fmaak_f32 v3, v9, v3, 0x3ecccdef
	v_sub_f32_e32 v7, v2, v7
	v_fma_f32 v15, v9, v6, -v14
	v_mul_f32_e32 v10, v9, v3
	v_fmac_f32_e32 v15, v9, v8
	v_ldexp_f32 v8, v8, 1
	v_fma_f32 v11, v9, v3, -v10
	v_fmac_f32_e32 v15, v7, v6
	v_fmac_f32_e32 v11, v7, v3
	v_cvt_f64_f32_e64 v[2:3], |v5|
	v_add_f32_e32 v12, v10, v11
	v_sub_f32_e32 v10, v12, v10
	v_add_f32_e32 v13, 0x3f2aaaaa, v12
	v_sub_f32_e32 v10, v11, v10
	v_add_f32_e32 v11, 0xbf2aaaaa, v13
	v_add_f32_e32 v10, 0x31739010, v10
	v_sub_f32_e32 v11, v12, v11
	v_frexp_exp_i32_f64_e32 v2, v[2:3]
	v_add_f32_e32 v9, v10, v11
	v_add_f32_e32 v10, v14, v15
	;; [unrolled: 1-line block ×3, first 2 shown]
	v_sub_f32_e32 v12, v10, v14
	v_sub_f32_e32 v3, v13, v7
	v_mul_f32_e32 v11, v10, v7
	v_sub_f32_e32 v12, v15, v12
	v_add_f32_e32 v3, v9, v3
	v_fma_f32 v9, v10, v7, -v11
	v_subrev_co_ci_u32_e64 v2, null, 0, v2, vcc_lo
	v_fmac_f32_e32 v9, v10, v3
	v_ldexp_f32 v3, v6, 1
	v_cvt_f32_i32_e32 v2, v2
	v_fmac_f32_e32 v9, v12, v7
	v_add_f32_e32 v6, v11, v9
	v_add_f32_e32 v7, v3, v6
	v_sub_f32_e32 v10, v6, v11
	v_mul_f32_e32 v11, 0x3f317218, v2
	v_sub_f32_e32 v3, v7, v3
	v_sub_f32_e32 v9, v9, v10
	v_fma_f32 v10, 0x3f317218, v2, -v11
	v_sub_f32_e32 v3, v6, v3
	v_add_f32_e32 v6, v8, v9
	v_fmamk_f32 v2, v2, 0xb102e308, v10
	v_add_f32_e32 v3, v6, v3
	v_add_f32_e32 v6, v11, v2
	;; [unrolled: 1-line block ×3, first 2 shown]
	v_sub_f32_e32 v11, v6, v11
	v_add_f32_e32 v9, v6, v8
	v_sub_f32_e32 v7, v8, v7
	v_sub_f32_e32 v2, v2, v11
	;; [unrolled: 1-line block ×6, first 2 shown]
	v_add_f32_e32 v8, v2, v3
	v_sub_f32_e32 v6, v6, v12
	v_add_f32_e32 v6, v7, v6
	v_sub_f32_e32 v7, v8, v2
	;; [unrolled: 2-line block ×3, first 2 shown]
	v_sub_f32_e32 v3, v3, v7
	v_add_f32_e32 v10, v9, v6
	v_sub_f32_e32 v2, v2, v8
	v_sub_f32_e32 v7, v10, v9
	v_add_f32_e32 v2, v3, v2
	v_sub_f32_e32 v3, v6, v7
	v_add_f32_e32 v2, v2, v3
	v_add_f32_e32 v3, v10, v2
	v_sub_f32_e32 v6, v3, v10
	v_mul_f32_e32 v7, v4, v3
	v_sub_f32_e32 v2, v2, v6
	v_fma_f32 v3, v4, v3, -v7
	v_cmp_class_f32_e64 vcc_lo, v7, 0x204
	v_fmac_f32_e32 v3, v4, v2
	v_add_f32_e32 v2, v7, v3
	v_cndmask_b32_e32 v6, v2, v7, vcc_lo
	v_sub_f32_e32 v2, v2, v7
	v_cmp_eq_f32_e32 vcc_lo, 0x42b17218, v6
	v_sub_f32_e32 v2, v3, v2
	v_cndmask_b32_e64 v8, 0, 0x37000000, vcc_lo
	v_cmp_neq_f32_e64 vcc_lo, 0x7f800000, |v6|
	v_sub_f32_e32 v9, v6, v8
	v_cndmask_b32_e32 v2, 0, v2, vcc_lo
	v_trunc_f32_e32 v6, v4
	v_mul_f32_e32 v10, 0x3fb8aa3b, v9
	v_cmp_ngt_f32_e32 vcc_lo, 0xc2ce8ed0, v9
	v_add_f32_e32 v2, v8, v2
	v_fma_f32 v11, 0x3fb8aa3b, v9, -v10
	v_rndne_f32_e32 v12, v10
	v_fmamk_f32 v11, v9, 0x32a5705f, v11
	v_sub_f32_e32 v10, v10, v12
	v_cvt_i32_f32_e32 v7, v12
	v_add_f32_e32 v10, v10, v11
	v_exp_f32_e32 v10, v10
	v_ldexp_f32 v3, v10, v7
	v_mul_f32_e32 v7, 0.5, v4
	v_cndmask_b32_e32 v3, 0, v3, vcc_lo
	v_cmp_nlt_f32_e32 vcc_lo, 0x42b17218, v9
	v_trunc_f32_e32 v10, v7
	v_cndmask_b32_e32 v3, 0x7f800000, v3, vcc_lo
	v_cmp_eq_f32_e32 vcc_lo, v6, v4
	v_cmp_neq_f32_e64 s6, v10, v7
	v_fma_f32 v2, v3, v2, v3
	v_cmp_class_f32_e64 s7, v3, 0x204
	s_and_b32 s6, vcc_lo, s6
	v_cndmask_b32_e64 v6, 1.0, v5, s6
	v_cndmask_b32_e64 v2, v2, v3, s7
	v_cmp_gt_f32_e64 s7, 0, v4
	v_bfi_b32 v2, 0x7fffffff, v2, v6
	s_xor_b32 s7, s7, s9
	v_cndmask_b32_e64 v6, 0, v5, s6
	v_cndmask_b32_e64 v3, 0x7f800000, 0, s7
	v_cmp_class_f32_e64 s6, v5, 0x204
	v_cndmask_b32_e32 v4, 0x7fc00000, v2, vcc_lo
	v_cmp_gt_f32_e32 vcc_lo, 0, v5
	v_bfi_b32 v3, 0x7fffffff, v3, v6
	v_cndmask_b32_e32 v2, v2, v4, vcc_lo
	s_or_b32 vcc_lo, s9, s6
	v_cndmask_b32_e32 v2, v2, v3, vcc_lo
	v_cmp_o_f32_e32 vcc_lo, v5, v5
	v_cndmask_b32_e32 v100, 0x7fc00000, v2, vcc_lo
.LBB56_4:
	s_load_dwordx4 s[52:55], s[4:5], 0x70
	s_lshl_b32 s35, s8, 5
	v_lshlrev_b32_e32 v2, 4, v0
	v_lshlrev_b32_e32 v86, 2, v1
	v_cmp_gt_u32_e64 s6, 28, v0
	v_lshlrev_b32_e32 v89, 3, v0
	v_add_nc_u32_e32 v88, s35, v86
	s_waitcnt lgkmcnt(0)
	s_mul_i32 s7, s33, s54
	s_mul_i32 s9, s22, s53
	s_ashr_i32 s10, s7, 31
	s_add_u32 s7, s16, s7
	s_addc_u32 s10, s17, s10
	s_ashr_i32 s13, s9, 31
	s_add_u32 s7, s7, s9
	s_addc_u32 s9, s10, s13
	v_add_co_u32 v2, s7, s7, v2
	v_add_co_ci_u32_e64 v3, null, s9, 0, s7
	s_ashr_i32 s53, s52, 31
	s_mul_i32 s7, s11, s46
	s_lshr_b64 s[10:11], s[52:53], 2
	s_and_saveexec_b32 s9, s6
	s_cbranch_execz .LBB56_6
; %bb.5:
	v_mul_hi_u32 v4, v88, s36
	v_mad_u32_u24 v8, 0x380, v1, v89
	v_add_nc_u32_e32 v4, v88, v4
	v_lshrrev_b32_e32 v4, s37, v4
	v_mul_lo_u32 v4, v4, s38
	v_sub_nc_u32_e32 v6, v88, v4
	v_mad_u64_u32 v[4:5], null, s10, v6, 0
	v_mad_u64_u32 v[5:6], null, s11, v6, v[5:6]
	v_lshlrev_b64 v[4:5], 2, v[4:5]
	v_add_co_u32 v4, vcc_lo, v2, v4
	v_add_co_ci_u32_e64 v5, null, v3, v5, vcc_lo
	global_load_dwordx4 v[4:7], v[4:5], off
	s_waitcnt vmcnt(0)
	v_fma_mixlo_f16 v5, s12, v5, 0
	v_fma_mixlo_f16 v4, s12, v4, 0
	;; [unrolled: 1-line block ×4, first 2 shown]
	v_lshlrev_b32_e32 v5, 16, v5
	v_and_b32_e32 v4, 0xffff, v4
	v_and_b32_e32 v6, 0xffff, v6
	v_lshlrev_b32_e32 v7, 16, v7
	v_or_b32_e32 v4, v5, v4
	v_or3_b32 v5, v7, v6, 0
	v_or3_b32 v4, 0, 0, v4
	ds_write_b64 v8, v[4:5]
.LBB56_6:
	s_or_b32 exec_lo, exec_lo, s9
	v_or_b32_e32 v85, 1, v86
	s_mul_hi_u32 s9, s46, s7
	v_add_nc_u32_e32 v87, s35, v85
	s_and_saveexec_b32 s7, s6
	s_cbranch_execz .LBB56_8
; %bb.7:
	v_mul_hi_u32 v4, v87, s36
	v_mad_u32_u24 v8, 0xe0, v85, v89
	v_add_nc_u32_e32 v4, v87, v4
	v_lshrrev_b32_e32 v4, s37, v4
	v_mul_lo_u32 v4, v4, s38
	v_sub_nc_u32_e32 v6, v87, v4
	v_mad_u64_u32 v[4:5], null, s10, v6, 0
	v_mad_u64_u32 v[5:6], null, s11, v6, v[5:6]
	v_lshlrev_b64 v[4:5], 2, v[4:5]
	v_add_co_u32 v4, vcc_lo, v2, v4
	v_add_co_ci_u32_e64 v5, null, v3, v5, vcc_lo
	global_load_dwordx4 v[4:7], v[4:5], off
	s_waitcnt vmcnt(0)
	v_fma_mixlo_f16 v5, s12, v5, 0
	v_fma_mixlo_f16 v4, s12, v4, 0
	v_fma_mixlo_f16 v6, s12, v6, 0
	v_fma_mixlo_f16 v7, s12, v7, 0
	v_lshlrev_b32_e32 v5, 16, v5
	v_and_b32_e32 v4, 0xffff, v4
	v_and_b32_e32 v6, 0xffff, v6
	v_lshlrev_b32_e32 v7, 16, v7
	v_or_b32_e32 v4, v5, v4
	v_or3_b32 v5, v7, v6, 0
	v_or3_b32 v4, 0, 0, v4
	ds_write_b64 v8, v[4:5]
.LBB56_8:
	s_or_b32 exec_lo, exec_lo, s7
	v_or_b32_e32 v84, 2, v86
	s_abs_i32 s7, s22
	s_add_i32 s46, s46, s9
	s_and_saveexec_b32 s9, s6
	s_cbranch_execz .LBB56_10
; %bb.9:
	v_add_nc_u32_e32 v4, s35, v84
	v_mad_u32_u24 v8, 0xe0, v84, v89
	v_mul_hi_u32 v5, v4, s36
	v_add_nc_u32_e32 v5, v4, v5
	v_lshrrev_b32_e32 v5, s37, v5
	v_mul_lo_u32 v5, v5, s38
	v_sub_nc_u32_e32 v6, v4, v5
	v_mad_u64_u32 v[4:5], null, s10, v6, 0
	v_mad_u64_u32 v[5:6], null, s11, v6, v[5:6]
	v_lshlrev_b64 v[4:5], 2, v[4:5]
	v_add_co_u32 v4, vcc_lo, v2, v4
	v_add_co_ci_u32_e64 v5, null, v3, v5, vcc_lo
	global_load_dwordx4 v[4:7], v[4:5], off
	s_waitcnt vmcnt(0)
	v_fma_mixlo_f16 v5, s12, v5, 0
	v_fma_mixlo_f16 v4, s12, v4, 0
	;; [unrolled: 1-line block ×4, first 2 shown]
	v_lshlrev_b32_e32 v5, 16, v5
	v_and_b32_e32 v4, 0xffff, v4
	v_and_b32_e32 v6, 0xffff, v6
	v_lshlrev_b32_e32 v7, 16, v7
	v_or_b32_e32 v4, v5, v4
	v_or3_b32 v5, v7, v6, 0
	v_or3_b32 v4, 0, 0, v4
	ds_write_b64 v8, v[4:5]
.LBB56_10:
	s_or_b32 exec_lo, exec_lo, s9
	v_or_b32_e32 v83, 3, v86
	s_mul_hi_u32 s13, s7, s46
	s_and_saveexec_b32 s9, s6
	s_cbranch_execz .LBB56_12
; %bb.11:
	v_add_nc_u32_e32 v4, s35, v83
	v_mul_hi_u32 v5, v4, s36
	v_add_nc_u32_e32 v5, v4, v5
	v_lshrrev_b32_e32 v5, s37, v5
	v_mul_lo_u32 v5, v5, s38
	v_sub_nc_u32_e32 v6, v4, v5
	v_mad_u64_u32 v[4:5], null, s10, v6, 0
	v_mad_u64_u32 v[5:6], null, s11, v6, v[5:6]
	v_mad_u32_u24 v6, 0xe0, v83, v89
	v_lshlrev_b64 v[4:5], 2, v[4:5]
	v_add_co_u32 v2, vcc_lo, v2, v4
	v_add_co_ci_u32_e64 v3, null, v3, v5, vcc_lo
	global_load_dwordx4 v[2:5], v[2:3], off
	s_waitcnt vmcnt(0)
	v_fma_mixlo_f16 v3, s12, v3, 0
	v_fma_mixlo_f16 v2, s12, v2, 0
	;; [unrolled: 1-line block ×4, first 2 shown]
	v_lshlrev_b32_e32 v3, 16, v3
	v_and_b32_e32 v2, 0xffff, v2
	v_and_b32_e32 v4, 0xffff, v4
	v_lshlrev_b32_e32 v5, 16, v5
	v_or_b32_e32 v2, v3, v2
	v_or3_b32 v3, v5, v4, 0
	v_or3_b32 v2, 0, 0, v2
	ds_write_b64 v6, v[2:3]
.LBB56_12:
	s_or_b32 exec_lo, exec_lo, s9
	s_ashr_i32 s23, s22, 31
	s_ashr_i32 s12, s43, 31
	s_cmp_eq_u64 s[26:27], 0
	s_waitcnt lgkmcnt(0)
	s_barrier
	buffer_gl0_inv
	s_cbranch_scc1 .LBB56_14
; %bb.13:
	s_load_dword s9, s[4:5], 0xd0
	s_waitcnt lgkmcnt(0)
	s_mul_i32 s9, s9, s33
	s_add_i32 s8, s9, s8
	s_mov_b32 s9, 0
	s_lshl_b64 s[8:9], s[8:9], 2
	s_add_u32 s8, s26, s8
	s_addc_u32 s9, s27, s9
	s_load_dword s42, s[8:9], 0x0
.LBB56_14:
	s_clause 0x1
	s_load_dwordx2 s[14:15], s[4:5], 0x8c
	s_load_dwordx4 s[8:11], s[4:5], 0x98
	s_ashr_i32 s26, s33, 31
	s_load_dwordx2 s[16:17], s[4:5], 0xa8
	s_ashr_i32 s46, s45, 1
	s_mul_i32 s27, s13, s48
	v_lshlrev_b32_e32 v70, 2, v0
	v_lshl_add_u32 v113, v1, 5, v0
	v_lshrrev_b32_e32 v112, 1, v0
	v_lshrrev_b32_e32 v110, 2, v0
	v_lshlrev_b32_e32 v109, 7, v0
	v_mul_u32_u24_e32 v104, 0x380, v1
	v_and_b32_e32 v103, 4, v70
	v_and_b32_e32 v111, 12, v70
	v_lshl_add_u32 v91, v1, 8, 0x2c40
	v_lshrrev_b32_e32 v102, 3, v0
	v_and_b32_e32 v101, 28, v70
	v_mbcnt_lo_u32_b32 v90, -1, 0
	s_waitcnt lgkmcnt(0)
	s_ashr_i32 s47, s14, 2
	s_ashr_i32 s43, s10, 2
	s_mul_hi_u32 s10, s8, s33
	s_mul_i32 s14, s8, s26
	s_mul_i32 s9, s9, s33
	s_add_i32 s10, s10, s14
	s_mul_i32 s8, s8, s33
	s_add_i32 s10, s10, s9
	s_add_u32 s8, s18, s8
	s_addc_u32 s9, s19, s10
	s_sub_i32 s7, s7, s27
	s_xor_b32 s10, s23, s12
	s_add_i32 s12, s13, 1
	s_sub_i32 s14, s7, s48
	s_cmp_ge_u32 s7, s48
	s_cselect_b32 s12, s12, s13
	s_cselect_b32 s7, s14, s7
	s_add_i32 s13, s12, 1
	s_cmp_ge_u32 s7, s48
	s_cselect_b32 s7, s13, s12
	s_mul_hi_u32 s12, s16, s33
	s_xor_b32 s7, s7, s10
	s_mul_i32 s13, s16, s26
	s_sub_i32 s7, s7, s10
	s_mul_i32 s10, s17, s33
	s_mul_i32 s14, s7, s15
	s_mul_i32 s15, s16, s33
	s_ashr_i32 s16, s14, 31
	s_add_u32 s48, s8, s14
	s_addc_u32 s49, s9, s16
	s_add_i32 s8, s12, s13
	s_mul_i32 s7, s7, s11
	s_add_i32 s8, s8, s10
	s_add_u32 s9, s20, s15
	s_addc_u32 s8, s21, s8
	s_ashr_i32 s10, s7, 31
	s_add_u32 s21, s9, s7
	s_addc_u32 s44, s8, s10
	s_lshl_b32 s45, s34, 5
	s_sub_i32 s50, s42, 32
	s_cmp_ge_i32 s45, s50
	s_cbranch_scc1 .LBB56_50
; %bb.15:
	v_or_b32_e32 v12, 2, v88
	v_or_b32_e32 v10, 1, v88
	v_mul_hi_u32 v5, s36, v88
	v_or_b32_e32 v13, 3, v88
	v_lshl_add_u32 v7, v1, 3, v110
	v_mul_hi_u32 v9, s36, v12
	v_mul_hi_u32 v8, s36, v10
	v_lshlrev_b32_e32 v15, 2, v111
	v_mul_hi_u32 v14, s36, v13
	v_lshl_add_u32 v6, v1, 4, v112
	v_add_nc_u32_e32 v5, v88, v5
	v_lshlrev_b32_e32 v11, 2, v103
	v_lshl_or_b32 v16, v7, 7, v15
	v_add_nc_u32_e32 v9, v12, v9
	v_add_nc_u32_e32 v8, v10, v8
	v_lshrrev_b32_e32 v5, s37, v5
	v_add_nc_u32_e32 v14, v13, v14
	v_add_nc_u32_e32 v117, 0x1c00, v16
	v_lshrrev_b32_e32 v9, s37, v9
	v_lshrrev_b32_e32 v17, s37, v8
	v_mul_lo_u32 v18, v5, s38
	v_lshrrev_b32_e32 v14, s37, v14
	v_lshl_or_b32 v4, v6, 7, v11
	v_mul_lo_u32 v19, v9, s38
	v_mul_lo_u32 v17, v17, s38
	v_cmp_gt_u32_e64 s8, 32, v6
	v_mul_lo_u32 v14, v14, s38
	v_mul_lo_u32 v2, s47, v113
	v_sub_nc_u32_e32 v16, v88, v18
	v_add_nc_u32_e32 v116, 0x1c40, v4
	v_mul_lo_u32 v4, s47, v6
	v_sub_nc_u32_e32 v12, v12, v19
	v_sub_nc_u32_e32 v10, v10, v17
	v_mul_lo_u32 v118, v16, s46
	v_add_nc_u32_e32 v16, v102, v86
	v_mul_lo_u32 v8, s47, v7
	v_mul_lo_u32 v120, v12, s46
	v_mul_u32_u24_e32 v12, 0xe0, v6
	v_sub_nc_u32_e32 v13, v13, v14
	v_mul_lo_u32 v119, v10, s46
	v_cmp_gt_u32_e64 s10, 16, v6
	v_mul_lo_u32 v10, s43, v6
	v_or_b32_e32 v6, v12, v11
	v_mul_lo_u32 v12, s43, v7
	v_mul_lo_u32 v14, s43, v16
	v_cmp_gt_u32_e64 s9, 32, v7
	v_cmp_gt_u32_e64 s11, 16, v7
	v_mul_u32_u24_e32 v7, 0xe0, v7
	v_ashrrev_i32_e32 v3, 31, v2
	v_ashrrev_i32_e32 v5, 31, v4
	v_ashrrev_i32_e32 v9, 31, v8
	v_mul_lo_u32 v121, v13, s46
	v_ashrrev_i32_e32 v11, 31, v10
	v_add3_u32 v123, v7, v15, 0x1c80
	v_ashrrev_i32_e32 v13, 31, v12
	v_ashrrev_i32_e32 v15, 31, v14
	v_cmp_gt_u32_e64 s12, 16, v16
	v_mul_u32_u24_e32 v16, 0xe0, v16
	v_lshlrev_b32_e32 v17, 2, v101
	v_lshlrev_b64 v[71:72], 2, v[2:3]
	v_lshlrev_b64 v[73:74], 2, v[4:5]
	;; [unrolled: 1-line block ×6, first 2 shown]
	v_cmp_gt_u32_e64 s7, 32, v113
	v_add_nc_u32_e32 v114, 0x1c00, v109
	v_add_nc_u32_e32 v115, 0x1c60, v109
	v_mov_b32_e32 v92, 0
	s_cmp_lg_u64 s[40:41], 0
	v_add_nc_u32_e32 v122, 0x1cc0, v6
	v_add3_u32 v124, v16, v17, 0x1c00
	v_mov_b32_e32 v7, 0xfeffffff
	v_lshlrev_b32_e32 v125, 2, v103
	v_lshlrev_b32_e32 v126, 2, v111
	v_mbcnt_lo_u32_b32 v127, -1, 0
	v_mov_b32_e32 v128, 0x10001
	v_mov_b32_e32 v93, 0
	;; [unrolled: 1-line block ×15, first 2 shown]
	s_cselect_b32 s51, -1, 0
	s_add_u32 s26, s4, 0xd0
	s_addc_u32 s27, s5, 0
.LBB56_16:                              ; =>This Inner Loop Header: Depth=1
	s_mul_hi_i32 s15, s45, s47
	s_mul_i32 s14, s45, s47
	s_lshl_b64 s[14:15], s[14:15], 2
	s_add_u32 s13, s48, s14
	s_addc_u32 s14, s49, s15
	s_and_saveexec_b32 s15, s7
	s_cbranch_execnz .LBB56_42
; %bb.17:                               ;   in Loop: Header=BB56_16 Depth=1
	s_or_b32 exec_lo, exec_lo, s15
	s_and_saveexec_b32 s15, s8
	s_cbranch_execnz .LBB56_43
.LBB56_18:                              ;   in Loop: Header=BB56_16 Depth=1
	s_or_b32 exec_lo, exec_lo, s15
	s_and_saveexec_b32 s15, s9
	s_cbranch_execz .LBB56_20
.LBB56_19:                              ;   in Loop: Header=BB56_16 Depth=1
	v_add_co_u32 v2, vcc_lo, s13, v75
	v_add_co_ci_u32_e64 v3, null, s14, v76, vcc_lo
	v_add_co_u32 v2, vcc_lo, v2, v126
	v_add_co_ci_u32_e64 v3, null, 0, v3, vcc_lo
	global_load_dwordx4 v[2:5], v[2:3], off
	s_waitcnt vmcnt(0)
	ds_write_b128 v117, v[2:5]
.LBB56_20:                              ;   in Loop: Header=BB56_16 Depth=1
	s_or_b32 exec_lo, exec_lo, s15
	s_waitcnt lgkmcnt(0)
	s_barrier
	buffer_gl0_inv
	ds_read_b128 v[10:13], v114
	ds_read_b128 v[14:17], v104
	ds_read_b128 v[18:21], v104 offset:224
	ds_read_b128 v[22:25], v104 offset:448
	ds_read_b128 v[26:29], v104 offset:672
	v_mov_b32_e32 v5, 0
	v_mov_b32_e32 v4, 0
	;; [unrolled: 1-line block ×4, first 2 shown]
	s_waitcnt lgkmcnt(3)
	;;#ASMSTART
	v_dot2_f32_f16 v5, v10, v14, v5
	;;#ASMEND
	;;#ASMSTART
	v_dot2_f32_f16 v5, v11, v15, v5
	;;#ASMEND
	;;#ASMSTART
	v_dot2_f32_f16 v5, v12, v16, v5
	;;#ASMEND
	;;#ASMSTART
	v_dot2_f32_f16 v5, v13, v17, v5
	;;#ASMEND
	s_waitcnt lgkmcnt(2)
	;;#ASMSTART
	v_dot2_f32_f16 v4, v10, v18, v4
	;;#ASMEND
	;;#ASMSTART
	v_dot2_f32_f16 v4, v11, v19, v4
	;;#ASMEND
	;;#ASMSTART
	v_dot2_f32_f16 v4, v12, v20, v4
	;;#ASMEND
	;;#ASMSTART
	v_dot2_f32_f16 v4, v13, v21, v4
	;;#ASMEND
	s_waitcnt lgkmcnt(1)
	;;#ASMSTART
	v_dot2_f32_f16 v3, v10, v22, v3
	;;#ASMEND
	;;#ASMSTART
	v_dot2_f32_f16 v3, v11, v23, v3
	;;#ASMEND
	;;#ASMSTART
	v_dot2_f32_f16 v3, v12, v24, v3
	;;#ASMEND
	;;#ASMSTART
	v_dot2_f32_f16 v3, v13, v25, v3
	;;#ASMEND
	s_waitcnt lgkmcnt(0)
	;;#ASMSTART
	v_dot2_f32_f16 v2, v10, v26, v2
	;;#ASMEND
	;;#ASMSTART
	v_dot2_f32_f16 v2, v11, v27, v2
	;;#ASMEND
	;;#ASMSTART
	v_dot2_f32_f16 v2, v12, v28, v2
	;;#ASMEND
	;;#ASMSTART
	v_dot2_f32_f16 v2, v13, v29, v2
	;;#ASMEND
	ds_read_b128 v[10:13], v114 offset:16
	ds_read_b128 v[14:17], v104 offset:16
	ds_read_b128 v[18:21], v104 offset:240
	ds_read_b128 v[22:25], v104 offset:464
	ds_read_b128 v[26:29], v104 offset:688
	s_waitcnt lgkmcnt(3)
	;;#ASMSTART
	v_dot2_f32_f16 v5, v10, v14, v5
	;;#ASMEND
	;;#ASMSTART
	v_dot2_f32_f16 v5, v11, v15, v5
	;;#ASMEND
	;;#ASMSTART
	v_dot2_f32_f16 v5, v12, v16, v5
	;;#ASMEND
	;;#ASMSTART
	v_dot2_f32_f16 v5, v13, v17, v5
	;;#ASMEND
	s_waitcnt lgkmcnt(2)
	;;#ASMSTART
	v_dot2_f32_f16 v4, v10, v18, v4
	;;#ASMEND
	;;#ASMSTART
	v_dot2_f32_f16 v4, v11, v19, v4
	;;#ASMEND
	;;#ASMSTART
	v_dot2_f32_f16 v4, v12, v20, v4
	;;#ASMEND
	;;#ASMSTART
	v_dot2_f32_f16 v4, v13, v21, v4
	;;#ASMEND
	s_waitcnt lgkmcnt(1)
	;;#ASMSTART
	v_dot2_f32_f16 v3, v10, v22, v3
	;;#ASMEND
	;;#ASMSTART
	v_dot2_f32_f16 v3, v11, v23, v3
	;;#ASMEND
	;;#ASMSTART
	v_dot2_f32_f16 v3, v12, v24, v3
	;;#ASMEND
	;;#ASMSTART
	v_dot2_f32_f16 v3, v13, v25, v3
	;;#ASMEND
	s_waitcnt lgkmcnt(0)
	;;#ASMSTART
	v_dot2_f32_f16 v2, v10, v26, v2
	;;#ASMEND
	;;#ASMSTART
	v_dot2_f32_f16 v2, v11, v27, v2
	;;#ASMEND
	;;#ASMSTART
	v_dot2_f32_f16 v2, v12, v28, v2
	;;#ASMEND
	;;#ASMSTART
	v_dot2_f32_f16 v2, v13, v29, v2
	;;#ASMEND
	ds_read_b128 v[10:13], v114 offset:32
	ds_read_b128 v[14:17], v104 offset:32
	ds_read_b128 v[18:21], v104 offset:256
	ds_read_b128 v[22:25], v104 offset:480
	ds_read_b128 v[26:29], v104 offset:704
	;; [unrolled: 57-line block ×6, first 2 shown]
	s_waitcnt lgkmcnt(3)
	;;#ASMSTART
	v_dot2_f32_f16 v5, v10, v14, v5
	;;#ASMEND
	;;#ASMSTART
	v_dot2_f32_f16 v5, v11, v15, v5
	;;#ASMEND
	;;#ASMSTART
	v_dot2_f32_f16 v5, v12, v16, v5
	;;#ASMEND
	;;#ASMSTART
	v_dot2_f32_f16 v5, v13, v17, v5
	;;#ASMEND
	s_waitcnt lgkmcnt(2)
	;;#ASMSTART
	v_dot2_f32_f16 v4, v10, v18, v4
	;;#ASMEND
	;;#ASMSTART
	v_dot2_f32_f16 v4, v11, v19, v4
	;;#ASMEND
	;;#ASMSTART
	v_dot2_f32_f16 v4, v12, v20, v4
	;;#ASMEND
	;;#ASMSTART
	v_dot2_f32_f16 v4, v13, v21, v4
	;;#ASMEND
	;; [unrolled: 13-line block ×4, first 2 shown]
	s_barrier
	buffer_gl0_inv
	s_and_saveexec_b32 s15, s7
	s_cbranch_execnz .LBB56_44
; %bb.21:                               ;   in Loop: Header=BB56_16 Depth=1
	s_or_b32 exec_lo, exec_lo, s15
	s_and_saveexec_b32 s15, s8
	s_cbranch_execnz .LBB56_45
.LBB56_22:                              ;   in Loop: Header=BB56_16 Depth=1
	s_or_b32 exec_lo, exec_lo, s15
	s_and_saveexec_b32 s15, s9
	s_cbranch_execz .LBB56_24
.LBB56_23:                              ;   in Loop: Header=BB56_16 Depth=1
	v_add_co_u32 v10, vcc_lo, s13, v75
	v_add_co_ci_u32_e64 v11, null, s14, v76, vcc_lo
	v_add_co_u32 v10, vcc_lo, v10, v126
	v_add_co_ci_u32_e64 v11, null, 0, v11, vcc_lo
	global_load_dwordx4 v[10:13], v[10:11], off offset:112
	s_waitcnt vmcnt(0)
	ds_write_b128 v117, v[10:13]
.LBB56_24:                              ;   in Loop: Header=BB56_16 Depth=1
	s_or_b32 exec_lo, exec_lo, s15
	s_waitcnt lgkmcnt(0)
	s_barrier
	buffer_gl0_inv
	ds_read_b128 v[10:13], v114
	ds_read_b128 v[14:17], v104 offset:112
	ds_read_b128 v[18:21], v104 offset:336
	;; [unrolled: 1-line block ×4, first 2 shown]
	s_andn2_b32 vcc_lo, exec_lo, s51
	s_waitcnt lgkmcnt(3)
	;;#ASMSTART
	v_dot2_f32_f16 v5, v10, v14, v5
	;;#ASMEND
	;;#ASMSTART
	v_dot2_f32_f16 v5, v11, v15, v5
	;;#ASMEND
	;;#ASMSTART
	v_dot2_f32_f16 v5, v12, v16, v5
	;;#ASMEND
	;;#ASMSTART
	v_dot2_f32_f16 v5, v13, v17, v5
	;;#ASMEND
	s_waitcnt lgkmcnt(2)
	;;#ASMSTART
	v_dot2_f32_f16 v4, v10, v18, v4
	;;#ASMEND
	;;#ASMSTART
	v_dot2_f32_f16 v4, v11, v19, v4
	;;#ASMEND
	;;#ASMSTART
	v_dot2_f32_f16 v4, v12, v20, v4
	;;#ASMEND
	;;#ASMSTART
	v_dot2_f32_f16 v4, v13, v21, v4
	;;#ASMEND
	s_waitcnt lgkmcnt(1)
	;;#ASMSTART
	v_dot2_f32_f16 v3, v10, v22, v3
	;;#ASMEND
	;;#ASMSTART
	v_dot2_f32_f16 v3, v11, v23, v3
	;;#ASMEND
	;;#ASMSTART
	v_dot2_f32_f16 v3, v12, v24, v3
	;;#ASMEND
	;;#ASMSTART
	v_dot2_f32_f16 v3, v13, v25, v3
	;;#ASMEND
	s_waitcnt lgkmcnt(0)
	;;#ASMSTART
	v_dot2_f32_f16 v2, v10, v26, v2
	;;#ASMEND
	;;#ASMSTART
	v_dot2_f32_f16 v2, v11, v27, v2
	;;#ASMEND
	;;#ASMSTART
	v_dot2_f32_f16 v2, v12, v28, v2
	;;#ASMEND
	;;#ASMSTART
	v_dot2_f32_f16 v2, v13, v29, v2
	;;#ASMEND
	ds_read_b128 v[10:13], v114 offset:16
	ds_read_b128 v[14:17], v104 offset:128
	ds_read_b128 v[18:21], v104 offset:352
	ds_read_b128 v[22:25], v104 offset:576
	ds_read_b128 v[26:29], v104 offset:800
	s_waitcnt lgkmcnt(3)
	;;#ASMSTART
	v_dot2_f32_f16 v5, v10, v14, v5
	;;#ASMEND
	;;#ASMSTART
	v_dot2_f32_f16 v5, v11, v15, v5
	;;#ASMEND
	;;#ASMSTART
	v_dot2_f32_f16 v5, v12, v16, v5
	;;#ASMEND
	;;#ASMSTART
	v_dot2_f32_f16 v5, v13, v17, v5
	;;#ASMEND
	s_waitcnt lgkmcnt(2)
	;;#ASMSTART
	v_dot2_f32_f16 v4, v10, v18, v4
	;;#ASMEND
	;;#ASMSTART
	v_dot2_f32_f16 v4, v11, v19, v4
	;;#ASMEND
	;;#ASMSTART
	v_dot2_f32_f16 v4, v12, v20, v4
	;;#ASMEND
	;;#ASMSTART
	v_dot2_f32_f16 v4, v13, v21, v4
	;;#ASMEND
	s_waitcnt lgkmcnt(1)
	;;#ASMSTART
	v_dot2_f32_f16 v3, v10, v22, v3
	;;#ASMEND
	;;#ASMSTART
	v_dot2_f32_f16 v3, v11, v23, v3
	;;#ASMEND
	;;#ASMSTART
	v_dot2_f32_f16 v3, v12, v24, v3
	;;#ASMEND
	;;#ASMSTART
	v_dot2_f32_f16 v3, v13, v25, v3
	;;#ASMEND
	s_waitcnt lgkmcnt(0)
	;;#ASMSTART
	v_dot2_f32_f16 v2, v10, v26, v2
	;;#ASMEND
	;;#ASMSTART
	v_dot2_f32_f16 v2, v11, v27, v2
	;;#ASMEND
	;;#ASMSTART
	v_dot2_f32_f16 v2, v12, v28, v2
	;;#ASMEND
	;;#ASMSTART
	v_dot2_f32_f16 v2, v13, v29, v2
	;;#ASMEND
	ds_read_b128 v[10:13], v114 offset:32
	ds_read_b128 v[14:17], v104 offset:144
	ds_read_b128 v[18:21], v104 offset:368
	ds_read_b128 v[22:25], v104 offset:592
	ds_read_b128 v[26:29], v104 offset:816
	;; [unrolled: 57-line block ×6, first 2 shown]
	s_waitcnt lgkmcnt(3)
	;;#ASMSTART
	v_dot2_f32_f16 v5, v13, v17, v5
	;;#ASMEND
	;;#ASMSTART
	v_dot2_f32_f16 v5, v14, v18, v5
	;;#ASMEND
	;; [unrolled: 3-line block ×4, first 2 shown]
	s_waitcnt lgkmcnt(2)
	;;#ASMSTART
	v_dot2_f32_f16 v4, v13, v21, v4
	;;#ASMEND
	;;#ASMSTART
	v_dot2_f32_f16 v4, v14, v22, v4
	;;#ASMEND
	;; [unrolled: 3-line block ×4, first 2 shown]
	s_waitcnt lgkmcnt(1)
	;;#ASMSTART
	v_dot2_f32_f16 v3, v13, v25, v3
	;;#ASMEND
	v_add_nc_u32_e32 v11, s45, v0
	v_mov_b32_e32 v10, 0
	v_mov_b32_e32 v12, 0
	;;#ASMSTART
	v_dot2_f32_f16 v3, v14, v26, v3
	;;#ASMEND
	;;#ASMSTART
	v_dot2_f32_f16 v3, v15, v27, v3
	;;#ASMEND
	;; [unrolled: 3-line block ×3, first 2 shown]
	s_waitcnt lgkmcnt(0)
	;;#ASMSTART
	v_dot2_f32_f16 v2, v13, v29, v2
	;;#ASMEND
	;;#ASMSTART
	v_dot2_f32_f16 v2, v14, v30, v2
	;;#ASMEND
	;; [unrolled: 3-line block ×4, first 2 shown]
	s_cbranch_vccnz .LBB56_26
; %bb.25:                               ;   in Loop: Header=BB56_16 Depth=1
	v_add_nc_u32_e32 v12, v11, v118
	v_ashrrev_i32_e32 v13, 31, v12
	v_lshlrev_b64 v[12:13], 1, v[12:13]
	v_add_co_u32 v12, vcc_lo, s40, v12
	v_add_co_ci_u32_e64 v13, null, s41, v13, vcc_lo
	global_load_ushort v12, v[12:13], off
	s_waitcnt vmcnt(0)
	v_cvt_f32_f16_e32 v12, v12
	v_mul_f32_e32 v12, v100, v12
.LBB56_26:                              ;   in Loop: Header=BB56_16 Depth=1
	v_xor_b32_e32 v13, 16, v127
	v_add_f32_e32 v5, v5, v12
	v_max_f32_e32 v12, v7, v7
	v_xor_b32_e32 v15, 8, v127
	v_cmp_gt_i32_e32 vcc_lo, 32, v13
	v_add_f32_e32 v14, 0x40051340, v5
	v_cndmask_b32_e32 v13, v127, v13, vcc_lo
	v_max_f32_e32 v12, v12, v14
	v_cmp_gt_i32_e32 vcc_lo, 32, v15
	v_lshlrev_b32_e32 v13, 2, v13
	v_cndmask_b32_e32 v15, v127, v15, vcc_lo
	ds_bpermute_b32 v14, v13, v12
	s_waitcnt lgkmcnt(0)
	v_max_f32_e32 v16, v14, v14
	v_lshlrev_b32_e32 v14, 2, v15
	v_max_f32_e32 v12, v12, v16
	v_xor_b32_e32 v16, 4, v127
	ds_bpermute_b32 v15, v14, v12
	v_cmp_gt_i32_e32 vcc_lo, 32, v16
	v_cndmask_b32_e32 v16, v127, v16, vcc_lo
	s_waitcnt lgkmcnt(0)
	v_max_f32_e32 v17, v15, v15
	v_lshlrev_b32_e32 v15, 2, v16
	v_max_f32_e32 v12, v12, v17
	v_xor_b32_e32 v17, 2, v127
	ds_bpermute_b32 v16, v15, v12
	v_cmp_gt_i32_e32 vcc_lo, 32, v17
	v_cndmask_b32_e32 v17, v127, v17, vcc_lo
	;; [unrolled: 8-line block ×3, first 2 shown]
	s_andn2_b32 vcc_lo, exec_lo, s51
	v_lshlrev_b32_e32 v19, 2, v18
	s_waitcnt lgkmcnt(0)
	v_max_f32_e32 v17, v17, v17
	v_max_f32_e32 v17, v12, v17
	ds_bpermute_b32 v18, v19, v17
	s_cbranch_vccnz .LBB56_28
; %bb.27:                               ;   in Loop: Header=BB56_16 Depth=1
	v_add_nc_u32_e32 v20, v11, v119
	v_ashrrev_i32_e32 v21, 31, v20
	v_lshlrev_b64 v[20:21], 1, v[20:21]
	v_add_co_u32 v20, vcc_lo, s40, v20
	v_add_co_ci_u32_e64 v21, null, s41, v21, vcc_lo
	global_load_ushort v10, v[20:21], off
	s_waitcnt vmcnt(0)
	v_cvt_f32_f16_e32 v10, v10
	v_mul_f32_e32 v10, v100, v10
.LBB56_28:                              ;   in Loop: Header=BB56_16 Depth=1
	v_add_f32_e32 v10, v4, v10
	v_max_f32_e32 v12, v8, v8
	v_mov_b32_e32 v21, 0
	s_andn2_b32 vcc_lo, exec_lo, s51
	v_add_f32_e32 v4, 0x40051340, v10
	v_max_f32_e32 v4, v12, v4
	ds_bpermute_b32 v12, v13, v4
	s_waitcnt lgkmcnt(0)
	v_max_f32_e32 v12, v12, v12
	v_max_f32_e32 v4, v4, v12
	ds_bpermute_b32 v12, v14, v4
	s_waitcnt lgkmcnt(0)
	v_max_f32_e32 v12, v12, v12
	;; [unrolled: 4-line block ×4, first 2 shown]
	v_max_f32_e32 v4, v4, v12
	v_mov_b32_e32 v12, 0
	ds_bpermute_b32 v20, v19, v4
	s_cbranch_vccnz .LBB56_30
; %bb.29:                               ;   in Loop: Header=BB56_16 Depth=1
	v_add_nc_u32_e32 v22, v11, v120
	v_ashrrev_i32_e32 v23, 31, v22
	v_lshlrev_b64 v[22:23], 1, v[22:23]
	v_add_co_u32 v22, vcc_lo, s40, v22
	v_add_co_ci_u32_e64 v23, null, s41, v23, vcc_lo
	global_load_ushort v12, v[22:23], off
	s_waitcnt vmcnt(0)
	v_cvt_f32_f16_e32 v12, v12
	v_mul_f32_e32 v12, v100, v12
.LBB56_30:                              ;   in Loop: Header=BB56_16 Depth=1
	v_add_f32_e32 v12, v3, v12
	v_max_f32_e32 v22, v9, v9
	s_andn2_b32 vcc_lo, exec_lo, s51
	v_add_f32_e32 v3, 0x40051340, v12
	v_max_f32_e32 v3, v22, v3
	ds_bpermute_b32 v22, v13, v3
	s_waitcnt lgkmcnt(0)
	v_max_f32_e32 v22, v22, v22
	v_max_f32_e32 v3, v3, v22
	ds_bpermute_b32 v22, v14, v3
	s_waitcnt lgkmcnt(0)
	v_max_f32_e32 v22, v22, v22
	;; [unrolled: 4-line block ×4, first 2 shown]
	v_max_f32_e32 v3, v3, v22
	ds_bpermute_b32 v22, v19, v3
	s_cbranch_vccnz .LBB56_32
; %bb.31:                               ;   in Loop: Header=BB56_16 Depth=1
	v_add_nc_u32_e32 v23, v11, v121
	v_ashrrev_i32_e32 v24, 31, v23
	v_lshlrev_b64 v[23:24], 1, v[23:24]
	v_add_co_u32 v23, vcc_lo, s40, v23
	v_add_co_ci_u32_e64 v24, null, s41, v24, vcc_lo
	global_load_ushort v11, v[23:24], off
	s_waitcnt vmcnt(0)
	v_cvt_f32_f16_e32 v11, v11
	v_mul_f32_e32 v21, v100, v11
.LBB56_32:                              ;   in Loop: Header=BB56_16 Depth=1
	v_add_f32_e32 v11, v2, v21
	v_max_f32_e32 v2, v6, v6
	v_max_f32_e32 v17, v17, v17
	;; [unrolled: 1-line block ×3, first 2 shown]
	s_mul_hi_i32 s53, s45, s43
	v_add_f32_e32 v21, 0x40051340, v11
	s_mul_i32 s52, s45, s43
	s_waitcnt lgkmcnt(0)
	s_lshl_b64 s[52:53], s[52:53], 2
	s_barrier
	v_max_f32_e32 v2, v2, v21
	s_add_u32 s52, s21, s52
	s_addc_u32 s53, s44, s53
	buffer_gl0_inv
	ds_bpermute_b32 v13, v13, v2
	s_waitcnt lgkmcnt(0)
	v_max_f32_e32 v13, v13, v13
	v_max_f32_e32 v2, v2, v13
	ds_bpermute_b32 v13, v14, v2
	s_waitcnt lgkmcnt(0)
	v_max_f32_e32 v13, v13, v13
	v_max_f32_e32 v2, v2, v13
	ds_bpermute_b32 v13, v15, v2
	v_max_f32_e32 v15, v22, v22
	s_waitcnt lgkmcnt(0)
	v_max_f32_e32 v13, v13, v13
	v_max_f32_e32 v2, v2, v13
	ds_bpermute_b32 v13, v16, v2
	v_max_f32_e32 v16, v3, v3
	v_max_f32_e32 v3, v20, v20
	;; [unrolled: 1-line block ×4, first 2 shown]
	v_sub_f32_e32 v139, v8, v3
	v_sub_f32_e32 v8, v10, v3
	;; [unrolled: 1-line block ×4, first 2 shown]
	v_cmp_ngt_f32_e64 s14, 0xc2ce8ed0, v139
	v_mul_f32_e32 v12, 0x3fb8aa3b, v8
	v_cmp_nlt_f32_e64 s15, 0x42b17218, v139
	s_waitcnt lgkmcnt(0)
	v_max_f32_e32 v13, v13, v13
	v_cmp_ngt_f32_e64 s16, 0xc2ce8ed0, v137
	v_fma_f32 v16, 0x3fb8aa3b, v8, -v12
	v_max_f32_e32 v13, v2, v13
	v_max_f32_e32 v2, v18, v18
	v_add_nc_u32_e32 v18, v91, v89
	v_fmac_f32_e32 v16, 0x32a5705f, v8
	ds_bpermute_b32 v14, v19, v13
	v_max_f32_e32 v2, v17, v2
	v_rndne_f32_e32 v17, v12
	v_sub_f32_e32 v138, v7, v2
	v_sub_f32_e32 v7, v5, v2
	;; [unrolled: 1-line block ×3, first 2 shown]
	v_cmp_ngt_f32_e64 s13, 0xc2ce8ed0, v138
	v_mul_f32_e32 v10, 0x3fb8aa3b, v7
	v_add_f32_e32 v12, v12, v16
	v_cvt_i32_f32_e32 v16, v17
	v_cmp_ngt_f32_e64 s17, 0xc2ce8ed0, v7
	v_cmp_nlt_f32_e32 vcc_lo, 0x42b17218, v138
	v_rndne_f32_e32 v15, v10
	v_exp_f32_e32 v12, v12
	s_waitcnt lgkmcnt(0)
	v_max_f32_e32 v5, v14, v14
	v_fma_f32 v14, 0x3fb8aa3b, v7, -v10
	v_sub_f32_e32 v10, v10, v15
	v_cvt_i32_f32_e32 v15, v15
	v_max_f32_e32 v5, v13, v5
	v_mul_f32_e32 v13, 0x3fb8aa3b, v9
	v_fmac_f32_e32 v14, 0x32a5705f, v7
	v_ldexp_f32 v12, v12, v16
	v_sub_f32_e32 v11, v11, v5
	v_fma_f32 v19, 0x3fb8aa3b, v9, -v13
	v_rndne_f32_e32 v20, v13
	v_add_f32_e32 v10, v10, v14
	v_sub_f32_e32 v140, v6, v5
	v_mul_f32_e32 v21, 0x3fb8aa3b, v11
	v_fmac_f32_e32 v19, 0x32a5705f, v9
	v_sub_f32_e32 v13, v13, v20
	v_exp_f32_e32 v10, v10
	v_cvt_i32_f32_e32 v17, v20
	v_fma_f32 v22, 0x3fb8aa3b, v11, -v21
	v_rndne_f32_e32 v23, v21
	v_add_f32_e32 v13, v13, v19
	v_cmp_ngt_f32_e64 s19, 0xc2ce8ed0, v140
	v_cmp_nlt_f32_e64 s18, 0x42b17218, v140
	v_fmac_f32_e32 v22, 0x32a5705f, v11
	v_sub_f32_e32 v14, v21, v23
	v_exp_f32_e32 v13, v13
	v_ldexp_f32 v10, v10, v15
	v_cvt_i32_f32_e32 v15, v23
	v_add_f32_e32 v14, v14, v22
	v_cndmask_b32_e64 v10, 0, v10, s17
	v_cmp_ngt_f32_e64 s17, 0xc2ce8ed0, v8
	v_exp_f32_e32 v14, v14
	v_ldexp_f32 v13, v13, v17
	v_cndmask_b32_e64 v12, 0, v12, s17
	v_cmp_ngt_f32_e64 s17, 0xc2ce8ed0, v9
	v_cndmask_b32_e64 v13, 0, v13, s17
	v_ldexp_f32 v14, v14, v15
	v_cmp_ngt_f32_e64 s17, 0xc2ce8ed0, v11
	v_cndmask_b32_e64 v14, 0, v14, s17
	v_cmp_nlt_f32_e64 s17, 0x42b17218, v7
	v_cndmask_b32_e64 v107, 0x7f800000, v10, s17
	v_cmp_nlt_f32_e64 s17, 0x42b17218, v9
	;; [unrolled: 2-line block ×3, first 2 shown]
	v_cvt_f16_f32_e32 v6, v106
	v_cndmask_b32_e64 v105, 0x7f800000, v14, s17
	v_cmp_nlt_f32_e64 s17, 0x42b17218, v8
	v_cvt_f16_f32_e32 v8, v107
	v_cvt_f16_f32_e32 v7, v105
	v_cndmask_b32_e64 v108, 0x7f800000, v12, s17
	v_cmp_nlt_f32_e64 s17, 0x42b17218, v137
	v_pack_b32_f16 v7, v6, v7
	v_cvt_f16_f32_e32 v9, v108
	v_pack_b32_f16 v6, v8, v9
	ds_write_b64 v18, v[6:7]
	s_and_saveexec_b32 s54, s10
	s_cbranch_execnz .LBB56_46
; %bb.33:                               ;   in Loop: Header=BB56_16 Depth=1
	s_or_b32 exec_lo, exec_lo, s54
	s_and_saveexec_b32 s54, s11
	s_cbranch_execnz .LBB56_47
.LBB56_34:                              ;   in Loop: Header=BB56_16 Depth=1
	s_or_b32 exec_lo, exec_lo, s54
	v_lshlrev_b32_e32 v141, 2, v101
	s_and_saveexec_b32 s54, s12
	s_cbranch_execz .LBB56_36
.LBB56_35:                              ;   in Loop: Header=BB56_16 Depth=1
	v_add_co_u32 v6, s20, s52, v81
	v_add_co_ci_u32_e64 v7, null, s53, v82, s20
	v_add_co_u32 v6, s20, v6, v141
	v_add_co_ci_u32_e64 v7, null, 0, v7, s20
	global_load_dwordx4 v[6:9], v[6:7], off
	s_waitcnt vmcnt(0)
	ds_write_b128 v124, v[6:9]
.LBB56_36:                              ;   in Loop: Header=BB56_16 Depth=1
	s_or_b32 exec_lo, exec_lo, s54
	v_add_nc_u32_e32 v136, 0x1800, v89
	v_add_nc_u32_e32 v134, 0x2000, v89
	;; [unrolled: 1-line block ×4, first 2 shown]
	s_waitcnt lgkmcnt(0)
	s_barrier
	buffer_gl0_inv
	ds_read2_b64 v[30:33], v136 offset0:128 offset1:156
	ds_read_b128 v[62:65], v91
	ds_read_b128 v[50:53], v91 offset:16
	ds_read_b128 v[58:61], v91 offset:32
	;; [unrolled: 1-line block ×3, first 2 shown]
	ds_read2_b64 v[34:37], v136 offset0:184 offset1:212
	ds_read2_b64 v[26:29], v135 offset0:112 offset1:140
	;; [unrolled: 1-line block ×5, first 2 shown]
	ds_read_b128 v[66:69], v91 offset:64
	ds_read_b128 v[54:57], v91 offset:80
	ds_read2_b64 v[10:13], v134 offset0:208 offset1:236
	ds_read2_b64 v[6:9], v133 offset0:8 offset1:36
	ds_read_b128 v[46:49], v91 offset:96
	ds_read_b128 v[38:41], v91 offset:112
	s_or_b32 s20, s45, 16
	s_waitcnt lgkmcnt(0)
	s_mul_hi_i32 s53, s20, s43
	s_mul_i32 s52, s20, s43
	s_barrier
	s_lshl_b64 s[52:53], s[52:53], 2
	buffer_gl0_inv
	s_add_u32 s52, s21, s52
	s_addc_u32 s53, s44, s53
	s_and_saveexec_b32 s54, s10
	s_cbranch_execnz .LBB56_48
; %bb.37:                               ;   in Loop: Header=BB56_16 Depth=1
	s_or_b32 exec_lo, exec_lo, s54
	s_and_saveexec_b32 s54, s11
	s_cbranch_execnz .LBB56_49
.LBB56_38:                              ;   in Loop: Header=BB56_16 Depth=1
	s_or_b32 exec_lo, exec_lo, s54
	s_and_saveexec_b32 s54, s12
	s_cbranch_execz .LBB56_40
.LBB56_39:                              ;   in Loop: Header=BB56_16 Depth=1
	v_add_co_u32 v142, s20, s52, v81
	v_add_co_ci_u32_e64 v143, null, s53, v82, s20
	v_add_co_u32 v141, s20, v142, v141
	v_add_co_ci_u32_e64 v142, null, 0, v143, s20
	global_load_dwordx4 v[141:144], v[141:142], off
	s_waitcnt vmcnt(0)
	ds_write_b128 v124, v[141:144]
.LBB56_40:                              ;   in Loop: Header=BB56_16 Depth=1
	s_or_b32 exec_lo, exec_lo, s54
	v_mul_f32_e32 v141, 0x3fb8aa3b, v138
	v_mul_f32_e32 v142, 0x3fb8aa3b, v139
	;; [unrolled: 1-line block ×4, first 2 shown]
	v_mul_u32_u24_sdwa v151, v44, v128 dst_sel:DWORD dst_unused:UNUSED_PAD src0_sel:WORD_0 src1_sel:DWORD
	v_fma_f32 v144, 0x3fb8aa3b, v138, -v141
	v_rndne_f32_e32 v145, v141
	v_fma_f32 v146, 0x3fb8aa3b, v139, -v142
	v_rndne_f32_e32 v148, v142
	v_fma_f32 v149, 0x3fb8aa3b, v140, -v147
	v_fmac_f32_e32 v144, 0x32a5705f, v138
	v_sub_f32_e32 v138, v141, v145
	v_fmac_f32_e32 v146, 0x32a5705f, v139
	v_fma_f32 v139, 0x3fb8aa3b, v137, -v143
	v_rndne_f32_e32 v141, v143
	v_rndne_f32_e32 v150, v147
	v_sub_f32_e32 v142, v142, v148
	v_fmac_f32_e32 v149, 0x32a5705f, v140
	v_fmac_f32_e32 v139, 0x32a5705f, v137
	v_sub_f32_e32 v137, v143, v141
	v_sub_f32_e32 v140, v147, v150
	v_add_f32_e32 v138, v138, v144
	v_add_f32_e32 v142, v142, v146
	v_cvt_i32_f32_e32 v143, v148
	v_add_f32_e32 v137, v137, v139
	v_add_f32_e32 v139, v140, v149
	v_exp_f32_e32 v138, v138
	v_exp_f32_e32 v140, v142
	v_cvt_i32_f32_e32 v142, v145
	v_exp_f32_e32 v137, v137
	v_exp_f32_e32 v139, v139
	v_cvt_i32_f32_e32 v141, v141
	v_cvt_i32_f32_e32 v144, v150
	v_mul_u32_u24_sdwa v145, v58, v128 dst_sel:DWORD dst_unused:UNUSED_PAD src0_sel:WORD_0 src1_sel:DWORD
	v_mul_u32_u24_sdwa v58, v58, v128 dst_sel:DWORD dst_unused:UNUSED_PAD src0_sel:WORD_1 src1_sel:DWORD
	v_mul_u32_u24_sdwa v146, v59, v128 dst_sel:DWORD dst_unused:UNUSED_PAD src0_sel:WORD_0 src1_sel:DWORD
	v_ldexp_f32 v138, v138, v142
	v_ldexp_f32 v140, v140, v143
	v_mul_u32_u24_sdwa v142, v51, v128 dst_sel:DWORD dst_unused:UNUSED_PAD src0_sel:WORD_0 src1_sel:DWORD
	v_ldexp_f32 v137, v137, v141
	v_ldexp_f32 v139, v139, v144
	v_cndmask_b32_e64 v138, 0, v138, s13
	v_cndmask_b32_e64 v140, 0, v140, s14
	v_mul_u32_u24_sdwa v141, v50, v128 dst_sel:DWORD dst_unused:UNUSED_PAD src0_sel:WORD_0 src1_sel:DWORD
	v_cndmask_b32_e64 v137, 0, v137, s16
	v_cndmask_b32_e64 v139, 0, v139, s19
	v_cndmask_b32_e32 v138, 0x7f800000, v138, vcc_lo
	v_cndmask_b32_e64 v140, 0x7f800000, v140, s15
	v_mul_u32_u24_sdwa v50, v50, v128 dst_sel:DWORD dst_unused:UNUSED_PAD src0_sel:WORD_1 src1_sel:DWORD
	v_cndmask_b32_e64 v137, 0x7f800000, v137, s17
	v_cndmask_b32_e64 v139, 0x7f800000, v139, s18
	v_fmac_f32_e32 v107, v130, v138
	v_fmac_f32_e32 v108, v131, v140
	v_cvt_f16_f32_e32 v130, v138
	v_fmac_f32_e32 v106, v132, v137
	v_cvt_f16_f32_e32 v131, v140
	v_cvt_f16_f32_e32 v132, v137
	;; [unrolled: 1-line block ×3, first 2 shown]
	v_fmac_f32_e32 v105, v129, v139
	v_mul_u32_u24_sdwa v129, v130, v128 dst_sel:DWORD dst_unused:UNUSED_PAD src0_sel:WORD_0 src1_sel:DWORD
	v_mul_u32_u24_sdwa v130, v131, v128 dst_sel:DWORD dst_unused:UNUSED_PAD src0_sel:WORD_0 src1_sel:DWORD
	;; [unrolled: 1-line block ×5, first 2 shown]
	v_mul_u32_u24_sdwa v62, v62, v128 dst_sel:DWORD dst_unused:UNUSED_PAD src0_sel:WORD_1 src1_sel:DWORD
	v_mul_u32_u24_sdwa v138, v63, v128 dst_sel:DWORD dst_unused:UNUSED_PAD src0_sel:WORD_0 src1_sel:DWORD
	v_mul_u32_u24_sdwa v63, v63, v128 dst_sel:DWORD dst_unused:UNUSED_PAD src0_sel:WORD_1 src1_sel:DWORD
	v_pk_mul_f16 v99, v99, v129
	v_pk_mul_f16 v97, v97, v130
	;; [unrolled: 1-line block ×6, first 2 shown]
	v_mul_u32_u24_sdwa v139, v64, v128 dst_sel:DWORD dst_unused:UNUSED_PAD src0_sel:WORD_0 src1_sel:DWORD
	v_mul_u32_u24_sdwa v64, v64, v128 dst_sel:DWORD dst_unused:UNUSED_PAD src0_sel:WORD_1 src1_sel:DWORD
	v_mul_u32_u24_sdwa v140, v65, v128 dst_sel:DWORD dst_unused:UNUSED_PAD src0_sel:WORD_0 src1_sel:DWORD
	v_mul_u32_u24_sdwa v65, v65, v128 dst_sel:DWORD dst_unused:UNUSED_PAD src0_sel:WORD_1 src1_sel:DWORD
	v_pk_mul_f16 v95, v95, v131
	v_pk_mul_f16 v92, v92, v132
	v_pk_fma_f16 v98, v98, v129, v169
	v_pk_fma_f16 v96, v96, v130, v170
	;; [unrolled: 1-line block ×6, first 2 shown]
	v_mul_u32_u24_sdwa v51, v51, v128 dst_sel:DWORD dst_unused:UNUSED_PAD src0_sel:WORD_1 src1_sel:DWORD
	v_pk_fma_f16 v95, v31, v138, v95
	v_pk_fma_f16 v31, v31, v63, v92
	;; [unrolled: 1-line block ×8, first 2 shown]
	v_mul_u32_u24_sdwa v143, v52, v128 dst_sel:DWORD dst_unused:UNUSED_PAD src0_sel:WORD_0 src1_sel:DWORD
	v_mul_u32_u24_sdwa v52, v52, v128 dst_sel:DWORD dst_unused:UNUSED_PAD src0_sel:WORD_1 src1_sel:DWORD
	v_mul_u32_u24_sdwa v144, v53, v128 dst_sel:DWORD dst_unused:UNUSED_PAD src0_sel:WORD_0 src1_sel:DWORD
	v_mul_u32_u24_sdwa v53, v53, v128 dst_sel:DWORD dst_unused:UNUSED_PAD src0_sel:WORD_1 src1_sel:DWORD
	v_pk_fma_f16 v64, v33, v140, v95
	v_pk_fma_f16 v31, v33, v65, v31
	;; [unrolled: 1-line block ×8, first 2 shown]
	v_mul_u32_u24_sdwa v59, v59, v128 dst_sel:DWORD dst_unused:UNUSED_PAD src0_sel:WORD_1 src1_sel:DWORD
	v_pk_fma_f16 v50, v35, v142, v64
	v_pk_fma_f16 v31, v35, v51, v31
	;; [unrolled: 1-line block ×8, first 2 shown]
	v_mul_u32_u24_sdwa v147, v60, v128 dst_sel:DWORD dst_unused:UNUSED_PAD src0_sel:WORD_0 src1_sel:DWORD
	v_mul_u32_u24_sdwa v60, v60, v128 dst_sel:DWORD dst_unused:UNUSED_PAD src0_sel:WORD_1 src1_sel:DWORD
	v_mul_u32_u24_sdwa v148, v61, v128 dst_sel:DWORD dst_unused:UNUSED_PAD src0_sel:WORD_0 src1_sel:DWORD
	v_mul_u32_u24_sdwa v61, v61, v128 dst_sel:DWORD dst_unused:UNUSED_PAD src0_sel:WORD_1 src1_sel:DWORD
	v_pk_fma_f16 v36, v37, v144, v50
	v_pk_fma_f16 v31, v37, v53, v31
	;; [unrolled: 1-line block ×8, first 2 shown]
	v_mul_u32_u24_sdwa v149, v42, v128 dst_sel:DWORD dst_unused:UNUSED_PAD src0_sel:WORD_0 src1_sel:DWORD
	v_mul_u32_u24_sdwa v42, v42, v128 dst_sel:DWORD dst_unused:UNUSED_PAD src0_sel:WORD_1 src1_sel:DWORD
	v_mul_u32_u24_sdwa v150, v43, v128 dst_sel:DWORD dst_unused:UNUSED_PAD src0_sel:WORD_0 src1_sel:DWORD
	v_mul_u32_u24_sdwa v43, v43, v128 dst_sel:DWORD dst_unused:UNUSED_PAD src0_sel:WORD_1 src1_sel:DWORD
	v_pk_fma_f16 v34, v27, v146, v36
	v_pk_fma_f16 v27, v27, v59, v31
	v_pk_fma_f16 v31, v28, v147, v33
	v_pk_fma_f16 v33, v28, v60, v35
	v_pk_fma_f16 v35, v28, v148, v37
	v_pk_fma_f16 v26, v28, v61, v26
	v_pk_fma_f16 v28, v29, v147, v30
	v_pk_fma_f16 v30, v29, v60, v32
	v_mul_u32_u24_sdwa v44, v44, v128 dst_sel:DWORD dst_unused:UNUSED_PAD src0_sel:WORD_1 src1_sel:DWORD
	v_mul_u32_u24_sdwa v152, v45, v128 dst_sel:DWORD dst_unused:UNUSED_PAD src0_sel:WORD_0 src1_sel:DWORD
	v_mul_u32_u24_sdwa v45, v45, v128 dst_sel:DWORD dst_unused:UNUSED_PAD src0_sel:WORD_1 src1_sel:DWORD
	v_pk_fma_f16 v32, v29, v148, v34
	v_pk_fma_f16 v27, v29, v61, v27
	v_pk_fma_f16 v29, v22, v149, v31
	v_pk_fma_f16 v31, v22, v42, v33
	v_pk_fma_f16 v33, v22, v150, v35
	v_pk_fma_f16 v22, v22, v43, v26
	v_pk_fma_f16 v26, v23, v149, v28
	v_pk_fma_f16 v28, v23, v42, v30
	v_mul_u32_u24_sdwa v153, v66, v128 dst_sel:DWORD dst_unused:UNUSED_PAD src0_sel:WORD_0 src1_sel:DWORD
	v_mul_u32_u24_sdwa v66, v66, v128 dst_sel:DWORD dst_unused:UNUSED_PAD src0_sel:WORD_1 src1_sel:DWORD
	v_mul_u32_u24_sdwa v154, v67, v128 dst_sel:DWORD dst_unused:UNUSED_PAD src0_sel:WORD_0 src1_sel:DWORD
	v_mul_u32_u24_sdwa v67, v67, v128 dst_sel:DWORD dst_unused:UNUSED_PAD src0_sel:WORD_1 src1_sel:DWORD
	v_pk_fma_f16 v30, v23, v150, v32
	v_pk_fma_f16 v23, v23, v43, v27
	v_pk_fma_f16 v27, v24, v151, v29
	v_pk_fma_f16 v29, v24, v44, v31
	v_pk_fma_f16 v31, v24, v152, v33
	v_pk_fma_f16 v22, v24, v45, v22
	v_pk_fma_f16 v24, v25, v151, v26
	v_pk_fma_f16 v26, v25, v44, v28
	v_mul_u32_u24_sdwa v155, v68, v128 dst_sel:DWORD dst_unused:UNUSED_PAD src0_sel:WORD_0 src1_sel:DWORD
	;; [unrolled: 12-line block ×7, first 2 shown]
	v_mul_u32_u24_sdwa v38, v38, v128 dst_sel:DWORD dst_unused:UNUSED_PAD src0_sel:WORD_1 src1_sel:DWORD
	v_mul_u32_u24_sdwa v166, v39, v128 dst_sel:DWORD dst_unused:UNUSED_PAD src0_sel:WORD_0 src1_sel:DWORD
	v_mul_u32_u24_sdwa v39, v39, v128 dst_sel:DWORD dst_unused:UNUSED_PAD src0_sel:WORD_1 src1_sel:DWORD
	v_pk_fma_f16 v18, v11, v162, v20
	v_pk_fma_f16 v11, v11, v47, v15
	;; [unrolled: 1-line block ×8, first 2 shown]
	s_waitcnt lgkmcnt(0)
	s_barrier
	buffer_gl0_inv
	ds_read_b128 v[14:17], v91 offset:128
	v_pk_fma_f16 v18, v13, v164, v18
	v_pk_fma_f16 v24, v13, v49, v11
	;; [unrolled: 1-line block ×6, first 2 shown]
	ds_read2_b64 v[10:13], v136 offset0:128 offset1:156
	v_mul_u32_u24_sdwa v167, v40, v128 dst_sel:DWORD dst_unused:UNUSED_PAD src0_sel:WORD_0 src1_sel:DWORD
	v_mul_u32_u24_sdwa v40, v40, v128 dst_sel:DWORD dst_unused:UNUSED_PAD src0_sel:WORD_1 src1_sel:DWORD
	v_mul_u32_u24_sdwa v168, v41, v128 dst_sel:DWORD dst_unused:UNUSED_PAD src0_sel:WORD_0 src1_sel:DWORD
	v_mul_u32_u24_sdwa v41, v41, v128 dst_sel:DWORD dst_unused:UNUSED_PAD src0_sel:WORD_1 src1_sel:DWORD
	v_pk_fma_f16 v22, v7, v165, v22
	v_pk_fma_f16 v23, v7, v38, v23
	;; [unrolled: 1-line block ×12, first 2 shown]
	ds_read_b128 v[6:9], v91 offset:144
	s_waitcnt lgkmcnt(2)
	v_mul_u32_u24_sdwa v34, v14, v128 dst_sel:DWORD dst_unused:UNUSED_PAD src0_sel:WORD_0 src1_sel:DWORD
	v_mul_u32_u24_sdwa v14, v14, v128 dst_sel:DWORD dst_unused:UNUSED_PAD src0_sel:WORD_1 src1_sel:DWORD
	v_mul_u32_u24_sdwa v35, v15, v128 dst_sel:DWORD dst_unused:UNUSED_PAD src0_sel:WORD_0 src1_sel:DWORD
	v_mul_u32_u24_sdwa v15, v15, v128 dst_sel:DWORD dst_unused:UNUSED_PAD src0_sel:WORD_1 src1_sel:DWORD
	ds_read_b128 v[18:21], v91 offset:160
	ds_read_b128 v[22:25], v91 offset:176
	s_waitcnt lgkmcnt(3)
	v_pk_fma_f16 v36, v10, v34, v26
	v_pk_fma_f16 v37, v10, v14, v27
	;; [unrolled: 1-line block ×4, first 2 shown]
	ds_read2_b64 v[26:29], v136 offset0:184 offset1:212
	v_pk_fma_f16 v30, v11, v34, v30
	v_pk_fma_f16 v14, v11, v14, v31
	;; [unrolled: 1-line block ×3, first 2 shown]
	v_mul_u32_u24_sdwa v32, v16, v128 dst_sel:DWORD dst_unused:UNUSED_PAD src0_sel:WORD_0 src1_sel:DWORD
	v_mul_u32_u24_sdwa v16, v16, v128 dst_sel:DWORD dst_unused:UNUSED_PAD src0_sel:WORD_1 src1_sel:DWORD
	v_mul_u32_u24_sdwa v34, v17, v128 dst_sel:DWORD dst_unused:UNUSED_PAD src0_sel:WORD_0 src1_sel:DWORD
	v_mul_u32_u24_sdwa v17, v17, v128 dst_sel:DWORD dst_unused:UNUSED_PAD src0_sel:WORD_1 src1_sel:DWORD
	v_pk_fma_f16 v11, v11, v15, v33
	v_pk_fma_f16 v15, v12, v32, v36
	;; [unrolled: 1-line block ×8, first 2 shown]
	s_waitcnt lgkmcnt(3)
	v_mul_u32_u24_sdwa v30, v6, v128 dst_sel:DWORD dst_unused:UNUSED_PAD src0_sel:WORD_0 src1_sel:DWORD
	v_mul_u32_u24_sdwa v6, v6, v128 dst_sel:DWORD dst_unused:UNUSED_PAD src0_sel:WORD_1 src1_sel:DWORD
	v_mul_u32_u24_sdwa v31, v7, v128 dst_sel:DWORD dst_unused:UNUSED_PAD src0_sel:WORD_0 src1_sel:DWORD
	v_mul_u32_u24_sdwa v7, v7, v128 dst_sel:DWORD dst_unused:UNUSED_PAD src0_sel:WORD_1 src1_sel:DWORD
	v_pk_fma_f16 v17, v13, v17, v11
	s_waitcnt lgkmcnt(0)
	v_pk_fma_f16 v15, v26, v30, v15
	v_pk_fma_f16 v32, v26, v6, v33
	;; [unrolled: 1-line block ×5, first 2 shown]
	ds_read2_b64 v[10:13], v135 offset0:112 offset1:140
	v_pk_fma_f16 v6, v27, v6, v14
	v_pk_fma_f16 v14, v27, v31, v16
	v_mul_u32_u24_sdwa v16, v8, v128 dst_sel:DWORD dst_unused:UNUSED_PAD src0_sel:WORD_0 src1_sel:DWORD
	v_mul_u32_u24_sdwa v8, v8, v128 dst_sel:DWORD dst_unused:UNUSED_PAD src0_sel:WORD_1 src1_sel:DWORD
	v_mul_u32_u24_sdwa v31, v9, v128 dst_sel:DWORD dst_unused:UNUSED_PAD src0_sel:WORD_0 src1_sel:DWORD
	v_mul_u32_u24_sdwa v9, v9, v128 dst_sel:DWORD dst_unused:UNUSED_PAD src0_sel:WORD_1 src1_sel:DWORD
	v_pk_fma_f16 v7, v27, v7, v17
	v_pk_fma_f16 v15, v28, v16, v15
	;; [unrolled: 1-line block ×7, first 2 shown]
	v_mul_u32_u24_sdwa v6, v18, v128 dst_sel:DWORD dst_unused:UNUSED_PAD src0_sel:WORD_0 src1_sel:DWORD
	v_pk_fma_f16 v14, v29, v31, v14
	v_pk_fma_f16 v29, v29, v9, v7
	v_mul_u32_u24_sdwa v18, v18, v128 dst_sel:DWORD dst_unused:UNUSED_PAD src0_sel:WORD_1 src1_sel:DWORD
	v_mul_u32_u24_sdwa v30, v19, v128 dst_sel:DWORD dst_unused:UNUSED_PAD src0_sel:WORD_0 src1_sel:DWORD
	v_mul_u32_u24_sdwa v19, v19, v128 dst_sel:DWORD dst_unused:UNUSED_PAD src0_sel:WORD_1 src1_sel:DWORD
	s_waitcnt lgkmcnt(0)
	v_pk_fma_f16 v15, v10, v6, v15
	v_pk_fma_f16 v16, v11, v6, v16
	ds_read2_b64 v[6:9], v134 offset0:40 offset1:68
	v_pk_fma_f16 v17, v10, v18, v17
	v_pk_fma_f16 v27, v10, v30, v27
	;; [unrolled: 1-line block ×5, first 2 shown]
	v_mul_u32_u24_sdwa v26, v20, v128 dst_sel:DWORD dst_unused:UNUSED_PAD src0_sel:WORD_0 src1_sel:DWORD
	v_mul_u32_u24_sdwa v20, v20, v128 dst_sel:DWORD dst_unused:UNUSED_PAD src0_sel:WORD_1 src1_sel:DWORD
	v_mul_u32_u24_sdwa v28, v21, v128 dst_sel:DWORD dst_unused:UNUSED_PAD src0_sel:WORD_0 src1_sel:DWORD
	v_mul_u32_u24_sdwa v21, v21, v128 dst_sel:DWORD dst_unused:UNUSED_PAD src0_sel:WORD_1 src1_sel:DWORD
	v_pk_fma_f16 v11, v11, v19, v29
	v_pk_fma_f16 v15, v12, v26, v15
	;; [unrolled: 1-line block ×8, first 2 shown]
	v_mul_u32_u24_sdwa v14, v22, v128 dst_sel:DWORD dst_unused:UNUSED_PAD src0_sel:WORD_0 src1_sel:DWORD
	v_mul_u32_u24_sdwa v22, v22, v128 dst_sel:DWORD dst_unused:UNUSED_PAD src0_sel:WORD_1 src1_sel:DWORD
	v_pk_fma_f16 v21, v13, v21, v11
	v_mul_u32_u24_sdwa v26, v23, v128 dst_sel:DWORD dst_unused:UNUSED_PAD src0_sel:WORD_0 src1_sel:DWORD
	v_mul_u32_u24_sdwa v23, v23, v128 dst_sel:DWORD dst_unused:UNUSED_PAD src0_sel:WORD_1 src1_sel:DWORD
	ds_read_b128 v[10:13], v91 offset:192
	s_waitcnt lgkmcnt(1)
	v_pk_fma_f16 v28, v6, v14, v15
	v_pk_fma_f16 v29, v6, v22, v17
	;; [unrolled: 1-line block ×5, first 2 shown]
	ds_read2_b64 v[14:17], v134 offset0:96 offset1:124
	v_pk_fma_f16 v18, v7, v22, v18
	v_pk_fma_f16 v20, v7, v26, v20
	v_mul_u32_u24_sdwa v22, v24, v128 dst_sel:DWORD dst_unused:UNUSED_PAD src0_sel:WORD_0 src1_sel:DWORD
	v_mul_u32_u24_sdwa v24, v24, v128 dst_sel:DWORD dst_unused:UNUSED_PAD src0_sel:WORD_1 src1_sel:DWORD
	v_mul_u32_u24_sdwa v26, v25, v128 dst_sel:DWORD dst_unused:UNUSED_PAD src0_sel:WORD_0 src1_sel:DWORD
	v_mul_u32_u24_sdwa v25, v25, v128 dst_sel:DWORD dst_unused:UNUSED_PAD src0_sel:WORD_1 src1_sel:DWORD
	v_pk_fma_f16 v7, v7, v23, v21
	v_pk_fma_f16 v23, v8, v22, v28
	;; [unrolled: 1-line block ×8, first 2 shown]
	ds_read_b128 v[18:21], v91 offset:208
	s_waitcnt lgkmcnt(2)
	v_mul_u32_u24_sdwa v26, v10, v128 dst_sel:DWORD dst_unused:UNUSED_PAD src0_sel:WORD_0 src1_sel:DWORD
	v_mul_u32_u24_sdwa v10, v10, v128 dst_sel:DWORD dst_unused:UNUSED_PAD src0_sel:WORD_1 src1_sel:DWORD
	v_mul_u32_u24_sdwa v27, v11, v128 dst_sel:DWORD dst_unused:UNUSED_PAD src0_sel:WORD_0 src1_sel:DWORD
	v_mul_u32_u24_sdwa v11, v11, v128 dst_sel:DWORD dst_unused:UNUSED_PAD src0_sel:WORD_1 src1_sel:DWORD
	v_pk_fma_f16 v25, v9, v25, v7
	s_waitcnt lgkmcnt(1)
	v_pk_fma_f16 v23, v14, v26, v23
	v_pk_fma_f16 v28, v14, v10, v28
	;; [unrolled: 1-line block ×5, first 2 shown]
	ds_read2_b64 v[6:9], v134 offset0:152 offset1:180
	v_pk_fma_f16 v10, v15, v10, v22
	v_pk_fma_f16 v22, v15, v27, v24
	v_mul_u32_u24_sdwa v24, v12, v128 dst_sel:DWORD dst_unused:UNUSED_PAD src0_sel:WORD_0 src1_sel:DWORD
	v_mul_u32_u24_sdwa v12, v12, v128 dst_sel:DWORD dst_unused:UNUSED_PAD src0_sel:WORD_1 src1_sel:DWORD
	v_mul_u32_u24_sdwa v27, v13, v128 dst_sel:DWORD dst_unused:UNUSED_PAD src0_sel:WORD_0 src1_sel:DWORD
	v_mul_u32_u24_sdwa v13, v13, v128 dst_sel:DWORD dst_unused:UNUSED_PAD src0_sel:WORD_1 src1_sel:DWORD
	v_pk_fma_f16 v11, v15, v11, v25
	v_pk_fma_f16 v15, v16, v24, v23
	;; [unrolled: 1-line block ×8, first 2 shown]
	s_waitcnt lgkmcnt(1)
	v_mul_u32_u24_sdwa v26, v18, v128 dst_sel:DWORD dst_unused:UNUSED_PAD src0_sel:WORD_0 src1_sel:DWORD
	v_mul_u32_u24_sdwa v18, v18, v128 dst_sel:DWORD dst_unused:UNUSED_PAD src0_sel:WORD_1 src1_sel:DWORD
	v_pk_fma_f16 v27, v17, v13, v11
	v_mul_u32_u24_sdwa v28, v19, v128 dst_sel:DWORD dst_unused:UNUSED_PAD src0_sel:WORD_0 src1_sel:DWORD
	v_mul_u32_u24_sdwa v19, v19, v128 dst_sel:DWORD dst_unused:UNUSED_PAD src0_sel:WORD_1 src1_sel:DWORD
	ds_read_b128 v[10:13], v91 offset:224
	s_waitcnt lgkmcnt(1)
	v_pk_fma_f16 v29, v6, v26, v15
	v_pk_fma_f16 v23, v6, v18, v23
	;; [unrolled: 1-line block ×5, first 2 shown]
	ds_read2_b64 v[14:17], v134 offset0:208 offset1:236
	v_pk_fma_f16 v18, v7, v18, v24
	v_pk_fma_f16 v22, v7, v28, v22
	v_mul_u32_u24_sdwa v24, v20, v128 dst_sel:DWORD dst_unused:UNUSED_PAD src0_sel:WORD_0 src1_sel:DWORD
	v_mul_u32_u24_sdwa v20, v20, v128 dst_sel:DWORD dst_unused:UNUSED_PAD src0_sel:WORD_1 src1_sel:DWORD
	v_mul_u32_u24_sdwa v28, v21, v128 dst_sel:DWORD dst_unused:UNUSED_PAD src0_sel:WORD_0 src1_sel:DWORD
	v_mul_u32_u24_sdwa v30, v21, v128 dst_sel:DWORD dst_unused:UNUSED_PAD src0_sel:WORD_1 src1_sel:DWORD
	v_pk_fma_f16 v7, v7, v19, v27
	v_pk_fma_f16 v27, v8, v24, v29
	;; [unrolled: 1-line block ×8, first 2 shown]
	ds_read_b128 v[18:21], v91 offset:240
	s_waitcnt lgkmcnt(2)
	v_mul_u32_u24_sdwa v26, v10, v128 dst_sel:DWORD dst_unused:UNUSED_PAD src0_sel:WORD_0 src1_sel:DWORD
	v_mul_u32_u24_sdwa v10, v10, v128 dst_sel:DWORD dst_unused:UNUSED_PAD src0_sel:WORD_1 src1_sel:DWORD
	v_mul_u32_u24_sdwa v28, v11, v128 dst_sel:DWORD dst_unused:UNUSED_PAD src0_sel:WORD_0 src1_sel:DWORD
	v_mul_u32_u24_sdwa v11, v11, v128 dst_sel:DWORD dst_unused:UNUSED_PAD src0_sel:WORD_1 src1_sel:DWORD
	v_pk_fma_f16 v29, v9, v30, v7
	s_waitcnt lgkmcnt(1)
	v_pk_fma_f16 v27, v14, v26, v27
	v_pk_fma_f16 v23, v14, v10, v23
	;; [unrolled: 1-line block ×5, first 2 shown]
	ds_read2_b64 v[6:9], v133 offset0:8 offset1:36
	s_waitcnt lgkmcnt(0)
	s_barrier
	buffer_gl0_inv
	s_load_dword s13, s[26:27], 0x4
	v_pk_fma_f16 v10, v15, v10, v24
	v_pk_fma_f16 v22, v15, v28, v22
	v_mul_u32_u24_sdwa v24, v12, v128 dst_sel:DWORD dst_unused:UNUSED_PAD src0_sel:WORD_0 src1_sel:DWORD
	v_mul_u32_u24_sdwa v12, v12, v128 dst_sel:DWORD dst_unused:UNUSED_PAD src0_sel:WORD_1 src1_sel:DWORD
	v_mul_u32_u24_sdwa v28, v13, v128 dst_sel:DWORD dst_unused:UNUSED_PAD src0_sel:WORD_0 src1_sel:DWORD
	v_mul_u32_u24_sdwa v13, v13, v128 dst_sel:DWORD dst_unused:UNUSED_PAD src0_sel:WORD_1 src1_sel:DWORD
	v_pk_fma_f16 v11, v15, v11, v29
	v_pk_fma_f16 v15, v16, v24, v27
	;; [unrolled: 1-line block ×9, first 2 shown]
	v_mul_u32_u24_sdwa v13, v18, v128 dst_sel:DWORD dst_unused:UNUSED_PAD src0_sel:WORD_0 src1_sel:DWORD
	v_mul_u32_u24_sdwa v17, v18, v128 dst_sel:DWORD dst_unused:UNUSED_PAD src0_sel:WORD_1 src1_sel:DWORD
	v_mul_u32_u24_sdwa v18, v19, v128 dst_sel:DWORD dst_unused:UNUSED_PAD src0_sel:WORD_0 src1_sel:DWORD
	v_mul_u32_u24_sdwa v19, v19, v128 dst_sel:DWORD dst_unused:UNUSED_PAD src0_sel:WORD_1 src1_sel:DWORD
	s_waitcnt lgkmcnt(0)
	s_lshl_b32 s13, s13, 5
	v_pk_fma_f16 v15, v6, v13, v15
	v_pk_fma_f16 v22, v6, v17, v23
	;; [unrolled: 1-line block ×7, first 2 shown]
	v_mul_u32_u24_sdwa v14, v20, v128 dst_sel:DWORD dst_unused:UNUSED_PAD src0_sel:WORD_0 src1_sel:DWORD
	v_mul_u32_u24_sdwa v16, v20, v128 dst_sel:DWORD dst_unused:UNUSED_PAD src0_sel:WORD_1 src1_sel:DWORD
	v_mul_u32_u24_sdwa v17, v21, v128 dst_sel:DWORD dst_unused:UNUSED_PAD src0_sel:WORD_0 src1_sel:DWORD
	v_mul_u32_u24_sdwa v18, v21, v128 dst_sel:DWORD dst_unused:UNUSED_PAD src0_sel:WORD_1 src1_sel:DWORD
	v_pk_fma_f16 v7, v7, v19, v11
	v_pk_fma_f16 v98, v8, v14, v15
	;; [unrolled: 1-line block ×9, first 2 shown]
	s_add_i32 s45, s13, s45
	s_cmp_lt_i32 s45, s50
	s_cbranch_scc0 .LBB56_51
; %bb.41:                               ;   in Loop: Header=BB56_16 Depth=1
	v_mov_b32_e32 v7, v2
	v_mov_b32_e32 v8, v3
	;; [unrolled: 1-line block ×8, first 2 shown]
	s_branch .LBB56_16
.LBB56_42:                              ;   in Loop: Header=BB56_16 Depth=1
	v_add_co_u32 v2, vcc_lo, s13, v71
	v_add_co_ci_u32_e64 v3, null, s14, v72, vcc_lo
	global_load_dwordx4 v[2:5], v[2:3], off offset:96
	s_waitcnt vmcnt(0)
	ds_write_b128 v115, v[2:5]
	s_or_b32 exec_lo, exec_lo, s15
	s_and_saveexec_b32 s15, s8
	s_cbranch_execz .LBB56_18
.LBB56_43:                              ;   in Loop: Header=BB56_16 Depth=1
	v_add_co_u32 v2, vcc_lo, s13, v73
	v_add_co_ci_u32_e64 v3, null, s14, v74, vcc_lo
	v_add_co_u32 v2, vcc_lo, v2, v125
	v_add_co_ci_u32_e64 v3, null, 0, v3, vcc_lo
	global_load_dwordx4 v[2:5], v[2:3], off offset:64
	s_waitcnt vmcnt(0)
	ds_write_b128 v116, v[2:5]
	s_or_b32 exec_lo, exec_lo, s15
	s_and_saveexec_b32 s15, s9
	s_cbranch_execnz .LBB56_19
	s_branch .LBB56_20
.LBB56_44:                              ;   in Loop: Header=BB56_16 Depth=1
	v_add_co_u32 v10, vcc_lo, s13, v71
	v_add_co_ci_u32_e64 v11, null, s14, v72, vcc_lo
	global_load_dwordx4 v[10:13], v[10:11], off offset:208
	s_waitcnt vmcnt(0)
	ds_write_b128 v115, v[10:13]
	s_or_b32 exec_lo, exec_lo, s15
	s_and_saveexec_b32 s15, s8
	s_cbranch_execz .LBB56_22
.LBB56_45:                              ;   in Loop: Header=BB56_16 Depth=1
	v_add_co_u32 v10, vcc_lo, s13, v73
	v_add_co_ci_u32_e64 v11, null, s14, v74, vcc_lo
	v_add_co_u32 v10, vcc_lo, v10, v125
	v_add_co_ci_u32_e64 v11, null, 0, v11, vcc_lo
	global_load_dwordx4 v[10:13], v[10:11], off offset:176
	s_waitcnt vmcnt(0)
	ds_write_b128 v116, v[10:13]
	s_or_b32 exec_lo, exec_lo, s15
	s_and_saveexec_b32 s15, s9
	s_cbranch_execnz .LBB56_23
	s_branch .LBB56_24
.LBB56_46:                              ;   in Loop: Header=BB56_16 Depth=1
	v_add_co_u32 v6, s20, s52, v77
	v_add_co_ci_u32_e64 v7, null, s53, v78, s20
	v_add_co_u32 v6, s20, v6, v125
	v_add_co_ci_u32_e64 v7, null, 0, v7, s20
	global_load_dwordx4 v[6:9], v[6:7], off offset:192
	s_waitcnt vmcnt(0)
	ds_write_b128 v122, v[6:9]
	s_or_b32 exec_lo, exec_lo, s54
	s_and_saveexec_b32 s54, s11
	s_cbranch_execz .LBB56_34
.LBB56_47:                              ;   in Loop: Header=BB56_16 Depth=1
	v_add_co_u32 v6, s20, s52, v79
	v_add_co_ci_u32_e64 v7, null, s53, v80, s20
	v_add_co_u32 v6, s20, v6, v126
	v_add_co_ci_u32_e64 v7, null, 0, v7, s20
	global_load_dwordx4 v[6:9], v[6:7], off offset:128
	s_waitcnt vmcnt(0)
	ds_write_b128 v123, v[6:9]
	s_or_b32 exec_lo, exec_lo, s54
	v_lshlrev_b32_e32 v141, 2, v101
	s_and_saveexec_b32 s54, s12
	s_cbranch_execnz .LBB56_35
	s_branch .LBB56_36
.LBB56_48:                              ;   in Loop: Header=BB56_16 Depth=1
	v_add_co_u32 v142, s20, s52, v77
	v_add_co_ci_u32_e64 v143, null, s53, v78, s20
	v_add_co_u32 v142, s20, v142, v125
	v_add_co_ci_u32_e64 v143, null, 0, v143, s20
	global_load_dwordx4 v[142:145], v[142:143], off offset:192
	s_waitcnt vmcnt(0)
	ds_write_b128 v122, v[142:145]
	s_or_b32 exec_lo, exec_lo, s54
	s_and_saveexec_b32 s54, s11
	s_cbranch_execz .LBB56_38
.LBB56_49:                              ;   in Loop: Header=BB56_16 Depth=1
	v_add_co_u32 v142, s20, s52, v79
	v_add_co_ci_u32_e64 v143, null, s53, v80, s20
	v_add_co_u32 v142, s20, v142, v126
	v_add_co_ci_u32_e64 v143, null, 0, v143, s20
	global_load_dwordx4 v[142:145], v[142:143], off offset:128
	s_waitcnt vmcnt(0)
	ds_write_b128 v123, v[142:145]
	s_or_b32 exec_lo, exec_lo, s54
	s_and_saveexec_b32 s54, s12
	s_cbranch_execnz .LBB56_39
	s_branch .LBB56_40
.LBB56_50:
	v_mov_b32_e32 v2, 0xfeffffff
	v_mov_b32_e32 v98, 0
	;; [unrolled: 1-line block ×16, first 2 shown]
.LBB56_51:
	s_cmp_gt_i32 s42, s45
	s_cbranch_scc1 .LBB56_54
; %bb.52:
	v_mbcnt_lo_u32_b32 v6, -1, 0
	v_mov_b32_e32 v81, 32
	v_xor_b32_e32 v117, 16, v6
	v_xor_b32_e32 v116, 8, v6
	;; [unrolled: 1-line block ×5, first 2 shown]
	s_cbranch_execz .LBB56_55
; %bb.53:
	v_mov_b32_e32 v90, v6
	s_branch .LBB56_100
.LBB56_54:
                                        ; implicit-def: $vgpr6
                                        ; implicit-def: $vgpr81
                                        ; implicit-def: $vgpr117
                                        ; implicit-def: $vgpr116
                                        ; implicit-def: $vgpr115
                                        ; implicit-def: $vgpr114
                                        ; implicit-def: $vgpr82
.LBB56_55:
	v_mul_lo_u32 v6, s47, v113
	s_mul_hi_i32 s9, s45, s47
	s_mul_i32 s8, s45, s47
	v_add_nc_u32_e32 v16, 0x1c60, v109
	s_lshl_b64 s[10:11], s[8:9], 2
	v_cmp_gt_u32_e64 s9, 32, v113
	s_sub_i32 s18, s42, s45
	s_add_u32 s19, s48, s10
	v_ashrrev_i32_e32 v7, 31, v6
	s_mov_b64 s[12:13], src_private_base
	s_addc_u32 s20, s49, s11
	v_cmp_gt_i32_e32 vcc_lo, s18, v113
	v_lshlrev_b64 v[6:7], 2, v[6:7]
	s_and_saveexec_b32 s8, s9
	s_cbranch_execz .LBB56_57
; %bb.56:
	v_add_co_u32 v8, s7, s19, v6
	v_add_co_ci_u32_e64 v9, null, s20, v7, s7
	v_mov_b32_e32 v10, 0
	v_add_co_u32 v8, s7, 0x60, v8
	v_add_co_ci_u32_e64 v9, null, 0, v9, s7
	buffer_store_dword v10, off, s[0:3], 0
	buffer_store_dword v10, off, s[0:3], 0 offset:4
	buffer_store_dword v10, off, s[0:3], 0 offset:8
	;; [unrolled: 1-line block ×3, first 2 shown]
	v_cndmask_b32_e32 v8, 0, v8, vcc_lo
	v_cndmask_b32_e32 v9, s13, v9, vcc_lo
	flat_load_dwordx4 v[8:11], v[8:9]
	s_waitcnt vmcnt(0) lgkmcnt(0)
	ds_write_b128 v16, v[8:11]
.LBB56_57:
	s_or_b32 exec_lo, exec_lo, s8
	v_lshl_add_u32 v77, v1, 4, v112
	v_lshlrev_b32_e32 v78, 2, v103
	s_mov_b64 s[14:15], src_private_base
	v_mul_lo_u32 v8, s47, v77
	v_lshl_or_b32 v10, v77, 7, v78
	v_cmp_gt_u32_e64 s10, 32, v77
	v_cmp_gt_i32_e64 s7, s18, v77
	v_add_nc_u32_e32 v17, 0x1c40, v10
	v_ashrrev_i32_e32 v9, 31, v8
	v_lshlrev_b64 v[8:9], 2, v[8:9]
	s_and_saveexec_b32 s11, s10
	s_cbranch_execz .LBB56_59
; %bb.58:
	v_add_co_u32 v10, s8, s19, v8
	v_add_co_ci_u32_e64 v11, null, s20, v9, s8
	v_mov_b32_e32 v12, 0
	v_add_co_u32 v10, s8, v10, v78
	v_add_co_ci_u32_e64 v11, null, 0, v11, s8
	buffer_store_dword v12, off, s[0:3], 0
	buffer_store_dword v12, off, s[0:3], 0 offset:4
	buffer_store_dword v12, off, s[0:3], 0 offset:8
	;; [unrolled: 1-line block ×3, first 2 shown]
	v_add_co_u32 v10, s8, v10, 64
	v_add_co_ci_u32_e64 v11, null, 0, v11, s8
	v_cndmask_b32_e64 v10, 0, v10, s7
	v_cndmask_b32_e64 v11, s15, v11, s7
	flat_load_dwordx4 v[10:13], v[10:11]
	s_waitcnt vmcnt(0) lgkmcnt(0)
	ds_write_b128 v17, v[10:13]
.LBB56_59:
	s_or_b32 exec_lo, exec_lo, s11
	v_lshl_add_u32 v79, v1, 3, v110
	v_lshlrev_b32_e32 v80, 2, v111
	v_add_nc_u32_e32 v1, 0x1c00, v109
	v_mov_b32_e32 v12, 0
	s_mov_b64 s[16:17], src_private_base
	v_mul_lo_u32 v10, s47, v79
	v_lshl_or_b32 v13, v79, 7, v80
	v_cmp_gt_u32_e64 s11, 32, v79
	v_cmp_gt_i32_e64 s8, s18, v79
	v_add_nc_u32_e32 v18, 0x1c00, v13
	v_ashrrev_i32_e32 v11, 31, v10
	v_lshlrev_b64 v[10:11], 2, v[10:11]
	s_and_saveexec_b32 s14, s11
	s_cbranch_execz .LBB56_61
; %bb.60:
	v_add_co_u32 v13, s12, s19, v10
	v_add_co_ci_u32_e64 v14, null, s20, v11, s12
	buffer_store_dword v12, off, s[0:3], 0
	buffer_store_dword v12, off, s[0:3], 0 offset:4
	buffer_store_dword v12, off, s[0:3], 0 offset:8
	;; [unrolled: 1-line block ×3, first 2 shown]
	v_add_co_u32 v13, s12, v13, v80
	v_add_co_ci_u32_e64 v14, null, 0, v14, s12
	v_cndmask_b32_e64 v13, 0, v13, s8
	v_cndmask_b32_e64 v14, s17, v14, s8
	flat_load_dwordx4 v[19:22], v[13:14]
	s_waitcnt vmcnt(0) lgkmcnt(0)
	ds_write_b128 v18, v[19:22]
.LBB56_61:
	s_or_b32 exec_lo, exec_lo, s14
	s_waitcnt lgkmcnt(0)
	s_waitcnt_vscnt null, 0x0
	s_barrier
	buffer_gl0_inv
	ds_read_b128 v[19:22], v1
	ds_read_b128 v[23:26], v104
	ds_read_b128 v[27:30], v104 offset:224
	ds_read_b128 v[31:34], v104 offset:448
	;; [unrolled: 1-line block ×3, first 2 shown]
	v_mov_b32_e32 v15, 0
	v_mov_b32_e32 v14, 0
	;; [unrolled: 1-line block ×3, first 2 shown]
	s_waitcnt lgkmcnt(3)
	;;#ASMSTART
	v_dot2_f32_f16 v15, v19, v23, v15
	;;#ASMEND
	;;#ASMSTART
	v_dot2_f32_f16 v15, v20, v24, v15
	;;#ASMEND
	;;#ASMSTART
	v_dot2_f32_f16 v15, v21, v25, v15
	;;#ASMEND
	;;#ASMSTART
	v_dot2_f32_f16 v15, v22, v26, v15
	;;#ASMEND
	s_waitcnt lgkmcnt(2)
	;;#ASMSTART
	v_dot2_f32_f16 v14, v19, v27, v14
	;;#ASMEND
	;;#ASMSTART
	v_dot2_f32_f16 v14, v20, v28, v14
	;;#ASMEND
	;;#ASMSTART
	v_dot2_f32_f16 v14, v21, v29, v14
	;;#ASMEND
	;;#ASMSTART
	v_dot2_f32_f16 v14, v22, v30, v14
	;;#ASMEND
	s_waitcnt lgkmcnt(1)
	;;#ASMSTART
	v_dot2_f32_f16 v13, v19, v31, v13
	;;#ASMEND
	;;#ASMSTART
	v_dot2_f32_f16 v13, v20, v32, v13
	;;#ASMEND
	;;#ASMSTART
	v_dot2_f32_f16 v13, v21, v33, v13
	;;#ASMEND
	;;#ASMSTART
	v_dot2_f32_f16 v13, v22, v34, v13
	;;#ASMEND
	s_waitcnt lgkmcnt(0)
	;;#ASMSTART
	v_dot2_f32_f16 v12, v19, v35, v12
	;;#ASMEND
	;;#ASMSTART
	v_dot2_f32_f16 v12, v20, v36, v12
	;;#ASMEND
	;;#ASMSTART
	v_dot2_f32_f16 v12, v21, v37, v12
	;;#ASMEND
	;;#ASMSTART
	v_dot2_f32_f16 v12, v22, v38, v12
	;;#ASMEND
	ds_read_b128 v[19:22], v1 offset:16
	ds_read_b128 v[23:26], v104 offset:16
	ds_read_b128 v[27:30], v104 offset:240
	ds_read_b128 v[31:34], v104 offset:464
	ds_read_b128 v[35:38], v104 offset:688
	s_waitcnt lgkmcnt(3)
	;;#ASMSTART
	v_dot2_f32_f16 v15, v19, v23, v15
	;;#ASMEND
	;;#ASMSTART
	v_dot2_f32_f16 v15, v20, v24, v15
	;;#ASMEND
	;;#ASMSTART
	v_dot2_f32_f16 v15, v21, v25, v15
	;;#ASMEND
	;;#ASMSTART
	v_dot2_f32_f16 v15, v22, v26, v15
	;;#ASMEND
	s_waitcnt lgkmcnt(2)
	;;#ASMSTART
	v_dot2_f32_f16 v14, v19, v27, v14
	;;#ASMEND
	;;#ASMSTART
	v_dot2_f32_f16 v14, v20, v28, v14
	;;#ASMEND
	;;#ASMSTART
	v_dot2_f32_f16 v14, v21, v29, v14
	;;#ASMEND
	;;#ASMSTART
	v_dot2_f32_f16 v14, v22, v30, v14
	;;#ASMEND
	s_waitcnt lgkmcnt(1)
	;;#ASMSTART
	v_dot2_f32_f16 v13, v19, v31, v13
	;;#ASMEND
	;;#ASMSTART
	v_dot2_f32_f16 v13, v20, v32, v13
	;;#ASMEND
	;;#ASMSTART
	v_dot2_f32_f16 v13, v21, v33, v13
	;;#ASMEND
	;;#ASMSTART
	v_dot2_f32_f16 v13, v22, v34, v13
	;;#ASMEND
	s_waitcnt lgkmcnt(0)
	;;#ASMSTART
	v_dot2_f32_f16 v12, v19, v35, v12
	;;#ASMEND
	;;#ASMSTART
	v_dot2_f32_f16 v12, v20, v36, v12
	;;#ASMEND
	;;#ASMSTART
	v_dot2_f32_f16 v12, v21, v37, v12
	;;#ASMEND
	;;#ASMSTART
	v_dot2_f32_f16 v12, v22, v38, v12
	;;#ASMEND
	ds_read_b128 v[19:22], v1 offset:32
	ds_read_b128 v[23:26], v104 offset:32
	ds_read_b128 v[27:30], v104 offset:256
	ds_read_b128 v[31:34], v104 offset:480
	ds_read_b128 v[35:38], v104 offset:704
	;; [unrolled: 57-line block ×6, first 2 shown]
	s_waitcnt lgkmcnt(3)
	;;#ASMSTART
	v_dot2_f32_f16 v15, v19, v23, v15
	;;#ASMEND
	;;#ASMSTART
	v_dot2_f32_f16 v15, v20, v24, v15
	;;#ASMEND
	;;#ASMSTART
	v_dot2_f32_f16 v15, v21, v25, v15
	;;#ASMEND
	;;#ASMSTART
	v_dot2_f32_f16 v15, v22, v26, v15
	;;#ASMEND
	s_waitcnt lgkmcnt(2)
	;;#ASMSTART
	v_dot2_f32_f16 v14, v19, v27, v14
	;;#ASMEND
	;;#ASMSTART
	v_dot2_f32_f16 v14, v20, v28, v14
	;;#ASMEND
	;;#ASMSTART
	v_dot2_f32_f16 v14, v21, v29, v14
	;;#ASMEND
	;;#ASMSTART
	v_dot2_f32_f16 v14, v22, v30, v14
	;;#ASMEND
	;; [unrolled: 13-line block ×4, first 2 shown]
	s_barrier
	buffer_gl0_inv
	s_and_saveexec_b32 s12, s9
	s_cbranch_execnz .LBB56_68
; %bb.62:
	s_or_b32 exec_lo, exec_lo, s12
	s_and_saveexec_b32 s9, s10
	s_cbranch_execnz .LBB56_69
.LBB56_63:
	s_or_b32 exec_lo, exec_lo, s9
	s_and_saveexec_b32 s9, s11
	s_cbranch_execz .LBB56_65
.LBB56_64:
	v_add_co_u32 v6, vcc_lo, s19, v10
	v_add_co_ci_u32_e64 v7, null, s20, v11, vcc_lo
	v_mov_b32_e32 v8, 0
	v_add_co_u32 v6, vcc_lo, v6, v80
	v_add_co_ci_u32_e64 v7, null, 0, v7, vcc_lo
	buffer_store_dword v8, off, s[0:3], 0
	buffer_store_dword v8, off, s[0:3], 0 offset:4
	buffer_store_dword v8, off, s[0:3], 0 offset:8
	;; [unrolled: 1-line block ×3, first 2 shown]
	v_add_co_u32 v6, vcc_lo, 0x70, v6
	v_add_co_ci_u32_e64 v7, null, 0, v7, vcc_lo
	v_cndmask_b32_e64 v6, 0, v6, s8
	v_cndmask_b32_e64 v7, s17, v7, s8
	flat_load_dwordx4 v[6:9], v[6:7]
	s_waitcnt vmcnt(0) lgkmcnt(0)
	ds_write_b128 v18, v[6:9]
.LBB56_65:
	s_or_b32 exec_lo, exec_lo, s9
	s_waitcnt lgkmcnt(0)
	s_waitcnt_vscnt null, 0x0
	s_barrier
	buffer_gl0_inv
	ds_read_b128 v[6:9], v1
	ds_read_b128 v[16:19], v104 offset:112
	ds_read_b128 v[20:23], v104 offset:336
	;; [unrolled: 1-line block ×4, first 2 shown]
	s_cmp_lg_u64 s[40:41], 0
	v_cmp_gt_i32_e64 s9, s18, v0
	s_cselect_b32 s11, -1, 0
	s_waitcnt lgkmcnt(3)
	;;#ASMSTART
	v_dot2_f32_f16 v15, v6, v16, v15
	;;#ASMEND
	;;#ASMSTART
	v_dot2_f32_f16 v15, v7, v17, v15
	;;#ASMEND
	;;#ASMSTART
	v_dot2_f32_f16 v15, v8, v18, v15
	;;#ASMEND
	;;#ASMSTART
	v_dot2_f32_f16 v15, v9, v19, v15
	;;#ASMEND
	s_waitcnt lgkmcnt(2)
	;;#ASMSTART
	v_dot2_f32_f16 v14, v6, v20, v14
	;;#ASMEND
	;;#ASMSTART
	v_dot2_f32_f16 v14, v7, v21, v14
	;;#ASMEND
	;;#ASMSTART
	v_dot2_f32_f16 v14, v8, v22, v14
	;;#ASMEND
	;;#ASMSTART
	v_dot2_f32_f16 v14, v9, v23, v14
	;;#ASMEND
	;; [unrolled: 13-line block ×4, first 2 shown]
	ds_read_b128 v[6:9], v1 offset:16
	ds_read_b128 v[16:19], v104 offset:128
	;; [unrolled: 1-line block ×5, first 2 shown]
	v_cndmask_b32_e64 v10, 0, 1, s11
	s_waitcnt lgkmcnt(3)
	;;#ASMSTART
	v_dot2_f32_f16 v15, v6, v16, v15
	;;#ASMEND
	;;#ASMSTART
	v_dot2_f32_f16 v15, v7, v17, v15
	;;#ASMEND
	;;#ASMSTART
	v_dot2_f32_f16 v15, v8, v18, v15
	;;#ASMEND
	;;#ASMSTART
	v_dot2_f32_f16 v15, v9, v19, v15
	;;#ASMEND
	s_waitcnt lgkmcnt(2)
	;;#ASMSTART
	v_dot2_f32_f16 v14, v6, v20, v14
	;;#ASMEND
	;;#ASMSTART
	v_dot2_f32_f16 v14, v7, v21, v14
	;;#ASMEND
	;;#ASMSTART
	v_dot2_f32_f16 v14, v8, v22, v14
	;;#ASMEND
	;;#ASMSTART
	v_dot2_f32_f16 v14, v9, v23, v14
	;;#ASMEND
	s_waitcnt lgkmcnt(1)
	;;#ASMSTART
	v_dot2_f32_f16 v13, v6, v24, v13
	;;#ASMEND
	;;#ASMSTART
	v_dot2_f32_f16 v13, v7, v25, v13
	;;#ASMEND
	;;#ASMSTART
	v_dot2_f32_f16 v13, v8, v26, v13
	;;#ASMEND
	;;#ASMSTART
	v_dot2_f32_f16 v13, v9, v27, v13
	;;#ASMEND
	s_waitcnt lgkmcnt(0)
	;;#ASMSTART
	v_dot2_f32_f16 v12, v6, v28, v12
	;;#ASMEND
	;;#ASMSTART
	v_dot2_f32_f16 v12, v7, v29, v12
	;;#ASMEND
	;;#ASMSTART
	v_dot2_f32_f16 v12, v8, v30, v12
	;;#ASMEND
	;;#ASMSTART
	v_dot2_f32_f16 v12, v9, v31, v12
	;;#ASMEND
	ds_read_b128 v[6:9], v1 offset:32
	ds_read_b128 v[16:19], v104 offset:144
	ds_read_b128 v[20:23], v104 offset:368
	ds_read_b128 v[24:27], v104 offset:592
	ds_read_b128 v[28:31], v104 offset:816
	s_waitcnt lgkmcnt(3)
	;;#ASMSTART
	v_dot2_f32_f16 v15, v6, v16, v15
	;;#ASMEND
	;;#ASMSTART
	v_dot2_f32_f16 v15, v7, v17, v15
	;;#ASMEND
	;;#ASMSTART
	v_dot2_f32_f16 v15, v8, v18, v15
	;;#ASMEND
	;;#ASMSTART
	v_dot2_f32_f16 v15, v9, v19, v15
	;;#ASMEND
	s_waitcnt lgkmcnt(2)
	;;#ASMSTART
	v_dot2_f32_f16 v14, v6, v20, v14
	;;#ASMEND
	;;#ASMSTART
	v_dot2_f32_f16 v14, v7, v21, v14
	;;#ASMEND
	;;#ASMSTART
	v_dot2_f32_f16 v14, v8, v22, v14
	;;#ASMEND
	;;#ASMSTART
	v_dot2_f32_f16 v14, v9, v23, v14
	;;#ASMEND
	s_waitcnt lgkmcnt(1)
	;;#ASMSTART
	v_dot2_f32_f16 v13, v6, v24, v13
	;;#ASMEND
	;;#ASMSTART
	v_dot2_f32_f16 v13, v7, v25, v13
	;;#ASMEND
	;;#ASMSTART
	v_dot2_f32_f16 v13, v8, v26, v13
	;;#ASMEND
	;;#ASMSTART
	v_dot2_f32_f16 v13, v9, v27, v13
	;;#ASMEND
	s_waitcnt lgkmcnt(0)
	;;#ASMSTART
	v_dot2_f32_f16 v12, v6, v28, v12
	;;#ASMEND
	;;#ASMSTART
	v_dot2_f32_f16 v12, v7, v29, v12
	;;#ASMEND
	;;#ASMSTART
	v_dot2_f32_f16 v12, v8, v30, v12
	;;#ASMEND
	;;#ASMSTART
	v_dot2_f32_f16 v12, v9, v31, v12
	;;#ASMEND
	ds_read_b128 v[6:9], v1 offset:48
	ds_read_b128 v[16:19], v104 offset:160
	ds_read_b128 v[20:23], v104 offset:384
	ds_read_b128 v[24:27], v104 offset:608
	ds_read_b128 v[28:31], v104 offset:832
	;; [unrolled: 57-line block ×5, first 2 shown]
	s_waitcnt lgkmcnt(3)
	;;#ASMSTART
	v_dot2_f32_f16 v15, v16, v20, v15
	;;#ASMEND
	;;#ASMSTART
	v_dot2_f32_f16 v15, v17, v21, v15
	;;#ASMEND
	;; [unrolled: 3-line block ×4, first 2 shown]
	s_waitcnt lgkmcnt(2)
	;;#ASMSTART
	v_dot2_f32_f16 v14, v16, v24, v14
	;;#ASMEND
	;;#ASMSTART
	v_dot2_f32_f16 v14, v17, v25, v14
	;;#ASMEND
	;; [unrolled: 3-line block ×3, first 2 shown]
	v_mov_b32_e32 v9, v5
	;;#ASMSTART
	v_dot2_f32_f16 v14, v19, v27, v14
	;;#ASMEND
	s_waitcnt lgkmcnt(1)
	;;#ASMSTART
	v_dot2_f32_f16 v13, v16, v28, v13
	;;#ASMEND
	v_add_nc_u32_e32 v1, s45, v0
	v_mov_b32_e32 v8, v4
	v_mov_b32_e32 v7, v3
	;; [unrolled: 1-line block ×3, first 2 shown]
	;;#ASMSTART
	v_dot2_f32_f16 v13, v17, v29, v13
	;;#ASMEND
	;;#ASMSTART
	v_dot2_f32_f16 v13, v18, v30, v13
	;;#ASMEND
	;; [unrolled: 3-line block ×3, first 2 shown]
	s_waitcnt lgkmcnt(0)
	;;#ASMSTART
	v_dot2_f32_f16 v12, v16, v32, v12
	;;#ASMEND
	;;#ASMSTART
	v_dot2_f32_f16 v12, v17, v33, v12
	;;#ASMEND
	;; [unrolled: 3-line block ×4, first 2 shown]
	s_and_saveexec_b32 s10, s9
	s_cbranch_execz .LBB56_72
; %bb.66:
	s_andn2_b32 vcc_lo, exec_lo, s11
	s_cbranch_vccnz .LBB56_70
; %bb.67:
	v_mul_hi_u32 v6, s36, v88
	v_add_nc_u32_e32 v6, v88, v6
	v_lshrrev_b32_e32 v6, s37, v6
	v_mul_lo_u32 v6, v6, s38
	v_sub_nc_u32_e32 v6, v88, v6
	v_mad_u64_u32 v[6:7], null, v6, s46, v[1:2]
	v_ashrrev_i32_e32 v7, 31, v6
	v_lshlrev_b64 v[6:7], 1, v[6:7]
	v_add_co_u32 v6, vcc_lo, s40, v6
	v_add_co_ci_u32_e64 v7, null, s41, v7, vcc_lo
	global_load_ushort v6, v[6:7], off
	s_waitcnt vmcnt(0)
	v_cvt_f32_f16_e32 v6, v6
	v_mul_f32_e32 v6, v100, v6
	s_branch .LBB56_71
.LBB56_68:
	v_add_co_u32 v6, s9, s19, v6
	v_add_co_ci_u32_e64 v7, null, s20, v7, s9
	v_mov_b32_e32 v19, 0
	v_add_co_u32 v6, s9, 0xd0, v6
	v_add_co_ci_u32_e64 v7, null, 0, v7, s9
	buffer_store_dword v19, off, s[0:3], 0
	buffer_store_dword v19, off, s[0:3], 0 offset:4
	buffer_store_dword v19, off, s[0:3], 0 offset:8
	;; [unrolled: 1-line block ×3, first 2 shown]
	v_cndmask_b32_e32 v6, 0, v6, vcc_lo
	v_cndmask_b32_e32 v7, s13, v7, vcc_lo
	flat_load_dwordx4 v[19:22], v[6:7]
	s_waitcnt vmcnt(0) lgkmcnt(0)
	ds_write_b128 v16, v[19:22]
	s_or_b32 exec_lo, exec_lo, s12
	s_and_saveexec_b32 s9, s10
	s_cbranch_execz .LBB56_63
.LBB56_69:
	v_add_co_u32 v6, vcc_lo, s19, v8
	v_add_co_ci_u32_e64 v7, null, s20, v9, vcc_lo
	v_mov_b32_e32 v8, 0
	v_add_co_u32 v6, vcc_lo, v6, v78
	v_add_co_ci_u32_e64 v7, null, 0, v7, vcc_lo
	buffer_store_dword v8, off, s[0:3], 0
	buffer_store_dword v8, off, s[0:3], 0 offset:4
	buffer_store_dword v8, off, s[0:3], 0 offset:8
	;; [unrolled: 1-line block ×3, first 2 shown]
	v_add_co_u32 v6, vcc_lo, 0xb0, v6
	v_add_co_ci_u32_e64 v7, null, 0, v7, vcc_lo
	v_cndmask_b32_e64 v6, 0, v6, s7
	v_cndmask_b32_e64 v7, s15, v7, s7
	flat_load_dwordx4 v[6:9], v[6:7]
	s_waitcnt vmcnt(0) lgkmcnt(0)
	ds_write_b128 v17, v[6:9]
	s_or_b32 exec_lo, exec_lo, s9
	s_and_saveexec_b32 s9, s11
	s_cbranch_execnz .LBB56_64
	s_branch .LBB56_65
.LBB56_70:
	v_mov_b32_e32 v6, 0
.LBB56_71:
	v_add_f32_e32 v15, v15, v6
	v_max_f32_e32 v11, v2, v2
	v_mov_b32_e32 v9, v5
	v_mov_b32_e32 v6, v2
	;; [unrolled: 1-line block ×3, first 2 shown]
	v_add_f32_e32 v16, 0x40051340, v15
	v_mov_b32_e32 v7, v3
	v_max_f32_e32 v6, v11, v16
.LBB56_72:
	s_or_b32 exec_lo, exec_lo, s10
	v_xor_b32_e32 v117, 16, v90
	v_xor_b32_e32 v116, 8, v90
	;; [unrolled: 1-line block ×5, first 2 shown]
	v_cmp_gt_i32_e32 vcc_lo, 32, v117
	v_mov_b32_e32 v81, 32
	v_cndmask_b32_e32 v11, v90, v117, vcc_lo
	v_cmp_gt_i32_e32 vcc_lo, 32, v116
	v_lshlrev_b32_e32 v11, 2, v11
	v_cndmask_b32_e32 v17, v90, v116, vcc_lo
	v_cmp_gt_i32_e32 vcc_lo, 32, v115
	ds_bpermute_b32 v16, v11, v6
	v_max_f32_e32 v6, v6, v6
	s_waitcnt lgkmcnt(0)
	v_max_f32_e32 v18, v16, v16
	v_lshlrev_b32_e32 v16, 2, v17
	v_max_f32_e32 v6, v6, v18
	v_cndmask_b32_e32 v18, v90, v115, vcc_lo
	v_cmp_gt_i32_e32 vcc_lo, 32, v114
	ds_bpermute_b32 v17, v16, v6
	s_waitcnt lgkmcnt(0)
	v_max_f32_e32 v19, v17, v17
	v_lshlrev_b32_e32 v17, 2, v18
	v_max_f32_e32 v6, v6, v19
	v_cndmask_b32_e32 v19, v90, v114, vcc_lo
	v_cmp_gt_i32_e32 vcc_lo, 32, v82
	ds_bpermute_b32 v18, v17, v6
	s_waitcnt lgkmcnt(0)
	v_max_f32_e32 v20, v18, v18
	v_lshlrev_b32_e32 v18, 2, v19
	v_max_f32_e32 v6, v6, v20
	v_cndmask_b32_e32 v20, v90, v82, vcc_lo
	ds_bpermute_b32 v19, v18, v6
	s_waitcnt lgkmcnt(0)
	v_max_f32_e32 v21, v19, v19
	v_lshlrev_b32_e32 v19, 2, v20
	v_max_f32_e32 v6, v6, v21
	ds_bpermute_b32 v20, v19, v6
	s_waitcnt lgkmcnt(0)
	v_max_f32_e32 v20, v20, v20
	v_max_f32_e32 v6, v6, v20
	s_and_saveexec_b32 s10, s9
	s_cbranch_execz .LBB56_77
; %bb.73:
	v_cmp_ne_u32_e32 vcc_lo, 1, v10
	s_cbranch_vccnz .LBB56_75
; %bb.74:
	v_or_b32_e32 v20, 1, v88
	v_mul_hi_u32 v21, s36, v20
	v_add_nc_u32_e32 v21, v20, v21
	v_lshrrev_b32_e32 v21, s37, v21
	v_mul_lo_u32 v21, v21, s38
	v_sub_nc_u32_e32 v20, v20, v21
	v_mad_u64_u32 v[20:21], null, v20, s46, v[1:2]
	v_ashrrev_i32_e32 v21, 31, v20
	v_lshlrev_b64 v[20:21], 1, v[20:21]
	v_add_co_u32 v20, vcc_lo, s40, v20
	v_add_co_ci_u32_e64 v21, null, s41, v21, vcc_lo
	global_load_ushort v20, v[20:21], off
	s_waitcnt vmcnt(0)
	v_cvt_f32_f16_e32 v20, v20
	v_mul_f32_e32 v20, v100, v20
	s_branch .LBB56_76
.LBB56_75:
	v_mov_b32_e32 v20, 0
.LBB56_76:
	v_add_f32_e32 v14, v14, v20
	v_max_f32_e32 v7, v7, v7
	v_add_f32_e32 v20, 0x40051340, v14
	v_max_f32_e32 v7, v7, v20
.LBB56_77:
	s_or_b32 exec_lo, exec_lo, s10
	ds_bpermute_b32 v20, v11, v7
	v_max_f32_e32 v7, v7, v7
	s_waitcnt lgkmcnt(0)
	v_max_f32_e32 v20, v20, v20
	v_max_f32_e32 v7, v7, v20
	ds_bpermute_b32 v20, v16, v7
	s_waitcnt lgkmcnt(0)
	v_max_f32_e32 v20, v20, v20
	v_max_f32_e32 v7, v7, v20
	ds_bpermute_b32 v20, v17, v7
	;; [unrolled: 4-line block ×4, first 2 shown]
	s_waitcnt lgkmcnt(0)
	v_max_f32_e32 v20, v20, v20
	v_max_f32_e32 v7, v7, v20
	s_and_saveexec_b32 s10, s9
	s_cbranch_execz .LBB56_82
; %bb.78:
	v_cmp_ne_u32_e32 vcc_lo, 1, v10
	s_cbranch_vccnz .LBB56_80
; %bb.79:
	v_or_b32_e32 v20, 2, v88
	v_mul_hi_u32 v21, s36, v20
	v_add_nc_u32_e32 v21, v20, v21
	v_lshrrev_b32_e32 v21, s37, v21
	v_mul_lo_u32 v21, v21, s38
	v_sub_nc_u32_e32 v20, v20, v21
	v_mad_u64_u32 v[20:21], null, v20, s46, v[1:2]
	v_ashrrev_i32_e32 v21, 31, v20
	v_lshlrev_b64 v[20:21], 1, v[20:21]
	v_add_co_u32 v20, vcc_lo, s40, v20
	v_add_co_ci_u32_e64 v21, null, s41, v21, vcc_lo
	global_load_ushort v20, v[20:21], off
	s_waitcnt vmcnt(0)
	v_cvt_f32_f16_e32 v20, v20
	v_mul_f32_e32 v20, v100, v20
	s_branch .LBB56_81
.LBB56_80:
	v_mov_b32_e32 v20, 0
.LBB56_81:
	v_add_f32_e32 v13, v13, v20
	v_max_f32_e32 v8, v8, v8
	v_add_f32_e32 v20, 0x40051340, v13
	v_max_f32_e32 v8, v8, v20
.LBB56_82:
	s_or_b32 exec_lo, exec_lo, s10
	ds_bpermute_b32 v20, v11, v8
	v_max_f32_e32 v8, v8, v8
	s_waitcnt lgkmcnt(0)
	v_max_f32_e32 v20, v20, v20
	v_max_f32_e32 v8, v8, v20
	ds_bpermute_b32 v20, v16, v8
	s_waitcnt lgkmcnt(0)
	v_max_f32_e32 v20, v20, v20
	v_max_f32_e32 v8, v8, v20
	ds_bpermute_b32 v20, v17, v8
	;; [unrolled: 4-line block ×4, first 2 shown]
	s_waitcnt lgkmcnt(0)
	v_max_f32_e32 v20, v20, v20
	v_max_f32_e32 v8, v8, v20
	s_and_saveexec_b32 s10, s9
	s_cbranch_execz .LBB56_87
; %bb.83:
	v_cmp_ne_u32_e32 vcc_lo, 1, v10
	s_cbranch_vccnz .LBB56_85
; %bb.84:
	v_or_b32_e32 v10, 3, v88
	v_mul_hi_u32 v20, s36, v10
	v_add_nc_u32_e32 v20, v10, v20
	v_lshrrev_b32_e32 v20, s37, v20
	v_mul_lo_u32 v20, v20, s38
	v_sub_nc_u32_e32 v10, v10, v20
	v_mad_u64_u32 v[20:21], null, v10, s46, v[1:2]
	v_ashrrev_i32_e32 v21, 31, v20
	v_lshlrev_b64 v[20:21], 1, v[20:21]
	v_add_co_u32 v20, vcc_lo, s40, v20
	v_add_co_ci_u32_e64 v21, null, s41, v21, vcc_lo
	global_load_ushort v1, v[20:21], off
	s_waitcnt vmcnt(0)
	v_cvt_f32_f16_e32 v1, v1
	v_mul_f32_e32 v1, v100, v1
	s_branch .LBB56_86
.LBB56_85:
	v_mov_b32_e32 v1, 0
.LBB56_86:
	v_add_f32_e32 v12, v12, v1
	v_max_f32_e32 v9, v9, v9
	v_add_f32_e32 v1, 0x40051340, v12
	v_max_f32_e32 v9, v9, v1
.LBB56_87:
	s_or_b32 exec_lo, exec_lo, s10
	ds_bpermute_b32 v1, v11, v9
	v_max_f32_e32 v9, v9, v9
	v_sub_f32_e32 v11, v15, v6
	v_sub_f32_e32 v14, v14, v7
	;; [unrolled: 1-line block ×3, first 2 shown]
	s_mov_b64 s[10:11], src_private_base
	s_mul_hi_i32 s13, s45, s43
	v_mul_f32_e32 v10, 0x3fb8aa3b, v11
	v_cmp_ngt_f32_e64 s9, 0xc2ce8ed0, v11
	s_mul_i32 s12, s45, s43
	v_add_nc_u32_e32 v15, v91, v89
	v_cmp_gt_u32_e32 vcc_lo, 16, v77
	s_lshl_b64 s[12:13], s[12:13], 2
	s_waitcnt lgkmcnt(0)
	s_barrier
	buffer_gl0_inv
	v_max_f32_e32 v1, v1, v1
	v_max_f32_e32 v1, v9, v1
	ds_bpermute_b32 v9, v16, v1
	v_mul_f32_e32 v16, 0x3fb8aa3b, v14
	v_rndne_f32_e32 v20, v16
	s_waitcnt lgkmcnt(0)
	v_max_f32_e32 v9, v9, v9
	v_max_f32_e32 v1, v1, v9
	ds_bpermute_b32 v9, v17, v1
	v_mul_f32_e32 v17, 0x3fb8aa3b, v13
	v_fma_f32 v21, 0x3fb8aa3b, v13, -v17
	v_rndne_f32_e32 v22, v17
	v_fmac_f32_e32 v21, 0x32a5705f, v13
	v_sub_f32_e32 v17, v17, v22
	v_cvt_i32_f32_e32 v22, v22
	v_add_f32_e32 v17, v17, v21
	v_mul_u32_u24_e32 v21, 0xe0, v77
	s_waitcnt lgkmcnt(0)
	v_max_f32_e32 v9, v9, v9
	v_exp_f32_e32 v17, v17
	v_max_f32_e32 v1, v1, v9
	ds_bpermute_b32 v9, v18, v1
	v_fma_f32 v18, 0x3fb8aa3b, v11, -v10
	v_ldexp_f32 v17, v17, v22
	v_fmac_f32_e32 v18, 0x32a5705f, v11
	s_waitcnt lgkmcnt(0)
	v_max_f32_e32 v9, v9, v9
	v_max_f32_e32 v1, v1, v9
	ds_bpermute_b32 v9, v19, v1
	v_fma_f32 v19, 0x3fb8aa3b, v14, -v16
	v_sub_f32_e32 v16, v16, v20
	v_cvt_i32_f32_e32 v20, v20
	v_fmac_f32_e32 v19, 0x32a5705f, v14
	v_add_f32_e32 v16, v16, v19
	v_exp_f32_e32 v16, v16
	s_waitcnt lgkmcnt(0)
	v_max_f32_e32 v9, v9, v9
	v_max_f32_e32 v9, v1, v9
	v_rndne_f32_e32 v1, v10
	v_ldexp_f32 v16, v16, v20
	v_sub_f32_e32 v12, v12, v9
	v_sub_f32_e32 v10, v10, v1
	v_cvt_i32_f32_e32 v1, v1
	v_mul_f32_e32 v23, 0x3fb8aa3b, v12
	v_add_f32_e32 v10, v10, v18
	v_cmp_ngt_f32_e64 s10, 0xc2ce8ed0, v12
	v_fma_f32 v18, 0x3fb8aa3b, v12, -v23
	v_rndne_f32_e32 v24, v23
	v_exp_f32_e32 v19, v10
	v_fmac_f32_e32 v18, 0x32a5705f, v12
	v_sub_f32_e32 v10, v23, v24
	v_add_f32_e32 v18, v10, v18
	v_ldexp_f32 v1, v19, v1
	v_cvt_i32_f32_e32 v19, v24
	v_mul_lo_u32 v10, s43, v77
	v_exp_f32_e32 v18, v18
	v_cndmask_b32_e64 v1, 0, v1, s9
	v_cmp_ngt_f32_e64 s9, 0xc2ce8ed0, v14
	v_cndmask_b32_e64 v16, 0, v16, s9
	v_cmp_ngt_f32_e64 s9, 0xc2ce8ed0, v13
	v_ldexp_f32 v18, v18, v19
	v_cndmask_b32_e64 v17, 0, v17, s9
	v_cmp_nlt_f32_e64 s9, 0x42b17218, v11
	v_cndmask_b32_e64 v11, 0, v18, s10
	v_cmp_nlt_f32_e64 s10, 0x42b17218, v14
	v_cndmask_b32_e64 v1, 0x7f800000, v1, s9
	v_cmp_gt_u32_e64 s9, s18, v0
	v_cndmask_b32_e64 v14, 0x7f800000, v16, s10
	v_cmp_nlt_f32_e64 s10, 0x42b17218, v13
	v_cndmask_b32_e64 v100, 0, v1, s9
	v_cndmask_b32_e64 v104, 0, v14, s9
	;; [unrolled: 1-line block ×3, first 2 shown]
	v_cmp_nlt_f32_e64 s10, 0x42b17218, v12
	v_lshl_or_b32 v1, v103, 2, v21
	v_cvt_f16_f32_e32 v12, v100
	v_cndmask_b32_e64 v109, 0, v13, s9
	v_cndmask_b32_e64 v11, 0x7f800000, v11, s10
	v_cvt_f16_f32_e32 v13, v104
	v_add_nc_u32_e32 v119, 0x1cc0, v1
	s_add_u32 s10, s21, s12
	v_cvt_f16_f32_e32 v14, v109
	v_cndmask_b32_e64 v110, 0, v11, s9
	v_ashrrev_i32_e32 v11, 31, v10
	v_pack_b32_f16 v12, v12, v13
	s_addc_u32 s16, s44, s13
	v_cvt_f16_f32_e32 v16, v110
	v_lshlrev_b64 v[73:74], 2, v[10:11]
	v_pack_b32_f16 v13, v14, v16
	ds_write_b64 v15, v[12:13]
	s_and_saveexec_b32 s12, vcc_lo
	s_cbranch_execz .LBB56_89
; %bb.88:
	v_add_co_u32 v1, s9, s10, v73
	v_add_co_ci_u32_e64 v10, null, s16, v74, s9
	v_mov_b32_e32 v12, 0
	v_add_co_u32 v1, s9, v1, v78
	v_add_co_ci_u32_e64 v10, null, 0, v10, s9
	buffer_store_dword v12, off, s[0:3], 0
	buffer_store_dword v12, off, s[0:3], 0 offset:4
	buffer_store_dword v12, off, s[0:3], 0 offset:8
	;; [unrolled: 1-line block ×3, first 2 shown]
	v_add_co_u32 v1, s9, 0xc0, v1
	v_add_co_ci_u32_e64 v10, null, 0, v10, s9
	v_cndmask_b32_e64 v11, s11, v10, s7
	v_cndmask_b32_e64 v10, 0, v1, s7
	flat_load_dwordx4 v[10:13], v[10:11]
	s_waitcnt vmcnt(0) lgkmcnt(0)
	ds_write_b128 v119, v[10:13]
.LBB56_89:
	s_or_b32 exec_lo, exec_lo, s12
	v_mul_lo_u32 v10, s43, v79
	v_mul_u32_u24_e32 v1, 0xe0, v79
	v_cmp_gt_u32_e64 s9, 16, v79
	s_mov_b64 s[14:15], src_private_base
	v_add3_u32 v120, v1, v80, 0x1c80
	v_ashrrev_i32_e32 v11, 31, v10
	v_lshlrev_b64 v[75:76], 2, v[10:11]
	s_and_saveexec_b32 s12, s9
	s_cbranch_execz .LBB56_91
; %bb.90:
	v_add_co_u32 v1, s7, s10, v75
	v_add_co_ci_u32_e64 v10, null, s16, v76, s7
	v_mov_b32_e32 v12, 0
	v_add_co_u32 v1, s7, v1, v80
	v_add_co_ci_u32_e64 v10, null, 0, v10, s7
	buffer_store_dword v12, off, s[0:3], 0
	buffer_store_dword v12, off, s[0:3], 0 offset:4
	buffer_store_dword v12, off, s[0:3], 0 offset:8
	buffer_store_dword v12, off, s[0:3], 0 offset:12
	v_add_co_u32 v1, s7, 0x80, v1
	v_add_co_ci_u32_e64 v10, null, 0, v10, s7
	v_cndmask_b32_e64 v11, s15, v10, s8
	v_cndmask_b32_e64 v10, 0, v1, s8
	flat_load_dwordx4 v[10:13], v[10:11]
	s_waitcnt vmcnt(0) lgkmcnt(0)
	ds_write_b128 v120, v[10:13]
.LBB56_91:
	s_or_b32 exec_lo, exec_lo, s12
	v_add_nc_u32_e32 v102, v102, v86
	v_lshlrev_b32_e32 v112, 2, v101
	v_mov_b32_e32 v1, 0
	s_mov_b64 s[12:13], src_private_base
	v_mul_lo_u32 v10, s43, v102
	v_mul_u32_u24_e32 v12, 0xe0, v102
	v_cmp_gt_u32_e64 s7, 16, v102
	v_add3_u32 v103, v12, v112, 0x1c00
	v_ashrrev_i32_e32 v11, 31, v10
	v_lshlrev_b64 v[71:72], 2, v[10:11]
	s_and_saveexec_b32 s12, s7
	s_cbranch_execz .LBB56_93
; %bb.92:
	v_add_co_u32 v10, s8, s10, v71
	v_add_co_ci_u32_e64 v11, null, s16, v72, s8
	buffer_store_dword v1, off, s[0:3], 0
	buffer_store_dword v1, off, s[0:3], 0 offset:4
	buffer_store_dword v1, off, s[0:3], 0 offset:8
	;; [unrolled: 1-line block ×3, first 2 shown]
	v_add_co_u32 v10, s8, v10, v112
	v_add_co_ci_u32_e64 v11, null, 0, v11, s8
	v_cmp_gt_i32_e64 s8, s18, v102
	v_cndmask_b32_e64 v11, s13, v11, s8
	v_cndmask_b32_e64 v10, 0, v10, s8
	flat_load_dwordx4 v[10:13], v[10:11]
	s_waitcnt vmcnt(0) lgkmcnt(0)
	ds_write_b128 v103, v[10:13]
.LBB56_93:
	s_or_b32 exec_lo, exec_lo, s12
	v_sub_f32_e32 v1, v2, v6
	v_sub_f32_e32 v111, v3, v7
	v_sub_f32_e32 v113, v4, v8
	v_sub_f32_e32 v5, v5, v9
	s_waitcnt lgkmcnt(0)
	s_waitcnt_vscnt null, 0x0
	v_mul_f32_e32 v2, 0x3fb8aa3b, v1
	v_mul_f32_e32 v3, 0x3fb8aa3b, v111
	;; [unrolled: 1-line block ×4, first 2 shown]
	v_cmp_ngt_f32_e64 s8, 0xc2ce8ed0, v1
	v_fma_f32 v11, 0x3fb8aa3b, v1, -v2
	v_rndne_f32_e32 v12, v2
	v_fma_f32 v13, 0x3fb8aa3b, v111, -v3
	v_rndne_f32_e32 v14, v3
	v_fma_f32 v15, 0x3fb8aa3b, v113, -v4
	v_fmac_f32_e32 v11, 0x32a5705f, v1
	v_sub_f32_e32 v2, v2, v12
	v_fmac_f32_e32 v13, 0x32a5705f, v111
	v_sub_f32_e32 v3, v3, v14
	v_rndne_f32_e32 v16, v4
	v_fma_f32 v17, 0x3fb8aa3b, v5, -v10
	v_add_f32_e32 v2, v2, v11
	v_rndne_f32_e32 v18, v10
	v_add_f32_e32 v3, v3, v13
	v_fmac_f32_e32 v15, 0x32a5705f, v113
	v_sub_f32_e32 v4, v4, v16
	v_exp_f32_e32 v2, v2
	v_cvt_i32_f32_e32 v11, v12
	v_exp_f32_e32 v3, v3
	v_fmac_f32_e32 v17, 0x32a5705f, v5
	v_sub_f32_e32 v10, v10, v18
	v_add_f32_e32 v4, v4, v15
	v_cvt_i32_f32_e32 v12, v14
	v_cvt_i32_f32_e32 v13, v16
	s_barrier
	v_add_f32_e32 v10, v10, v17
	v_ldexp_f32 v2, v2, v11
	v_exp_f32_e32 v4, v4
	v_ldexp_f32 v3, v3, v12
	v_cvt_i32_f32_e32 v11, v18
	v_exp_f32_e32 v10, v10
	v_cndmask_b32_e64 v2, 0, v2, s8
	v_cmp_ngt_f32_e64 s8, 0xc2ce8ed0, v111
	buffer_gl0_inv
	v_ldexp_f32 v4, v4, v13
	v_cndmask_b32_e64 v118, 0, v3, s8
	v_cmp_nlt_f32_e64 s8, 0x42b17218, v1
	v_add_nc_u32_e32 v1, 0x1800, v89
	v_ldexp_f32 v10, v10, v11
	v_add_nc_u32_e32 v3, 0x2000, v89
	ds_read2_b64 v[30:33], v1 offset0:128 offset1:156
	ds_read_b128 v[62:65], v91
	ds_read_b128 v[50:53], v91 offset:16
	v_cndmask_b32_e64 v101, 0x7f800000, v2, s8
	v_cmp_ngt_f32_e64 s8, 0xc2ce8ed0, v113
	v_add_nc_u32_e32 v2, 0x1c00, v89
	ds_read_b128 v[58:61], v91 offset:32
	ds_read_b128 v[42:45], v91 offset:48
	ds_read2_b64 v[34:37], v1 offset0:184 offset1:212
	ds_read2_b64 v[26:29], v2 offset0:112 offset1:140
	;; [unrolled: 1-line block ×4, first 2 shown]
	v_add_nc_u32_e32 v1, 0x2800, v89
	v_cndmask_b32_e64 v121, 0, v4, s8
	v_cmp_ngt_f32_e64 s8, 0xc2ce8ed0, v5
	v_cndmask_b32_e64 v122, 0, v10, s8
	ds_read2_b64 v[14:17], v3 offset0:152 offset1:180
	ds_read_b128 v[66:69], v91 offset:64
	ds_read_b128 v[54:57], v91 offset:80
	ds_read2_b64 v[10:13], v3 offset0:208 offset1:236
	ds_read2_b64 v[1:4], v1 offset0:8 offset1:36
	ds_read_b128 v[46:49], v91 offset:96
	ds_read_b128 v[38:41], v91 offset:112
	v_cmp_nlt_f32_e64 s8, 0x42b17218, v111
	s_waitcnt lgkmcnt(0)
	s_barrier
	buffer_gl0_inv
	v_cndmask_b32_e64 v111, 0x7f800000, v118, s8
	v_cmp_nlt_f32_e64 s8, 0x42b17218, v113
	v_cndmask_b32_e64 v113, 0x7f800000, v121, s8
	v_cmp_nlt_f32_e64 s8, 0x42b17218, v5
	v_cvt_f16_f32_e32 v121, v101
	v_cvt_f16_f32_e32 v123, v113
	v_cndmask_b32_e64 v118, 0x7f800000, v122, s8
	s_or_b32 s8, s45, 16
	v_cvt_f16_f32_e32 v122, v111
	s_mul_hi_i32 s17, s8, s43
	s_mul_i32 s16, s8, s43
	v_cvt_f16_f32_e32 v124, v118
	s_lshl_b64 s[16:17], s[16:17], 2
	s_add_u32 s8, s21, s16
	s_addc_u32 s10, s44, s17
	s_add_i32 s18, s18, -16
	s_and_saveexec_b32 s12, vcc_lo
	s_cbranch_execz .LBB56_95
; %bb.94:
	v_add_co_u32 v5, vcc_lo, s8, v73
	v_add_co_ci_u32_e64 v73, null, s10, v74, vcc_lo
	v_add_co_u32 v5, vcc_lo, v5, v78
	v_add_co_ci_u32_e64 v73, null, 0, v73, vcc_lo
	;; [unrolled: 2-line block ×3, first 2 shown]
	v_cmp_gt_i32_e32 vcc_lo, s18, v77
	v_mov_b32_e32 v77, 0
	buffer_store_dword v77, off, s[0:3], 0
	buffer_store_dword v77, off, s[0:3], 0 offset:4
	buffer_store_dword v77, off, s[0:3], 0 offset:8
	;; [unrolled: 1-line block ×3, first 2 shown]
	v_cndmask_b32_e32 v74, s11, v73, vcc_lo
	v_cndmask_b32_e32 v73, 0, v5, vcc_lo
	flat_load_dwordx4 v[125:128], v[73:74]
	s_waitcnt vmcnt(0) lgkmcnt(0)
	ds_write_b128 v119, v[125:128]
.LBB56_95:
	s_or_b32 exec_lo, exec_lo, s12
	s_and_saveexec_b32 s11, s9
	s_cbranch_execz .LBB56_97
; %bb.96:
	v_add_co_u32 v5, vcc_lo, s8, v75
	v_add_co_ci_u32_e64 v73, null, s10, v76, vcc_lo
	v_mov_b32_e32 v75, 0
	v_add_co_u32 v5, vcc_lo, v5, v80
	v_add_co_ci_u32_e64 v73, null, 0, v73, vcc_lo
	buffer_store_dword v75, off, s[0:3], 0
	buffer_store_dword v75, off, s[0:3], 0 offset:4
	buffer_store_dword v75, off, s[0:3], 0 offset:8
	;; [unrolled: 1-line block ×3, first 2 shown]
	v_add_co_u32 v5, vcc_lo, 0x80, v5
	v_add_co_ci_u32_e64 v73, null, 0, v73, vcc_lo
	v_cmp_gt_i32_e32 vcc_lo, s18, v79
	v_cndmask_b32_e32 v74, s15, v73, vcc_lo
	v_cndmask_b32_e32 v73, 0, v5, vcc_lo
	flat_load_dwordx4 v[73:76], v[73:74]
	s_waitcnt vmcnt(0) lgkmcnt(0)
	ds_write_b128 v120, v[73:76]
.LBB56_97:
	s_or_b32 exec_lo, exec_lo, s11
	v_mov_b32_e32 v5, 0x10001
	v_mul_u32_u24_sdwa v141, v121, v5 dst_sel:DWORD dst_unused:UNUSED_PAD src0_sel:WORD_0 src1_sel:DWORD
	v_mul_u32_u24_sdwa v142, v122, v5 dst_sel:DWORD dst_unused:UNUSED_PAD src0_sel:WORD_0 src1_sel:DWORD
	;; [unrolled: 1-line block ×5, first 2 shown]
	v_mul_u32_u24_sdwa v145, v62, v5 dst_sel:DWORD dst_unused:UNUSED_PAD src0_sel:WORD_1 src1_sel:DWORD
	v_mul_u32_u24_sdwa v146, v63, v5 dst_sel:DWORD dst_unused:UNUSED_PAD src0_sel:WORD_0 src1_sel:DWORD
	v_mul_u32_u24_sdwa v147, v63, v5 dst_sel:DWORD dst_unused:UNUSED_PAD src0_sel:WORD_1 src1_sel:DWORD
	v_mul_u32_u24_sdwa v137, v64, v5 dst_sel:DWORD dst_unused:UNUSED_PAD src0_sel:WORD_0 src1_sel:DWORD
	;; [unrolled: 2-line block ×31, first 2 shown]
	v_mul_u32_u24_sdwa v41, v41, v5 dst_sel:DWORD dst_unused:UNUSED_PAD src0_sel:WORD_1 src1_sel:DWORD
	s_and_saveexec_b32 s9, s7
	s_cbranch_execz .LBB56_99
; %bb.98:
	v_add_co_u32 v68, vcc_lo, s8, v71
	v_add_co_ci_u32_e64 v69, null, s10, v72, vcc_lo
	v_mov_b32_e32 v71, 0
	v_add_co_u32 v68, vcc_lo, v68, v112
	v_add_co_ci_u32_e64 v69, null, 0, v69, vcc_lo
	v_cmp_gt_i32_e32 vcc_lo, s18, v102
	buffer_store_dword v71, off, s[0:3], 0
	buffer_store_dword v71, off, s[0:3], 0 offset:4
	buffer_store_dword v71, off, s[0:3], 0 offset:8
	;; [unrolled: 1-line block ×3, first 2 shown]
	v_cndmask_b32_e32 v69, s13, v69, vcc_lo
	v_cndmask_b32_e32 v68, 0, v68, vcc_lo
	flat_load_dwordx4 v[149:152], v[68:69]
	s_waitcnt vmcnt(0) lgkmcnt(0)
	ds_write_b128 v103, v[149:152]
.LBB56_99:
	s_or_b32 exec_lo, exec_lo, s9
	v_pk_mul_f16 v69, v97, v142
	v_pk_mul_f16 v71, v95, v143
	;; [unrolled: 1-line block ×8, first 2 shown]
	v_pk_fma_f16 v72, v98, v141, v72
	v_pk_fma_f16 v95, v96, v142, v95
	;; [unrolled: 1-line block ×116, first 2 shown]
	s_waitcnt lgkmcnt(0)
	s_waitcnt_vscnt null, 0x0
	s_barrier
	buffer_gl0_inv
	ds_read_b128 v[10:13], v91 offset:128
	v_add_nc_u32_e32 v26, 0x1800, v89
	v_pk_fma_f16 v23, v2, v42, v14
	v_pk_fma_f16 v24, v2, v43, v16
	;; [unrolled: 1-line block ×4, first 2 shown]
	ds_read2_b64 v[14:17], v26 offset0:128 offset1:156
	v_pk_fma_f16 v27, v3, v38, v21
	v_pk_fma_f16 v28, v3, v39, v22
	;; [unrolled: 1-line block ×8, first 2 shown]
	ds_read_b128 v[1:4], v91 offset:144
	ds_read_b128 v[18:21], v91 offset:160
	;; [unrolled: 1-line block ×3, first 2 shown]
	v_fmac_f32_e32 v100, v107, v101
	v_fmac_f32_e32 v104, v108, v111
	;; [unrolled: 1-line block ×3, first 2 shown]
	s_waitcnt lgkmcnt(4)
	v_mul_u32_u24_sdwa v35, v10, v5 dst_sel:DWORD dst_unused:UNUSED_PAD src0_sel:WORD_0 src1_sel:DWORD
	v_mul_u32_u24_sdwa v10, v10, v5 dst_sel:DWORD dst_unused:UNUSED_PAD src0_sel:WORD_1 src1_sel:DWORD
	v_mul_u32_u24_sdwa v36, v11, v5 dst_sel:DWORD dst_unused:UNUSED_PAD src0_sel:WORD_0 src1_sel:DWORD
	v_mul_u32_u24_sdwa v11, v11, v5 dst_sel:DWORD dst_unused:UNUSED_PAD src0_sel:WORD_1 src1_sel:DWORD
	v_fmac_f32_e32 v110, v105, v118
	v_mov_b32_e32 v106, v109
	s_waitcnt lgkmcnt(3)
	v_pk_fma_f16 v37, v14, v35, v27
	v_pk_fma_f16 v38, v14, v10, v28
	;; [unrolled: 1-line block ×3, first 2 shown]
	ds_read2_b64 v[26:29], v26 offset0:184 offset1:212
	v_pk_fma_f16 v14, v14, v11, v30
	v_pk_fma_f16 v30, v15, v35, v31
	;; [unrolled: 1-line block ×4, first 2 shown]
	v_mul_u32_u24_sdwa v32, v12, v5 dst_sel:DWORD dst_unused:UNUSED_PAD src0_sel:WORD_0 src1_sel:DWORD
	v_mul_u32_u24_sdwa v12, v12, v5 dst_sel:DWORD dst_unused:UNUSED_PAD src0_sel:WORD_1 src1_sel:DWORD
	v_mul_u32_u24_sdwa v33, v13, v5 dst_sel:DWORD dst_unused:UNUSED_PAD src0_sel:WORD_0 src1_sel:DWORD
	v_mul_u32_u24_sdwa v13, v13, v5 dst_sel:DWORD dst_unused:UNUSED_PAD src0_sel:WORD_1 src1_sel:DWORD
	v_pk_fma_f16 v11, v15, v11, v34
	v_pk_fma_f16 v15, v16, v32, v37
	v_pk_fma_f16 v34, v16, v12, v38
	v_pk_fma_f16 v35, v16, v33, v39
	v_pk_fma_f16 v14, v16, v13, v14
	v_pk_fma_f16 v16, v17, v32, v30
	v_pk_fma_f16 v30, v17, v12, v10
	v_pk_fma_f16 v31, v17, v33, v31
	s_waitcnt lgkmcnt(3)
	v_mul_u32_u24_sdwa v10, v1, v5 dst_sel:DWORD dst_unused:UNUSED_PAD src0_sel:WORD_0 src1_sel:DWORD
	v_pk_fma_f16 v17, v17, v13, v11
	v_add_nc_u32_e32 v11, 0x1c00, v89
	v_mul_u32_u24_sdwa v1, v1, v5 dst_sel:DWORD dst_unused:UNUSED_PAD src0_sel:WORD_1 src1_sel:DWORD
	v_mul_u32_u24_sdwa v32, v2, v5 dst_sel:DWORD dst_unused:UNUSED_PAD src0_sel:WORD_0 src1_sel:DWORD
	s_waitcnt lgkmcnt(0)
	v_pk_fma_f16 v15, v26, v10, v15
	v_pk_fma_f16 v16, v27, v10, v16
	ds_read2_b64 v[10:13], v11 offset0:112 offset1:140
	v_mul_u32_u24_sdwa v2, v2, v5 dst_sel:DWORD dst_unused:UNUSED_PAD src0_sel:WORD_1 src1_sel:DWORD
	v_pk_fma_f16 v33, v26, v1, v34
	v_pk_fma_f16 v34, v26, v32, v35
	;; [unrolled: 1-line block ×3, first 2 shown]
	v_mul_u32_u24_sdwa v30, v3, v5 dst_sel:DWORD dst_unused:UNUSED_PAD src0_sel:WORD_0 src1_sel:DWORD
	v_pk_fma_f16 v14, v26, v2, v14
	v_pk_fma_f16 v26, v27, v32, v31
	v_mul_u32_u24_sdwa v3, v3, v5 dst_sel:DWORD dst_unused:UNUSED_PAD src0_sel:WORD_1 src1_sel:DWORD
	v_mul_u32_u24_sdwa v31, v4, v5 dst_sel:DWORD dst_unused:UNUSED_PAD src0_sel:WORD_0 src1_sel:DWORD
	v_mul_u32_u24_sdwa v4, v4, v5 dst_sel:DWORD dst_unused:UNUSED_PAD src0_sel:WORD_1 src1_sel:DWORD
	v_pk_fma_f16 v2, v27, v2, v17
	v_pk_fma_f16 v15, v28, v30, v15
	;; [unrolled: 1-line block ×8, first 2 shown]
	v_mul_u32_u24_sdwa v1, v18, v5 dst_sel:DWORD dst_unused:UNUSED_PAD src0_sel:WORD_0 src1_sel:DWORD
	v_mul_u32_u24_sdwa v18, v18, v5 dst_sel:DWORD dst_unused:UNUSED_PAD src0_sel:WORD_1 src1_sel:DWORD
	v_mul_u32_u24_sdwa v30, v19, v5 dst_sel:DWORD dst_unused:UNUSED_PAD src0_sel:WORD_0 src1_sel:DWORD
	v_mul_u32_u24_sdwa v19, v19, v5 dst_sel:DWORD dst_unused:UNUSED_PAD src0_sel:WORD_1 src1_sel:DWORD
	v_add_nc_u32_e32 v31, 0x2000, v89
	v_pk_fma_f16 v29, v29, v4, v2
	s_waitcnt lgkmcnt(0)
	v_pk_fma_f16 v15, v10, v1, v15
	v_pk_fma_f16 v17, v10, v18, v17
	v_pk_fma_f16 v27, v10, v30, v27
	v_pk_fma_f16 v10, v10, v19, v14
	v_pk_fma_f16 v14, v11, v1, v16
	ds_read2_b64 v[1:4], v31 offset0:40 offset1:68
	v_pk_fma_f16 v16, v11, v18, v28
	v_pk_fma_f16 v18, v11, v30, v26
	v_mul_u32_u24_sdwa v26, v20, v5 dst_sel:DWORD dst_unused:UNUSED_PAD src0_sel:WORD_0 src1_sel:DWORD
	v_mul_u32_u24_sdwa v20, v20, v5 dst_sel:DWORD dst_unused:UNUSED_PAD src0_sel:WORD_1 src1_sel:DWORD
	v_mul_u32_u24_sdwa v28, v21, v5 dst_sel:DWORD dst_unused:UNUSED_PAD src0_sel:WORD_0 src1_sel:DWORD
	v_mul_u32_u24_sdwa v21, v21, v5 dst_sel:DWORD dst_unused:UNUSED_PAD src0_sel:WORD_1 src1_sel:DWORD
	v_pk_fma_f16 v11, v11, v19, v29
	v_pk_fma_f16 v15, v12, v26, v15
	;; [unrolled: 1-line block ×8, first 2 shown]
	v_mul_u32_u24_sdwa v20, v22, v5 dst_sel:DWORD dst_unused:UNUSED_PAD src0_sel:WORD_0 src1_sel:DWORD
	v_mul_u32_u24_sdwa v22, v22, v5 dst_sel:DWORD dst_unused:UNUSED_PAD src0_sel:WORD_1 src1_sel:DWORD
	v_pk_fma_f16 v21, v13, v21, v11
	ds_read_b128 v[10:13], v91 offset:192
	v_mul_u32_u24_sdwa v26, v23, v5 dst_sel:DWORD dst_unused:UNUSED_PAD src0_sel:WORD_0 src1_sel:DWORD
	s_waitcnt lgkmcnt(1)
	v_pk_fma_f16 v28, v1, v20, v15
	v_pk_fma_f16 v29, v1, v22, v17
	v_pk_fma_f16 v20, v2, v20, v14
	v_pk_fma_f16 v22, v2, v22, v16
	ds_read2_b64 v[14:17], v31 offset0:96 offset1:124
	v_mul_u32_u24_sdwa v23, v23, v5 dst_sel:DWORD dst_unused:UNUSED_PAD src0_sel:WORD_1 src1_sel:DWORD
	v_pk_fma_f16 v19, v1, v26, v19
	v_pk_fma_f16 v18, v2, v26, v18
	v_mul_u32_u24_sdwa v26, v24, v5 dst_sel:DWORD dst_unused:UNUSED_PAD src0_sel:WORD_0 src1_sel:DWORD
	v_mul_u32_u24_sdwa v24, v24, v5 dst_sel:DWORD dst_unused:UNUSED_PAD src0_sel:WORD_1 src1_sel:DWORD
	v_pk_fma_f16 v1, v1, v23, v27
	v_mul_u32_u24_sdwa v27, v25, v5 dst_sel:DWORD dst_unused:UNUSED_PAD src0_sel:WORD_0 src1_sel:DWORD
	v_mul_u32_u24_sdwa v25, v25, v5 dst_sel:DWORD dst_unused:UNUSED_PAD src0_sel:WORD_1 src1_sel:DWORD
	v_pk_fma_f16 v2, v2, v23, v21
	v_pk_fma_f16 v23, v3, v26, v28
	;; [unrolled: 1-line block ×8, first 2 shown]
	ds_read_b128 v[18:21], v91 offset:208
	s_waitcnt lgkmcnt(2)
	v_mul_u32_u24_sdwa v26, v10, v5 dst_sel:DWORD dst_unused:UNUSED_PAD src0_sel:WORD_0 src1_sel:DWORD
	v_mul_u32_u24_sdwa v10, v10, v5 dst_sel:DWORD dst_unused:UNUSED_PAD src0_sel:WORD_1 src1_sel:DWORD
	v_mul_u32_u24_sdwa v27, v11, v5 dst_sel:DWORD dst_unused:UNUSED_PAD src0_sel:WORD_0 src1_sel:DWORD
	v_mul_u32_u24_sdwa v11, v11, v5 dst_sel:DWORD dst_unused:UNUSED_PAD src0_sel:WORD_1 src1_sel:DWORD
	v_pk_fma_f16 v25, v4, v25, v2
	s_waitcnt lgkmcnt(1)
	v_pk_fma_f16 v23, v14, v26, v23
	v_pk_fma_f16 v28, v14, v10, v28
	;; [unrolled: 1-line block ×5, first 2 shown]
	ds_read2_b64 v[1:4], v31 offset0:152 offset1:180
	v_pk_fma_f16 v10, v15, v10, v22
	v_pk_fma_f16 v22, v15, v27, v24
	v_mul_u32_u24_sdwa v24, v12, v5 dst_sel:DWORD dst_unused:UNUSED_PAD src0_sel:WORD_0 src1_sel:DWORD
	v_mul_u32_u24_sdwa v12, v12, v5 dst_sel:DWORD dst_unused:UNUSED_PAD src0_sel:WORD_1 src1_sel:DWORD
	v_mul_u32_u24_sdwa v27, v13, v5 dst_sel:DWORD dst_unused:UNUSED_PAD src0_sel:WORD_0 src1_sel:DWORD
	v_mul_u32_u24_sdwa v13, v13, v5 dst_sel:DWORD dst_unused:UNUSED_PAD src0_sel:WORD_1 src1_sel:DWORD
	v_pk_fma_f16 v11, v15, v11, v25
	v_pk_fma_f16 v15, v16, v24, v23
	;; [unrolled: 1-line block ×8, first 2 shown]
	s_waitcnt lgkmcnt(1)
	v_mul_u32_u24_sdwa v26, v18, v5 dst_sel:DWORD dst_unused:UNUSED_PAD src0_sel:WORD_0 src1_sel:DWORD
	v_mul_u32_u24_sdwa v18, v18, v5 dst_sel:DWORD dst_unused:UNUSED_PAD src0_sel:WORD_1 src1_sel:DWORD
	v_pk_fma_f16 v27, v17, v13, v11
	v_mul_u32_u24_sdwa v28, v19, v5 dst_sel:DWORD dst_unused:UNUSED_PAD src0_sel:WORD_0 src1_sel:DWORD
	v_mul_u32_u24_sdwa v19, v19, v5 dst_sel:DWORD dst_unused:UNUSED_PAD src0_sel:WORD_1 src1_sel:DWORD
	ds_read_b128 v[10:13], v91 offset:224
	s_waitcnt lgkmcnt(1)
	v_pk_fma_f16 v29, v1, v26, v15
	v_pk_fma_f16 v23, v1, v18, v23
	;; [unrolled: 1-line block ×5, first 2 shown]
	ds_read2_b64 v[14:17], v31 offset0:208 offset1:236
	v_pk_fma_f16 v18, v2, v18, v24
	v_pk_fma_f16 v22, v2, v28, v22
	v_mul_u32_u24_sdwa v24, v20, v5 dst_sel:DWORD dst_unused:UNUSED_PAD src0_sel:WORD_0 src1_sel:DWORD
	v_mul_u32_u24_sdwa v20, v20, v5 dst_sel:DWORD dst_unused:UNUSED_PAD src0_sel:WORD_1 src1_sel:DWORD
	v_mul_u32_u24_sdwa v28, v21, v5 dst_sel:DWORD dst_unused:UNUSED_PAD src0_sel:WORD_0 src1_sel:DWORD
	v_mul_u32_u24_sdwa v30, v21, v5 dst_sel:DWORD dst_unused:UNUSED_PAD src0_sel:WORD_1 src1_sel:DWORD
	v_pk_fma_f16 v2, v2, v19, v27
	v_pk_fma_f16 v27, v3, v24, v29
	;; [unrolled: 1-line block ×8, first 2 shown]
	ds_read_b128 v[18:21], v91 offset:240
	s_waitcnt lgkmcnt(2)
	v_mul_u32_u24_sdwa v26, v10, v5 dst_sel:DWORD dst_unused:UNUSED_PAD src0_sel:WORD_0 src1_sel:DWORD
	v_pk_fma_f16 v28, v4, v30, v2
	v_mul_u32_u24_sdwa v10, v10, v5 dst_sel:DWORD dst_unused:UNUSED_PAD src0_sel:WORD_1 src1_sel:DWORD
	v_mul_u32_u24_sdwa v29, v11, v5 dst_sel:DWORD dst_unused:UNUSED_PAD src0_sel:WORD_0 src1_sel:DWORD
	v_mul_u32_u24_sdwa v11, v11, v5 dst_sel:DWORD dst_unused:UNUSED_PAD src0_sel:WORD_1 src1_sel:DWORD
	v_add_nc_u32_e32 v2, 0x2800, v89
	s_waitcnt lgkmcnt(1)
	v_pk_fma_f16 v27, v14, v26, v27
	v_pk_fma_f16 v23, v14, v10, v23
	;; [unrolled: 1-line block ×5, first 2 shown]
	ds_read2_b64 v[1:4], v2 offset0:8 offset1:36
	v_pk_fma_f16 v10, v15, v10, v24
	v_pk_fma_f16 v22, v15, v29, v22
	v_mul_u32_u24_sdwa v24, v12, v5 dst_sel:DWORD dst_unused:UNUSED_PAD src0_sel:WORD_0 src1_sel:DWORD
	v_mul_u32_u24_sdwa v12, v12, v5 dst_sel:DWORD dst_unused:UNUSED_PAD src0_sel:WORD_1 src1_sel:DWORD
	v_mul_u32_u24_sdwa v29, v13, v5 dst_sel:DWORD dst_unused:UNUSED_PAD src0_sel:WORD_0 src1_sel:DWORD
	v_mul_u32_u24_sdwa v13, v13, v5 dst_sel:DWORD dst_unused:UNUSED_PAD src0_sel:WORD_1 src1_sel:DWORD
	v_pk_fma_f16 v11, v15, v11, v28
	v_pk_fma_f16 v15, v16, v24, v27
	;; [unrolled: 1-line block ×8, first 2 shown]
	s_waitcnt lgkmcnt(1)
	v_mul_u32_u24_sdwa v22, v18, v5 dst_sel:DWORD dst_unused:UNUSED_PAD src0_sel:WORD_0 src1_sel:DWORD
	v_mul_u32_u24_sdwa v18, v18, v5 dst_sel:DWORD dst_unused:UNUSED_PAD src0_sel:WORD_1 src1_sel:DWORD
	v_mul_u32_u24_sdwa v24, v19, v5 dst_sel:DWORD dst_unused:UNUSED_PAD src0_sel:WORD_0 src1_sel:DWORD
	v_mul_u32_u24_sdwa v19, v19, v5 dst_sel:DWORD dst_unused:UNUSED_PAD src0_sel:WORD_1 src1_sel:DWORD
	v_pk_fma_f16 v11, v17, v13, v11
	s_waitcnt lgkmcnt(0)
	v_pk_fma_f16 v13, v1, v22, v15
	v_pk_fma_f16 v15, v1, v18, v23
	;; [unrolled: 1-line block ×7, first 2 shown]
	v_mul_u32_u24_sdwa v16, v20, v5 dst_sel:DWORD dst_unused:UNUSED_PAD src0_sel:WORD_0 src1_sel:DWORD
	v_mul_u32_u24_sdwa v18, v20, v5 dst_sel:DWORD dst_unused:UNUSED_PAD src0_sel:WORD_1 src1_sel:DWORD
	v_mul_u32_u24_sdwa v20, v21, v5 dst_sel:DWORD dst_unused:UNUSED_PAD src0_sel:WORD_0 src1_sel:DWORD
	v_mul_u32_u24_sdwa v5, v21, v5 dst_sel:DWORD dst_unused:UNUSED_PAD src0_sel:WORD_1 src1_sel:DWORD
	v_pk_fma_f16 v2, v2, v19, v11
	v_pk_fma_f16 v98, v3, v16, v13
	;; [unrolled: 1-line block ×9, first 2 shown]
	v_mov_b32_e32 v2, v6
	v_mov_b32_e32 v105, v110
	;; [unrolled: 1-line block ×7, first 2 shown]
	s_barrier
	buffer_gl0_inv
.LBB56_100:
	v_cmp_lt_i32_e32 vcc_lo, v117, v81
	s_cmp_eq_u64 s[24:25], 0
	s_cselect_b32 s7, -1, 0
	s_cmp_lg_u32 s34, 0
	v_cndmask_b32_e32 v1, v90, v117, vcc_lo
	v_cmp_lt_i32_e32 vcc_lo, v116, v81
	s_cselect_b32 s8, -1, 0
	s_or_b32 s7, s8, s7
	v_lshlrev_b32_e32 v1, 2, v1
	v_cndmask_b32_e32 v9, v90, v116, vcc_lo
	v_cmp_lt_i32_e32 vcc_lo, v115, v81
	ds_bpermute_b32 v6, v1, v107
	ds_bpermute_b32 v7, v1, v108
	;; [unrolled: 1-line block ×4, first 2 shown]
	v_lshlrev_b32_e32 v9, 2, v9
	v_cndmask_b32_e32 v13, v90, v115, vcc_lo
	v_cmp_lt_i32_e32 vcc_lo, v114, v81
	v_lshlrev_b32_e32 v13, 2, v13
	s_waitcnt lgkmcnt(3)
	v_add_f32_e32 v6, v107, v6
	s_waitcnt lgkmcnt(2)
	v_add_f32_e32 v7, v108, v7
	;; [unrolled: 2-line block ×4, first 2 shown]
	ds_bpermute_b32 v10, v9, v6
	ds_bpermute_b32 v11, v9, v7
	;; [unrolled: 1-line block ×4, first 2 shown]
	s_waitcnt lgkmcnt(3)
	v_add_f32_e32 v6, v6, v10
	s_waitcnt lgkmcnt(2)
	v_add_f32_e32 v7, v7, v11
	;; [unrolled: 2-line block ×4, first 2 shown]
	ds_bpermute_b32 v9, v13, v6
	ds_bpermute_b32 v10, v13, v7
	;; [unrolled: 1-line block ×4, first 2 shown]
	v_cndmask_b32_e32 v13, v90, v114, vcc_lo
	v_cmp_lt_i32_e32 vcc_lo, v82, v81
	v_lshlrev_b32_e32 v13, 2, v13
	s_waitcnt lgkmcnt(3)
	v_add_f32_e32 v6, v6, v9
	s_waitcnt lgkmcnt(2)
	v_add_f32_e32 v7, v7, v10
	s_waitcnt lgkmcnt(1)
	v_add_f32_e32 v8, v8, v11
	s_waitcnt lgkmcnt(0)
	v_add_f32_e32 v1, v1, v12
	ds_bpermute_b32 v9, v13, v6
	ds_bpermute_b32 v10, v13, v7
	ds_bpermute_b32 v11, v13, v8
	ds_bpermute_b32 v12, v13, v1
	v_cndmask_b32_e32 v13, v90, v82, vcc_lo
	s_and_b32 vcc_lo, exec_lo, s7
	v_lshlrev_b32_e32 v13, 2, v13
	s_waitcnt lgkmcnt(3)
	v_add_f32_e32 v6, v6, v9
	s_waitcnt lgkmcnt(2)
	v_add_f32_e32 v7, v7, v10
	;; [unrolled: 2-line block ×4, first 2 shown]
	ds_bpermute_b32 v9, v13, v6
	ds_bpermute_b32 v10, v13, v7
	;; [unrolled: 1-line block ×4, first 2 shown]
	s_waitcnt lgkmcnt(3)
	v_add_f32_e32 v6, v6, v9
	s_waitcnt lgkmcnt(2)
	v_add_f32_e32 v7, v7, v10
	;; [unrolled: 2-line block ×4, first 2 shown]
	s_cbranch_vccnz .LBB56_103
; %bb.101:
	s_lshl_b64 s[8:9], s[22:23], 2
	v_mov_b32_e32 v1, 0
	s_add_u32 s8, s24, s8
	s_addc_u32 s9, s25, s9
	v_max_f32_e32 v10, v2, v2
	v_max_f32_e32 v12, v3, v3
	global_load_dword v1, v1, s[8:9]
	v_max_f32_e32 v13, v4, v4
	v_max_f32_e32 v17, v5, v5
	v_mov_b32_e32 v18, 0x10001
	s_waitcnt vmcnt(0)
	v_max_f32_e32 v11, v1, v1
	v_max_f32_e32 v14, v10, v11
	;; [unrolled: 1-line block ×5, first 2 shown]
	v_sub_f32_e32 v2, v2, v14
	v_sub_f32_e32 v10, v1, v14
	;; [unrolled: 1-line block ×5, first 2 shown]
	v_mul_f32_e32 v13, 0x3fb8aa3b, v2
	v_mul_f32_e32 v19, 0x3fb8aa3b, v10
	;; [unrolled: 1-line block ×4, first 2 shown]
	v_sub_f32_e32 v12, v1, v16
	v_fma_f32 v26, 0x3fb8aa3b, v2, -v13
	v_rndne_f32_e32 v27, v13
	v_fma_f32 v28, 0x3fb8aa3b, v10, -v19
	v_rndne_f32_e32 v29, v19
	v_fma_f32 v30, 0x3fb8aa3b, v3, -v20
	v_fmac_f32_e32 v26, 0x32a5705f, v2
	v_sub_f32_e32 v13, v13, v27
	v_rndne_f32_e32 v31, v20
	v_fmac_f32_e32 v28, 0x32a5705f, v10
	v_sub_f32_e32 v19, v19, v29
	v_mul_f32_e32 v22, 0x3fb8aa3b, v4
	v_add_f32_e32 v13, v13, v26
	v_fma_f32 v32, 0x3fb8aa3b, v11, -v21
	v_rndne_f32_e32 v33, v21
	v_fmac_f32_e32 v30, 0x32a5705f, v3
	v_sub_f32_e32 v20, v20, v31
	v_add_f32_e32 v19, v19, v28
	v_exp_f32_e32 v13, v13
	v_sub_f32_e32 v5, v5, v17
	v_mul_f32_e32 v23, 0x3fb8aa3b, v12
	v_fma_f32 v34, 0x3fb8aa3b, v4, -v22
	v_rndne_f32_e32 v35, v22
	v_cvt_i32_f32_e32 v27, v27
	v_fmac_f32_e32 v32, 0x32a5705f, v11
	v_sub_f32_e32 v21, v21, v33
	v_add_f32_e32 v20, v20, v30
	v_exp_f32_e32 v19, v19
	v_sub_f32_e32 v1, v1, v17
	v_mul_f32_e32 v24, 0x3fb8aa3b, v5
	v_fma_f32 v36, 0x3fb8aa3b, v12, -v23
	v_rndne_f32_e32 v37, v23
	v_cvt_i32_f32_e32 v29, v29
	v_fmac_f32_e32 v34, 0x32a5705f, v4
	v_sub_f32_e32 v22, v22, v35
	v_add_f32_e32 v21, v21, v32
	v_exp_f32_e32 v20, v20
	v_ldexp_f32 v13, v13, v27
	v_cmp_ngt_f32_e32 vcc_lo, 0xc2ce8ed0, v2
	v_mul_f32_e32 v25, 0x3fb8aa3b, v1
	v_fma_f32 v38, 0x3fb8aa3b, v5, -v24
	v_rndne_f32_e32 v39, v24
	v_cvt_i32_f32_e32 v31, v31
	v_fmac_f32_e32 v36, 0x32a5705f, v12
	v_sub_f32_e32 v23, v23, v37
	v_add_f32_e32 v22, v22, v34
	v_exp_f32_e32 v21, v21
	v_ldexp_f32 v19, v19, v29
	v_cndmask_b32_e32 v13, 0, v13, vcc_lo
	v_cmp_ngt_f32_e32 vcc_lo, 0xc2ce8ed0, v10
	v_fma_f32 v40, 0x3fb8aa3b, v1, -v25
	v_rndne_f32_e32 v41, v25
	v_cvt_i32_f32_e32 v33, v33
	v_fmac_f32_e32 v38, 0x32a5705f, v5
	v_sub_f32_e32 v24, v24, v39
	v_add_f32_e32 v23, v23, v36
	v_exp_f32_e32 v22, v22
	v_ldexp_f32 v20, v20, v31
	v_cndmask_b32_e32 v19, 0, v19, vcc_lo
	v_cmp_ngt_f32_e32 vcc_lo, 0xc2ce8ed0, v3
	v_cvt_i32_f32_e32 v35, v35
	v_fmac_f32_e32 v40, 0x32a5705f, v1
	v_sub_f32_e32 v25, v25, v41
	v_add_f32_e32 v24, v24, v38
	v_exp_f32_e32 v23, v23
	v_ldexp_f32 v21, v21, v33
	v_cndmask_b32_e32 v20, 0, v20, vcc_lo
	v_cmp_ngt_f32_e32 vcc_lo, 0xc2ce8ed0, v11
	v_cvt_i32_f32_e32 v37, v37
	v_add_f32_e32 v25, v25, v40
	v_exp_f32_e32 v24, v24
	v_ldexp_f32 v22, v22, v35
	v_cndmask_b32_e32 v21, 0, v21, vcc_lo
	v_cmp_ngt_f32_e32 vcc_lo, 0xc2ce8ed0, v4
	v_exp_f32_e32 v25, v25
	v_cvt_i32_f32_e32 v26, v39
	v_ldexp_f32 v23, v23, v37
	v_cvt_i32_f32_e32 v28, v41
	v_cndmask_b32_e32 v22, 0, v22, vcc_lo
	v_cmp_ngt_f32_e32 vcc_lo, 0xc2ce8ed0, v12
	v_ldexp_f32 v24, v24, v26
	v_cndmask_b32_e32 v23, 0, v23, vcc_lo
	v_cmp_ngt_f32_e32 vcc_lo, 0xc2ce8ed0, v5
	v_ldexp_f32 v25, v25, v28
	v_cndmask_b32_e32 v24, 0, v24, vcc_lo
	v_cmp_ngt_f32_e32 vcc_lo, 0xc2ce8ed0, v1
	v_cndmask_b32_e32 v25, 0, v25, vcc_lo
	v_cmp_nlt_f32_e32 vcc_lo, 0x42b17218, v2
	v_cndmask_b32_e32 v2, 0x7f800000, v13, vcc_lo
	v_cmp_nlt_f32_e32 vcc_lo, 0x42b17218, v10
	;; [unrolled: 2-line block ×3, first 2 shown]
	v_fmac_f32_e32 v10, v6, v2
	v_cndmask_b32_e32 v3, 0x7f800000, v20, vcc_lo
	v_cmp_nlt_f32_e32 vcc_lo, 0x42b17218, v11
	v_cndmask_b32_e32 v11, 0x7f800000, v21, vcc_lo
	v_cmp_nlt_f32_e32 vcc_lo, 0x42b17218, v4
	v_fmac_f32_e32 v11, v7, v3
	v_cndmask_b32_e32 v4, 0x7f800000, v22, vcc_lo
	v_cmp_nlt_f32_e32 vcc_lo, 0x42b17218, v12
	v_cndmask_b32_e32 v12, 0x7f800000, v23, vcc_lo
	v_cmp_nlt_f32_e32 vcc_lo, 0x42b17218, v5
	v_fmac_f32_e32 v12, v8, v4
	v_cndmask_b32_e32 v5, 0x7f800000, v24, vcc_lo
	v_cmp_nlt_f32_e32 vcc_lo, 0x42b17218, v1
	v_cvt_f16_f32_e32 v1, v2
	v_cvt_f16_f32_e32 v2, v3
	;; [unrolled: 1-line block ×4, first 2 shown]
	v_cndmask_b32_e32 v13, 0x7f800000, v25, vcc_lo
	v_mul_u32_u24_sdwa v1, v1, v18 dst_sel:DWORD dst_unused:UNUSED_PAD src0_sel:WORD_0 src1_sel:DWORD
	v_mul_u32_u24_sdwa v2, v2, v18 dst_sel:DWORD dst_unused:UNUSED_PAD src0_sel:WORD_0 src1_sel:DWORD
	;; [unrolled: 1-line block ×4, first 2 shown]
	v_fmac_f32_e32 v13, v9, v5
	v_mov_b32_e32 v6, v10
	v_pk_mul_f16 v96, v96, v2
	v_pk_mul_f16 v97, v97, v2
	;; [unrolled: 1-line block ×6, first 2 shown]
	v_mov_b32_e32 v2, v14
	v_mov_b32_e32 v7, v11
	;; [unrolled: 1-line block ×4, first 2 shown]
	v_pk_mul_f16 v98, v98, v1
	v_pk_mul_f16 v99, v99, v1
	v_mov_b32_e32 v3, v15
	v_mov_b32_e32 v4, v16
	;; [unrolled: 1-line block ×3, first 2 shown]
	s_mov_b32 s7, exec_lo
	v_cmpx_gt_i32_e64 s38, v88
	s_cbranch_execnz .LBB56_104
.LBB56_102:
	s_endpgm
.LBB56_103:
	v_mov_b32_e32 v10, v6
	v_mov_b32_e32 v11, v7
	;; [unrolled: 1-line block ×4, first 2 shown]
	s_mov_b32 s7, exec_lo
	v_cmpx_gt_i32_e64 s38, v88
	s_cbranch_execz .LBB56_102
.LBB56_104:
	s_load_dword s4, s[4:5], 0xd4
	v_mov_b32_e32 v1, 1.0
	s_waitcnt lgkmcnt(0)
	s_cmp_lg_u32 s4, 1
	s_cselect_b32 s7, -1, 0
	s_cmp_eq_u32 s4, 1
	s_cselect_b32 s8, -1, 0
	s_and_b32 vcc_lo, exec_lo, s7
	s_cbranch_vccnz .LBB56_106
; %bb.105:
	v_div_scale_f32 v1, null, v10, v10, 1.0
	v_rcp_f32_e32 v14, v1
	v_fma_f32 v15, -v1, v14, 1.0
	v_fmac_f32_e32 v14, v15, v14
	v_div_scale_f32 v15, vcc_lo, 1.0, v10, 1.0
	v_mul_f32_e32 v16, v15, v14
	v_fma_f32 v17, -v1, v16, v15
	v_fmac_f32_e32 v16, v17, v14
	v_fma_f32 v1, -v1, v16, v15
	v_div_fmas_f32 v1, v1, v14, v16
	v_div_fixup_f32 v1, v1, v10, 1.0
.LBB56_106:
	s_mul_i32 s5, s33, s38
	s_add_i32 s5, s5, s35
	v_add_nc_u32_e32 v10, s5, v86
	v_mad_u64_u32 v[14:15], null, v10, s39, s[22:23]
	v_mad_u64_u32 v[14:15], null, s4, v14, s[34:35]
	s_and_saveexec_b32 s9, s6
	s_cbranch_execz .LBB56_108
; %bb.107:
	v_mad_u64_u32 v[15:16], null, 0x70, v14, v[70:71]
	v_mov_b32_e32 v16, 0
	v_cvt_f32_f16_sdwa v10, v99 dst_sel:DWORD dst_unused:UNUSED_PAD src0_sel:WORD_1
	v_cvt_f32_f16_e32 v17, v99
	v_cvt_f32_f16_sdwa v21, v98 dst_sel:DWORD dst_unused:UNUSED_PAD src0_sel:WORD_1
	v_mul_f32_e32 v18, v1, v10
	v_lshlrev_b64 v[19:20], 2, v[15:16]
	v_cvt_f32_f16_e32 v15, v98
	v_mul_f32_e32 v17, v1, v17
	v_mul_f32_e32 v16, v1, v21
	;; [unrolled: 1-line block ×3, first 2 shown]
	v_add_co_u32 v19, vcc_lo, s28, v19
	v_add_co_ci_u32_e64 v20, null, s29, v20, vcc_lo
	global_store_dwordx4 v[19:20], v[15:18], off
.LBB56_108:
	s_or_b32 exec_lo, exec_lo, s9
	v_cmp_eq_u32_e32 vcc_lo, 0, v0
	s_and_b32 s7, vcc_lo, s7
	s_and_saveexec_b32 s9, s7
	s_cbranch_execz .LBB56_110
; %bb.109:
	v_ashrrev_i32_e32 v15, 31, v14
	v_lshlrev_b64 v[0:1], 3, v[14:15]
	v_mov_b32_e32 v14, v2
	v_mov_b32_e32 v15, v6
	v_add_co_u32 v0, vcc_lo, s30, v0
	v_add_co_ci_u32_e64 v1, null, s31, v1, vcc_lo
	global_store_dwordx2 v[0:1], v[14:15], off
.LBB56_110:
	s_or_b32 exec_lo, exec_lo, s9
	v_cmp_gt_i32_e32 vcc_lo, s38, v87
	s_and_b32 exec_lo, exec_lo, vcc_lo
	s_cbranch_execz .LBB56_102
; %bb.111:
	v_cndmask_b32_e64 v2, 0, 1, s8
	v_mov_b32_e32 v6, 1.0
	s_andn2_b32 vcc_lo, exec_lo, s8
	s_cbranch_vccnz .LBB56_113
; %bb.112:
	v_div_scale_f32 v0, null, v11, v11, 1.0
	v_rcp_f32_e32 v1, v0
	v_fma_f32 v6, -v0, v1, 1.0
	v_fmac_f32_e32 v1, v6, v1
	v_div_scale_f32 v6, vcc_lo, 1.0, v11, 1.0
	v_mul_f32_e32 v10, v6, v1
	v_fma_f32 v14, -v0, v10, v6
	v_fmac_f32_e32 v10, v14, v1
	v_fma_f32 v0, -v0, v10, v6
	v_div_fmas_f32 v0, v0, v1, v10
	v_div_fixup_f32 v6, v0, v11, 1.0
.LBB56_113:
	v_add_nc_u32_e32 v0, s5, v85
	v_mad_u64_u32 v[0:1], null, v0, s39, s[22:23]
	v_mad_u64_u32 v[0:1], null, s4, v0, s[34:35]
	s_and_saveexec_b32 s8, s6
	s_cbranch_execz .LBB56_115
; %bb.114:
	v_mad_u64_u32 v[10:11], null, 0x70, v0, v[70:71]
	v_mov_b32_e32 v11, 0
	v_cvt_f32_f16_sdwa v1, v97 dst_sel:DWORD dst_unused:UNUSED_PAD src0_sel:WORD_1
	v_cvt_f32_f16_e32 v14, v97
	v_cvt_f32_f16_sdwa v15, v96 dst_sel:DWORD dst_unused:UNUSED_PAD src0_sel:WORD_1
	v_cvt_f32_f16_e32 v18, v96
	v_mul_f32_e32 v17, v6, v1
	v_lshlrev_b64 v[10:11], 2, v[10:11]
	v_mul_f32_e32 v16, v6, v14
	v_mul_f32_e32 v15, v6, v15
	;; [unrolled: 1-line block ×3, first 2 shown]
	v_add_co_u32 v10, vcc_lo, s28, v10
	v_add_co_ci_u32_e64 v11, null, s29, v11, vcc_lo
	global_store_dwordx4 v[10:11], v[14:17], off
.LBB56_115:
	s_or_b32 exec_lo, exec_lo, s8
	s_and_saveexec_b32 s8, s7
	s_cbranch_execz .LBB56_117
; %bb.116:
	v_ashrrev_i32_e32 v1, 31, v0
	v_mov_b32_e32 v6, v3
	v_lshlrev_b64 v[0:1], 3, v[0:1]
	v_add_co_u32 v0, vcc_lo, s30, v0
	v_add_co_ci_u32_e64 v1, null, s31, v1, vcc_lo
	global_store_dwordx2 v[0:1], v[6:7], off
.LBB56_117:
	s_or_b32 exec_lo, exec_lo, s8
	v_add_nc_u32_e32 v0, s35, v84
	v_cmp_gt_i32_e32 vcc_lo, s38, v0
	s_and_b32 exec_lo, exec_lo, vcc_lo
	s_cbranch_execz .LBB56_102
; %bb.118:
	v_cmp_ne_u32_e32 vcc_lo, 1, v2
	v_mov_b32_e32 v3, 1.0
	s_cbranch_vccnz .LBB56_120
; %bb.119:
	v_div_scale_f32 v0, null, v12, v12, 1.0
	v_rcp_f32_e32 v1, v0
	v_fma_f32 v3, -v0, v1, 1.0
	v_fmac_f32_e32 v1, v3, v1
	v_div_scale_f32 v3, vcc_lo, 1.0, v12, 1.0
	v_mul_f32_e32 v6, v3, v1
	v_fma_f32 v7, -v0, v6, v3
	v_fmac_f32_e32 v6, v7, v1
	v_fma_f32 v0, -v0, v6, v3
	v_div_fmas_f32 v0, v0, v1, v6
	v_div_fixup_f32 v3, v0, v12, 1.0
.LBB56_120:
	v_add_nc_u32_e32 v0, s5, v84
	v_mad_u64_u32 v[0:1], null, v0, s39, s[22:23]
	v_mad_u64_u32 v[0:1], null, s4, v0, s[34:35]
	s_and_saveexec_b32 s8, s6
	s_cbranch_execz .LBB56_122
; %bb.121:
	v_mad_u64_u32 v[6:7], null, 0x70, v0, v[70:71]
	v_mov_b32_e32 v7, 0
	v_cvt_f32_f16_sdwa v1, v95 dst_sel:DWORD dst_unused:UNUSED_PAD src0_sel:WORD_1
	v_cvt_f32_f16_e32 v10, v95
	v_cvt_f32_f16_sdwa v11, v94 dst_sel:DWORD dst_unused:UNUSED_PAD src0_sel:WORD_1
	v_cvt_f32_f16_e32 v12, v94
	v_mul_f32_e32 v17, v3, v1
	v_lshlrev_b64 v[6:7], 2, v[6:7]
	v_mul_f32_e32 v16, v3, v10
	v_mul_f32_e32 v15, v3, v11
	;; [unrolled: 1-line block ×3, first 2 shown]
	v_add_co_u32 v6, vcc_lo, s28, v6
	v_add_co_ci_u32_e64 v7, null, s29, v7, vcc_lo
	global_store_dwordx4 v[6:7], v[14:17], off
.LBB56_122:
	s_or_b32 exec_lo, exec_lo, s8
	s_and_saveexec_b32 s8, s7
	s_cbranch_execz .LBB56_124
; %bb.123:
	v_ashrrev_i32_e32 v1, 31, v0
	v_mov_b32_e32 v7, v4
	v_lshlrev_b64 v[0:1], 3, v[0:1]
	v_add_co_u32 v0, vcc_lo, s30, v0
	v_add_co_ci_u32_e64 v1, null, s31, v1, vcc_lo
	global_store_dwordx2 v[0:1], v[7:8], off
.LBB56_124:
	s_or_b32 exec_lo, exec_lo, s8
	v_add_nc_u32_e32 v0, s35, v83
	v_cmp_gt_i32_e32 vcc_lo, s38, v0
	s_and_b32 exec_lo, exec_lo, vcc_lo
	s_cbranch_execz .LBB56_102
; %bb.125:
	v_cmp_ne_u32_e32 vcc_lo, 1, v2
	v_mov_b32_e32 v2, 1.0
	s_cbranch_vccnz .LBB56_127
; %bb.126:
	v_div_scale_f32 v0, null, v13, v13, 1.0
	v_rcp_f32_e32 v1, v0
	v_fma_f32 v2, -v0, v1, 1.0
	v_fmac_f32_e32 v1, v2, v1
	v_div_scale_f32 v2, vcc_lo, 1.0, v13, 1.0
	v_mul_f32_e32 v3, v2, v1
	v_fma_f32 v4, -v0, v3, v2
	v_fmac_f32_e32 v3, v4, v1
	v_fma_f32 v0, -v0, v3, v2
	v_div_fmas_f32 v0, v0, v1, v3
	v_div_fixup_f32 v2, v0, v13, 1.0
.LBB56_127:
	v_add_nc_u32_e32 v0, s5, v83
	v_mad_u64_u32 v[0:1], null, v0, s39, s[22:23]
	v_mad_u64_u32 v[0:1], null, s4, v0, s[34:35]
	s_and_saveexec_b32 s4, s6
	s_cbranch_execz .LBB56_129
; %bb.128:
	v_mad_u64_u32 v[3:4], null, 0x70, v0, v[70:71]
	v_mov_b32_e32 v4, 0
	v_cvt_f32_f16_sdwa v1, v92 dst_sel:DWORD dst_unused:UNUSED_PAD src0_sel:WORD_1
	v_cvt_f32_f16_e32 v6, v92
	v_cvt_f32_f16_sdwa v7, v93 dst_sel:DWORD dst_unused:UNUSED_PAD src0_sel:WORD_1
	v_cvt_f32_f16_e32 v8, v93
	v_mul_f32_e32 v13, v2, v1
	v_lshlrev_b64 v[3:4], 2, v[3:4]
	v_mul_f32_e32 v12, v2, v6
	v_mul_f32_e32 v11, v2, v7
	;; [unrolled: 1-line block ×3, first 2 shown]
	v_add_co_u32 v3, vcc_lo, s28, v3
	v_add_co_ci_u32_e64 v4, null, s29, v4, vcc_lo
	global_store_dwordx4 v[3:4], v[10:13], off
.LBB56_129:
	s_or_b32 exec_lo, exec_lo, s4
	s_and_b32 exec_lo, exec_lo, s7
	s_cbranch_execz .LBB56_102
; %bb.130:
	v_ashrrev_i32_e32 v1, 31, v0
	v_mov_b32_e32 v8, v5
	v_lshlrev_b64 v[0:1], 3, v[0:1]
	v_add_co_u32 v0, vcc_lo, s30, v0
	v_add_co_ci_u32_e64 v1, null, s31, v1, vcc_lo
	global_store_dwordx2 v[0:1], v[8:9], off
	s_endpgm
	.section	.rodata,"a",@progbits
	.p2align	6, 0x0
	.amdhsa_kernel _ZL15flash_attn_tileILi112ELi112ELi32ELi1ELb0EEvPKcS1_S1_S1_S1_PKiPfP15HIP_vector_typeIfLj2EEffffjfiS5_IjLj3EEiiiiiiiiiiiliiliiiiil
		.amdhsa_group_segment_fixed_size 13376
		.amdhsa_private_segment_fixed_size 32
		.amdhsa_kernarg_size 464
		.amdhsa_user_sgpr_count 8
		.amdhsa_user_sgpr_private_segment_buffer 1
		.amdhsa_user_sgpr_dispatch_ptr 0
		.amdhsa_user_sgpr_queue_ptr 0
		.amdhsa_user_sgpr_kernarg_segment_ptr 1
		.amdhsa_user_sgpr_dispatch_id 0
		.amdhsa_user_sgpr_flat_scratch_init 1
		.amdhsa_user_sgpr_private_segment_size 0
		.amdhsa_wavefront_size32 1
		.amdhsa_uses_dynamic_stack 0
		.amdhsa_system_sgpr_private_segment_wavefront_offset 1
		.amdhsa_system_sgpr_workgroup_id_x 1
		.amdhsa_system_sgpr_workgroup_id_y 1
		.amdhsa_system_sgpr_workgroup_id_z 1
		.amdhsa_system_sgpr_workgroup_info 0
		.amdhsa_system_vgpr_workitem_id 1
		.amdhsa_next_free_vgpr 172
		.amdhsa_next_free_sgpr 56
		.amdhsa_reserve_vcc 1
		.amdhsa_reserve_flat_scratch 1
		.amdhsa_float_round_mode_32 0
		.amdhsa_float_round_mode_16_64 0
		.amdhsa_float_denorm_mode_32 3
		.amdhsa_float_denorm_mode_16_64 3
		.amdhsa_dx10_clamp 1
		.amdhsa_ieee_mode 1
		.amdhsa_fp16_overflow 0
		.amdhsa_workgroup_processor_mode 1
		.amdhsa_memory_ordered 1
		.amdhsa_forward_progress 1
		.amdhsa_shared_vgpr_count 0
		.amdhsa_exception_fp_ieee_invalid_op 0
		.amdhsa_exception_fp_denorm_src 0
		.amdhsa_exception_fp_ieee_div_zero 0
		.amdhsa_exception_fp_ieee_overflow 0
		.amdhsa_exception_fp_ieee_underflow 0
		.amdhsa_exception_fp_ieee_inexact 0
		.amdhsa_exception_int_div_zero 0
	.end_amdhsa_kernel
	.section	.text._ZL15flash_attn_tileILi112ELi112ELi32ELi1ELb0EEvPKcS1_S1_S1_S1_PKiPfP15HIP_vector_typeIfLj2EEffffjfiS5_IjLj3EEiiiiiiiiiiiliiliiiiil,"axG",@progbits,_ZL15flash_attn_tileILi112ELi112ELi32ELi1ELb0EEvPKcS1_S1_S1_S1_PKiPfP15HIP_vector_typeIfLj2EEffffjfiS5_IjLj3EEiiiiiiiiiiiliiliiiiil,comdat
.Lfunc_end56:
	.size	_ZL15flash_attn_tileILi112ELi112ELi32ELi1ELb0EEvPKcS1_S1_S1_S1_PKiPfP15HIP_vector_typeIfLj2EEffffjfiS5_IjLj3EEiiiiiiiiiiiliiliiiiil, .Lfunc_end56-_ZL15flash_attn_tileILi112ELi112ELi32ELi1ELb0EEvPKcS1_S1_S1_S1_PKiPfP15HIP_vector_typeIfLj2EEffffjfiS5_IjLj3EEiiiiiiiiiiiliiliiiiil
                                        ; -- End function
	.set _ZL15flash_attn_tileILi112ELi112ELi32ELi1ELb0EEvPKcS1_S1_S1_S1_PKiPfP15HIP_vector_typeIfLj2EEffffjfiS5_IjLj3EEiiiiiiiiiiiliiliiiiil.num_vgpr, 172
	.set _ZL15flash_attn_tileILi112ELi112ELi32ELi1ELb0EEvPKcS1_S1_S1_S1_PKiPfP15HIP_vector_typeIfLj2EEffffjfiS5_IjLj3EEiiiiiiiiiiiliiliiiiil.num_agpr, 0
	.set _ZL15flash_attn_tileILi112ELi112ELi32ELi1ELb0EEvPKcS1_S1_S1_S1_PKiPfP15HIP_vector_typeIfLj2EEffffjfiS5_IjLj3EEiiiiiiiiiiiliiliiiiil.numbered_sgpr, 56
	.set _ZL15flash_attn_tileILi112ELi112ELi32ELi1ELb0EEvPKcS1_S1_S1_S1_PKiPfP15HIP_vector_typeIfLj2EEffffjfiS5_IjLj3EEiiiiiiiiiiiliiliiiiil.num_named_barrier, 0
	.set _ZL15flash_attn_tileILi112ELi112ELi32ELi1ELb0EEvPKcS1_S1_S1_S1_PKiPfP15HIP_vector_typeIfLj2EEffffjfiS5_IjLj3EEiiiiiiiiiiiliiliiiiil.private_seg_size, 32
	.set _ZL15flash_attn_tileILi112ELi112ELi32ELi1ELb0EEvPKcS1_S1_S1_S1_PKiPfP15HIP_vector_typeIfLj2EEffffjfiS5_IjLj3EEiiiiiiiiiiiliiliiiiil.uses_vcc, 1
	.set _ZL15flash_attn_tileILi112ELi112ELi32ELi1ELb0EEvPKcS1_S1_S1_S1_PKiPfP15HIP_vector_typeIfLj2EEffffjfiS5_IjLj3EEiiiiiiiiiiiliiliiiiil.uses_flat_scratch, 1
	.set _ZL15flash_attn_tileILi112ELi112ELi32ELi1ELb0EEvPKcS1_S1_S1_S1_PKiPfP15HIP_vector_typeIfLj2EEffffjfiS5_IjLj3EEiiiiiiiiiiiliiliiiiil.has_dyn_sized_stack, 0
	.set _ZL15flash_attn_tileILi112ELi112ELi32ELi1ELb0EEvPKcS1_S1_S1_S1_PKiPfP15HIP_vector_typeIfLj2EEffffjfiS5_IjLj3EEiiiiiiiiiiiliiliiiiil.has_recursion, 0
	.set _ZL15flash_attn_tileILi112ELi112ELi32ELi1ELb0EEvPKcS1_S1_S1_S1_PKiPfP15HIP_vector_typeIfLj2EEffffjfiS5_IjLj3EEiiiiiiiiiiiliiliiiiil.has_indirect_call, 0
	.section	.AMDGPU.csdata,"",@progbits
; Kernel info:
; codeLenInByte = 30504
; TotalNumSgprs: 58
; NumVgprs: 172
; ScratchSize: 32
; MemoryBound: 0
; FloatMode: 240
; IeeeMode: 1
; LDSByteSize: 13376 bytes/workgroup (compile time only)
; SGPRBlocks: 0
; VGPRBlocks: 21
; NumSGPRsForWavesPerEU: 58
; NumVGPRsForWavesPerEU: 172
; Occupancy: 5
; WaveLimiterHint : 1
; COMPUTE_PGM_RSRC2:SCRATCH_EN: 1
; COMPUTE_PGM_RSRC2:USER_SGPR: 8
; COMPUTE_PGM_RSRC2:TRAP_HANDLER: 0
; COMPUTE_PGM_RSRC2:TGID_X_EN: 1
; COMPUTE_PGM_RSRC2:TGID_Y_EN: 1
; COMPUTE_PGM_RSRC2:TGID_Z_EN: 1
; COMPUTE_PGM_RSRC2:TIDIG_COMP_CNT: 1
	.section	.text._ZL33flash_attn_stream_k_fixup_uniformILi112ELi32ELi1EEvPfPK15HIP_vector_typeIfLj2EEiiiiiiS1_IjLj3EES5_S5_,"axG",@progbits,_ZL33flash_attn_stream_k_fixup_uniformILi112ELi32ELi1EEvPfPK15HIP_vector_typeIfLj2EEiiiiiiS1_IjLj3EES5_S5_,comdat
	.globl	_ZL33flash_attn_stream_k_fixup_uniformILi112ELi32ELi1EEvPfPK15HIP_vector_typeIfLj2EEiiiiiiS1_IjLj3EES5_S5_ ; -- Begin function _ZL33flash_attn_stream_k_fixup_uniformILi112ELi32ELi1EEvPfPK15HIP_vector_typeIfLj2EEiiiiiiS1_IjLj3EES5_S5_
	.p2align	8
	.type	_ZL33flash_attn_stream_k_fixup_uniformILi112ELi32ELi1EEvPfPK15HIP_vector_typeIfLj2EEiiiiiiS1_IjLj3EES5_S5_,@function
_ZL33flash_attn_stream_k_fixup_uniformILi112ELi32ELi1EEvPfPK15HIP_vector_typeIfLj2EEiiiiiiS1_IjLj3EES5_S5_: ; @_ZL33flash_attn_stream_k_fixup_uniformILi112ELi32ELi1EEvPfPK15HIP_vector_typeIfLj2EEiiiiiiS1_IjLj3EES5_S5_
; %bb.0:
	s_clause 0x2
	s_load_dwordx8 s[12:19], s[4:5], 0x1c
	s_load_dwordx4 s[20:23], s[4:5], 0x3c
	s_load_dwordx2 s[10:11], s[4:5], 0x10
	s_waitcnt lgkmcnt(0)
	s_mul_hi_u32 s0, s15, s6
	s_add_i32 s0, s6, s0
	s_lshr_b32 s0, s0, s16
	s_mul_i32 s1, s0, s17
	s_sub_i32 s1, s6, s1
	s_mul_hi_u32 s2, s1, s18
	s_add_i32 s2, s1, s2
	s_lshr_b32 s9, s2, s19
	s_mul_i32 s2, s9, s20
	s_sub_i32 s1, s1, s2
	s_mul_hi_u32 s2, s1, s21
	s_add_i32 s2, s1, s2
	s_lshr_b32 s16, s2, s22
	s_mul_i32 s2, s16, s23
	s_sub_i32 s15, s1, s2
	s_lshl_b32 s1, s15, 5
	s_add_i32 s1, s1, s7
	s_cmp_lt_i32 s1, s10
	s_cselect_b32 s1, -1, 0
	s_add_i32 s16, s16, s8
	s_cmp_lt_i32 s16, s13
	s_cselect_b32 s2, -1, 0
	s_and_b32 s1, s1, s2
	s_andn2_b32 vcc_lo, exec_lo, s1
	s_cbranch_vccnz .LBB57_6
; %bb.1:
	s_mul_i32 s10, s0, s10
	s_load_dwordx4 s[0:3], s[4:5], 0x0
	s_add_i32 s4, s10, s7
	s_mul_i32 s9, s9, s13
	s_mul_i32 s4, s4, s11
	s_add_i32 s5, s16, s9
	s_mul_i32 s9, s11, s15
	s_add_i32 s4, s5, s4
	s_mulk_i32 s9, 0xe00
	s_mulk_i32 s4, 0x70
	s_add_i32 s8, s7, s8
	v_add3_u32 v1, s4, s9, v0
	s_mul_i32 s4, s14, s6
	s_add_i32 s9, s4, s14
	v_ashrrev_i32_e32 v2, 31, v1
	v_lshlrev_b64 v[1:2], 2, v[1:2]
	s_waitcnt lgkmcnt(0)
	v_add_co_u32 v1, vcc_lo, s0, v1
	v_add_co_ci_u32_e64 v2, null, s1, v2, vcc_lo
	s_lshl_b32 s0, s9, 5
	s_add_i32 s0, s8, s0
	global_load_dword v5, v[1:2], off
	s_sub_i32 s0, s0, 32
	s_ashr_i32 s1, s0, 31
	s_lshl_b64 s[0:1], s[0:1], 3
	s_add_u32 s0, s2, s0
	s_addc_u32 s1, s3, s1
	s_add_i32 s5, s9, -2
	s_load_dword s10, s[0:1], 0x4
	s_cmp_lt_i32 s5, s4
	s_cbranch_scc1 .LBB57_4
; %bb.2:
	s_load_dword s11, s[0:1], 0x0
	s_lshl_b32 s0, s12, 7
	s_waitcnt lgkmcnt(0)
	v_mov_b32_e32 v6, s10
	s_ashr_i32 s1, s0, 31
	s_lshl_b64 s[0:1], s[0:1], 2
	s_add_u32 s5, s2, s0
	s_addc_u32 s7, s3, s1
	s_add_i32 s6, s6, 1
	s_mul_i32 s1, s8, 0x70
	s_mul_i32 s0, s14, s6
	s_lshl_b32 s6, s0, 5
	s_mulk_i32 s0, 0xe00
	s_add_i32 s6, s8, s6
	s_add_i32 s1, s1, s0
	s_lshl_b32 s0, s12, 5
	v_add3_u32 v3, s1, v0, 0xffffe400
	s_add_i32 s0, s6, s0
	v_mov_b32_e32 v0, s11
	s_add_i32 s6, s9, -1
	s_sub_i32 s0, s0, 64
.LBB57_3:                               ; =>This Inner Loop Header: Depth=1
	v_ashrrev_i32_e32 v4, 31, v3
	s_ashr_i32 s1, s0, 31
	s_lshl_b64 s[8:9], s[0:1], 3
	s_add_u32 s8, s2, s8
	v_lshlrev_b64 v[7:8], 2, v[3:4]
	s_addc_u32 s9, s3, s9
	v_add_nc_u32_e32 v3, 0xfffff200, v3
	s_add_i32 s6, s6, -1
	s_sub_i32 s0, s0, 32
	s_cmp_le_i32 s6, s4
	v_add_co_u32 v7, vcc_lo, s5, v7
	v_add_co_ci_u32_e64 v8, null, s7, v8, vcc_lo
	s_load_dwordx2 s[8:9], s[8:9], 0x0
	global_load_dword v4, v[7:8], off
	v_max_f32_e32 v7, v0, v0
	s_waitcnt lgkmcnt(0)
	v_max_f32_e64 v8, s8, s8
	v_max_f32_e32 v7, v7, v8
	v_sub_f32_e32 v8, s8, v7
	v_sub_f32_e32 v0, v0, v7
	v_mul_f32_e32 v9, 0x3fb8aa3b, v8
	v_mul_f32_e32 v12, 0x3fb8aa3b, v0
	v_cmp_ngt_f32_e32 vcc_lo, 0xc2ce8ed0, v8
	v_fma_f32 v10, 0x3fb8aa3b, v8, -v9
	v_rndne_f32_e32 v11, v9
	v_fma_f32 v13, 0x3fb8aa3b, v0, -v12
	v_rndne_f32_e32 v14, v12
	v_fmac_f32_e32 v10, 0x32a5705f, v8
	v_sub_f32_e32 v9, v9, v11
	v_fmac_f32_e32 v13, 0x32a5705f, v0
	v_cvt_i32_f32_e32 v11, v11
	v_add_f32_e32 v9, v9, v10
	v_sub_f32_e32 v10, v12, v14
	v_exp_f32_e32 v9, v9
	v_add_f32_e32 v10, v10, v13
	v_exp_f32_e32 v10, v10
	v_ldexp_f32 v9, v9, v11
	v_cvt_i32_f32_e32 v11, v14
	v_cndmask_b32_e32 v9, 0, v9, vcc_lo
	v_cmp_nlt_f32_e32 vcc_lo, 0x42b17218, v8
	v_ldexp_f32 v10, v10, v11
	v_mov_b32_e32 v11, v6
	v_cndmask_b32_e32 v9, 0x7f800000, v9, vcc_lo
	v_cmp_ngt_f32_e32 vcc_lo, 0xc2ce8ed0, v0
	v_cndmask_b32_e32 v10, 0, v10, vcc_lo
	v_cmp_le_f32_e32 vcc_lo, 0xc1a00000, v8
	v_cndmask_b32_e32 v8, 0, v9, vcc_lo
	v_cmp_nlt_f32_e32 vcc_lo, 0x42b17218, v0
	s_waitcnt vmcnt(1)
	v_mov_b32_e32 v9, v5
	v_cndmask_b32_e32 v5, 0x7f800000, v10, vcc_lo
	v_mul_f32_e32 v10, s9, v8
	v_cmp_le_f32_e32 vcc_lo, 0xc1a00000, v0
	v_mov_b32_e32 v0, v7
	v_mov_b32_e32 v6, v10
	v_cndmask_b32_e32 v12, 0, v5, vcc_lo
	v_fmac_f32_e32 v6, v11, v12
	s_waitcnt vmcnt(0)
	v_mul_f32_e32 v5, v4, v8
	v_fmac_f32_e32 v5, v9, v12
	s_cbranch_scc0 .LBB57_3
	s_branch .LBB57_5
.LBB57_4:
	s_waitcnt lgkmcnt(0)
	v_mov_b32_e32 v6, s10
.LBB57_5:
	s_waitcnt vmcnt(0)
	v_div_scale_f32 v0, null, v6, v6, v5
	v_rcp_f32_e32 v3, v0
	v_fma_f32 v4, -v0, v3, 1.0
	v_fmac_f32_e32 v3, v4, v3
	v_div_scale_f32 v4, vcc_lo, v5, v6, v5
	v_mul_f32_e32 v7, v4, v3
	v_fma_f32 v8, -v0, v7, v4
	v_fmac_f32_e32 v7, v8, v3
	v_fma_f32 v0, -v0, v7, v4
	v_div_fmas_f32 v0, v0, v3, v7
	v_div_fixup_f32 v0, v0, v6, v5
	global_store_dword v[1:2], v0, off
.LBB57_6:
	s_endpgm
	.section	.rodata,"a",@progbits
	.p2align	6, 0x0
	.amdhsa_kernel _ZL33flash_attn_stream_k_fixup_uniformILi112ELi32ELi1EEvPfPK15HIP_vector_typeIfLj2EEiiiiiiS1_IjLj3EES5_S5_
		.amdhsa_group_segment_fixed_size 0
		.amdhsa_private_segment_fixed_size 0
		.amdhsa_kernarg_size 76
		.amdhsa_user_sgpr_count 6
		.amdhsa_user_sgpr_private_segment_buffer 1
		.amdhsa_user_sgpr_dispatch_ptr 0
		.amdhsa_user_sgpr_queue_ptr 0
		.amdhsa_user_sgpr_kernarg_segment_ptr 1
		.amdhsa_user_sgpr_dispatch_id 0
		.amdhsa_user_sgpr_flat_scratch_init 0
		.amdhsa_user_sgpr_private_segment_size 0
		.amdhsa_wavefront_size32 1
		.amdhsa_uses_dynamic_stack 0
		.amdhsa_system_sgpr_private_segment_wavefront_offset 0
		.amdhsa_system_sgpr_workgroup_id_x 1
		.amdhsa_system_sgpr_workgroup_id_y 1
		.amdhsa_system_sgpr_workgroup_id_z 1
		.amdhsa_system_sgpr_workgroup_info 0
		.amdhsa_system_vgpr_workitem_id 0
		.amdhsa_next_free_vgpr 15
		.amdhsa_next_free_sgpr 24
		.amdhsa_reserve_vcc 1
		.amdhsa_reserve_flat_scratch 0
		.amdhsa_float_round_mode_32 0
		.amdhsa_float_round_mode_16_64 0
		.amdhsa_float_denorm_mode_32 3
		.amdhsa_float_denorm_mode_16_64 3
		.amdhsa_dx10_clamp 1
		.amdhsa_ieee_mode 1
		.amdhsa_fp16_overflow 0
		.amdhsa_workgroup_processor_mode 1
		.amdhsa_memory_ordered 1
		.amdhsa_forward_progress 1
		.amdhsa_shared_vgpr_count 0
		.amdhsa_exception_fp_ieee_invalid_op 0
		.amdhsa_exception_fp_denorm_src 0
		.amdhsa_exception_fp_ieee_div_zero 0
		.amdhsa_exception_fp_ieee_overflow 0
		.amdhsa_exception_fp_ieee_underflow 0
		.amdhsa_exception_fp_ieee_inexact 0
		.amdhsa_exception_int_div_zero 0
	.end_amdhsa_kernel
	.section	.text._ZL33flash_attn_stream_k_fixup_uniformILi112ELi32ELi1EEvPfPK15HIP_vector_typeIfLj2EEiiiiiiS1_IjLj3EES5_S5_,"axG",@progbits,_ZL33flash_attn_stream_k_fixup_uniformILi112ELi32ELi1EEvPfPK15HIP_vector_typeIfLj2EEiiiiiiS1_IjLj3EES5_S5_,comdat
.Lfunc_end57:
	.size	_ZL33flash_attn_stream_k_fixup_uniformILi112ELi32ELi1EEvPfPK15HIP_vector_typeIfLj2EEiiiiiiS1_IjLj3EES5_S5_, .Lfunc_end57-_ZL33flash_attn_stream_k_fixup_uniformILi112ELi32ELi1EEvPfPK15HIP_vector_typeIfLj2EEiiiiiiS1_IjLj3EES5_S5_
                                        ; -- End function
	.set _ZL33flash_attn_stream_k_fixup_uniformILi112ELi32ELi1EEvPfPK15HIP_vector_typeIfLj2EEiiiiiiS1_IjLj3EES5_S5_.num_vgpr, 15
	.set _ZL33flash_attn_stream_k_fixup_uniformILi112ELi32ELi1EEvPfPK15HIP_vector_typeIfLj2EEiiiiiiS1_IjLj3EES5_S5_.num_agpr, 0
	.set _ZL33flash_attn_stream_k_fixup_uniformILi112ELi32ELi1EEvPfPK15HIP_vector_typeIfLj2EEiiiiiiS1_IjLj3EES5_S5_.numbered_sgpr, 24
	.set _ZL33flash_attn_stream_k_fixup_uniformILi112ELi32ELi1EEvPfPK15HIP_vector_typeIfLj2EEiiiiiiS1_IjLj3EES5_S5_.num_named_barrier, 0
	.set _ZL33flash_attn_stream_k_fixup_uniformILi112ELi32ELi1EEvPfPK15HIP_vector_typeIfLj2EEiiiiiiS1_IjLj3EES5_S5_.private_seg_size, 0
	.set _ZL33flash_attn_stream_k_fixup_uniformILi112ELi32ELi1EEvPfPK15HIP_vector_typeIfLj2EEiiiiiiS1_IjLj3EES5_S5_.uses_vcc, 1
	.set _ZL33flash_attn_stream_k_fixup_uniformILi112ELi32ELi1EEvPfPK15HIP_vector_typeIfLj2EEiiiiiiS1_IjLj3EES5_S5_.uses_flat_scratch, 0
	.set _ZL33flash_attn_stream_k_fixup_uniformILi112ELi32ELi1EEvPfPK15HIP_vector_typeIfLj2EEiiiiiiS1_IjLj3EES5_S5_.has_dyn_sized_stack, 0
	.set _ZL33flash_attn_stream_k_fixup_uniformILi112ELi32ELi1EEvPfPK15HIP_vector_typeIfLj2EEiiiiiiS1_IjLj3EES5_S5_.has_recursion, 0
	.set _ZL33flash_attn_stream_k_fixup_uniformILi112ELi32ELi1EEvPfPK15HIP_vector_typeIfLj2EEiiiiiiS1_IjLj3EES5_S5_.has_indirect_call, 0
	.section	.AMDGPU.csdata,"",@progbits
; Kernel info:
; codeLenInByte = 828
; TotalNumSgprs: 26
; NumVgprs: 15
; ScratchSize: 0
; MemoryBound: 0
; FloatMode: 240
; IeeeMode: 1
; LDSByteSize: 0 bytes/workgroup (compile time only)
; SGPRBlocks: 0
; VGPRBlocks: 1
; NumSGPRsForWavesPerEU: 26
; NumVGPRsForWavesPerEU: 15
; Occupancy: 16
; WaveLimiterHint : 0
; COMPUTE_PGM_RSRC2:SCRATCH_EN: 0
; COMPUTE_PGM_RSRC2:USER_SGPR: 6
; COMPUTE_PGM_RSRC2:TRAP_HANDLER: 0
; COMPUTE_PGM_RSRC2:TGID_X_EN: 1
; COMPUTE_PGM_RSRC2:TGID_Y_EN: 1
; COMPUTE_PGM_RSRC2:TGID_Z_EN: 1
; COMPUTE_PGM_RSRC2:TIDIG_COMP_CNT: 0
	.section	.text._ZL33flash_attn_stream_k_fixup_generalILi112ELi32ELi1EEvPfPK15HIP_vector_typeIfLj2EEiiiiS1_IjLj3EES5_S5_S5_,"axG",@progbits,_ZL33flash_attn_stream_k_fixup_generalILi112ELi32ELi1EEvPfPK15HIP_vector_typeIfLj2EEiiiiS1_IjLj3EES5_S5_S5_,comdat
	.globl	_ZL33flash_attn_stream_k_fixup_generalILi112ELi32ELi1EEvPfPK15HIP_vector_typeIfLj2EEiiiiS1_IjLj3EES5_S5_S5_ ; -- Begin function _ZL33flash_attn_stream_k_fixup_generalILi112ELi32ELi1EEvPfPK15HIP_vector_typeIfLj2EEiiiiS1_IjLj3EES5_S5_S5_
	.p2align	8
	.type	_ZL33flash_attn_stream_k_fixup_generalILi112ELi32ELi1EEvPfPK15HIP_vector_typeIfLj2EEiiiiS1_IjLj3EES5_S5_S5_,@function
_ZL33flash_attn_stream_k_fixup_generalILi112ELi32ELi1EEvPfPK15HIP_vector_typeIfLj2EEiiiiS1_IjLj3EES5_S5_S5_: ; @_ZL33flash_attn_stream_k_fixup_generalILi112ELi32ELi1EEvPfPK15HIP_vector_typeIfLj2EEiiiiS1_IjLj3EES5_S5_S5_
; %bb.0:
	s_clause 0x1
	s_load_dwordx4 s[0:3], s[4:5], 0x10
	s_load_dword s9, s[4:5], 0x50
	s_mov_b32 s16, 0
	s_waitcnt lgkmcnt(0)
	s_mul_hi_i32 s17, s3, s6
	s_mul_i32 s18, s3, s6
	s_cmp_lg_u64 s[16:17], 0
	s_cbranch_scc0 .LBB58_21
; %bb.1:
	s_add_u32 s10, s9, 0
	s_addc_u32 s11, 0, 0
	s_xor_b64 s[10:11], s[10:11], 0
	v_cvt_f32_u32_e32 v1, s10
	v_cvt_f32_u32_e32 v2, s11
	s_sub_u32 s14, 0, s10
	s_subb_u32 s15, 0, s11
	v_fmamk_f32 v1, v2, 0x4f800000, v1
	v_rcp_f32_e32 v1, v1
	v_mul_f32_e32 v1, 0x5f7ffffc, v1
	v_mul_f32_e32 v2, 0x2f800000, v1
	v_trunc_f32_e32 v2, v2
	v_fmamk_f32 v1, v2, 0xcf800000, v1
	v_cvt_u32_f32_e32 v2, v2
	v_cvt_u32_f32_e32 v1, v1
	v_readfirstlane_b32 s12, v2
	v_readfirstlane_b32 s13, v1
	s_mul_i32 s19, s14, s12
	s_mul_hi_u32 s21, s14, s13
	s_mul_i32 s20, s15, s13
	s_add_i32 s19, s21, s19
	s_mul_i32 s22, s14, s13
	s_add_i32 s19, s19, s20
	s_mul_hi_u32 s21, s13, s22
	s_mul_i32 s24, s13, s19
	s_mul_hi_u32 s23, s12, s22
	s_mul_i32 s20, s12, s22
	s_mul_hi_u32 s22, s13, s19
	s_add_u32 s21, s21, s24
	s_addc_u32 s22, 0, s22
	s_mul_hi_u32 s25, s12, s19
	s_add_u32 s20, s21, s20
	s_mul_i32 s19, s12, s19
	s_addc_u32 s20, s22, s23
	s_addc_u32 s21, s25, 0
	s_add_u32 s19, s20, s19
	s_addc_u32 s20, 0, s21
	s_add_u32 s13, s13, s19
	s_cselect_b32 s19, -1, 0
	s_mul_hi_u32 s21, s14, s13
	s_cmp_lg_u32 s19, 0
	s_mul_i32 s19, s14, s13
	s_addc_u32 s12, s12, s20
	s_mul_i32 s15, s15, s13
	s_mul_i32 s14, s14, s12
	s_mul_hi_u32 s20, s13, s19
	s_add_i32 s14, s21, s14
	s_mul_hi_u32 s21, s12, s19
	s_add_i32 s14, s14, s15
	s_mul_i32 s15, s12, s19
	s_mul_i32 s23, s13, s14
	s_mul_hi_u32 s22, s13, s14
	s_add_u32 s20, s20, s23
	s_addc_u32 s22, 0, s22
	s_mul_hi_u32 s19, s12, s14
	s_add_u32 s15, s20, s15
	s_mul_i32 s14, s12, s14
	s_addc_u32 s15, s22, s21
	s_addc_u32 s19, s19, 0
	s_add_u32 s14, s15, s14
	s_addc_u32 s15, 0, s19
	s_add_u32 s19, s13, s14
	s_cselect_b32 s13, -1, 0
	s_cmp_lg_u32 s13, 0
	s_addc_u32 s20, s12, s15
	s_ashr_i32 s12, s17, 31
	s_add_u32 s14, s18, s12
	s_mov_b32 s13, s12
	s_addc_u32 s15, s17, s12
	s_xor_b64 s[14:15], s[14:15], s[12:13]
	s_mul_i32 s21, s14, s20
	s_mul_hi_u32 s22, s14, s19
	s_mul_hi_u32 s17, s14, s20
	;; [unrolled: 1-line block ×3, first 2 shown]
	s_mul_i32 s19, s15, s19
	s_add_u32 s21, s22, s21
	s_addc_u32 s17, 0, s17
	s_mul_hi_u32 s23, s15, s20
	s_add_u32 s19, s21, s19
	s_mul_i32 s20, s15, s20
	s_addc_u32 s17, s17, s24
	s_addc_u32 s19, s23, 0
	s_add_u32 s17, s17, s20
	s_addc_u32 s19, 0, s19
	s_mul_hi_u32 s20, s10, s17
	s_mul_i32 s21, s10, s19
	s_mul_i32 s22, s11, s17
	s_add_i32 s20, s20, s21
	s_mul_i32 s21, s10, s17
	s_add_i32 s20, s20, s22
	s_sub_i32 s22, s15, s20
	s_sub_u32 s14, s14, s21
	s_cselect_b32 s21, -1, 0
	s_cmp_lg_u32 s21, 0
	s_subb_u32 s22, s22, s11
	s_sub_u32 s23, s14, s10
	s_cselect_b32 s24, -1, 0
	s_cmp_lg_u32 s24, 0
	s_subb_u32 s22, s22, 0
	s_cmp_ge_u32 s22, s11
	s_cselect_b32 s24, -1, 0
	s_cmp_ge_u32 s23, s10
	s_cselect_b32 s23, -1, 0
	s_cmp_eq_u32 s22, s11
	s_cselect_b32 s22, s23, s24
	s_add_u32 s23, s17, 1
	s_addc_u32 s24, s19, 0
	s_add_u32 s25, s17, 2
	s_addc_u32 s26, s19, 0
	s_cmp_lg_u32 s22, 0
	s_cselect_b32 s22, s25, s23
	s_cselect_b32 s23, s26, s24
	s_cmp_lg_u32 s21, 0
	s_subb_u32 s15, s15, s20
	s_cmp_ge_u32 s15, s11
	s_cselect_b32 s20, -1, 0
	s_cmp_ge_u32 s14, s10
	s_cselect_b32 s10, -1, 0
	s_cmp_eq_u32 s15, s11
	s_cselect_b32 s10, s10, s20
	s_cmp_lg_u32 s10, 0
	s_cselect_b32 s11, s23, s19
	s_cselect_b32 s10, s22, s17
	s_xor_b64 s[12:13], s[12:13], 0
	s_xor_b64 s[10:11], s[10:11], s[12:13]
	s_sub_u32 s10, s10, s12
	s_load_dwordx4 s[12:15], s[4:5], 0x44
	s_andn2_b32 vcc_lo, exec_lo, s16
	s_cbranch_vccnz .LBB58_3
.LBB58_2:
	v_cvt_f32_u32_e32 v1, s9
	s_sub_i32 s11, 0, s9
	v_rcp_iflag_f32_e32 v1, v1
	v_mul_f32_e32 v1, 0x4f7ffffe, v1
	v_cvt_u32_f32_e32 v1, v1
	v_readfirstlane_b32 s10, v1
	s_mul_i32 s11, s11, s10
	s_mul_hi_u32 s11, s10, s11
	s_add_i32 s10, s10, s11
	s_mul_hi_u32 s10, s18, s10
	s_mul_i32 s11, s10, s9
	s_waitcnt lgkmcnt(0)
	s_add_i32 s15, s10, 1
	s_sub_i32 s11, s18, s11
	s_sub_i32 s16, s11, s9
	s_cmp_ge_u32 s11, s9
	s_cselect_b32 s10, s15, s10
	s_cselect_b32 s11, s16, s11
	s_add_i32 s15, s10, 1
	s_cmp_ge_u32 s11, s9
	s_cselect_b32 s10, s15, s10
.LBB58_3:
	s_add_i32 s11, s6, 1
	s_mov_b32 s16, 0
	s_mul_hi_i32 s17, s3, s11
	s_mul_i32 s11, s3, s11
	s_cmp_lg_u64 s[16:17], 0
	s_cbranch_scc0 .LBB58_22
; %bb.4:
	s_add_u32 s18, s9, 0
	s_addc_u32 s19, 0, 0
	s_xor_b64 s[18:19], s[18:19], 0
	v_cvt_f32_u32_e32 v1, s18
	v_cvt_f32_u32_e32 v2, s19
	s_sub_u32 s21, 0, s18
	s_subb_u32 s22, 0, s19
	v_fmamk_f32 v1, v2, 0x4f800000, v1
	v_rcp_f32_e32 v1, v1
	v_mul_f32_e32 v1, 0x5f7ffffc, v1
	v_mul_f32_e32 v2, 0x2f800000, v1
	v_trunc_f32_e32 v2, v2
	v_fmamk_f32 v1, v2, 0xcf800000, v1
	v_cvt_u32_f32_e32 v2, v2
	v_cvt_u32_f32_e32 v1, v1
	s_waitcnt lgkmcnt(0)
	v_readfirstlane_b32 s15, v2
	v_readfirstlane_b32 s20, v1
	s_mul_i32 s23, s21, s15
	s_mul_hi_u32 s25, s21, s20
	s_mul_i32 s24, s22, s20
	s_add_i32 s23, s25, s23
	s_mul_i32 s26, s21, s20
	s_add_i32 s23, s23, s24
	s_mul_hi_u32 s25, s20, s26
	s_mul_i32 s28, s20, s23
	s_mul_hi_u32 s27, s15, s26
	s_mul_i32 s24, s15, s26
	s_mul_hi_u32 s26, s20, s23
	s_add_u32 s25, s25, s28
	s_addc_u32 s26, 0, s26
	s_mul_hi_u32 s29, s15, s23
	s_add_u32 s24, s25, s24
	s_mul_i32 s23, s15, s23
	s_addc_u32 s24, s26, s27
	s_addc_u32 s25, s29, 0
	s_add_u32 s23, s24, s23
	s_addc_u32 s24, 0, s25
	s_add_u32 s20, s20, s23
	s_cselect_b32 s23, -1, 0
	s_mul_hi_u32 s25, s21, s20
	s_cmp_lg_u32 s23, 0
	s_mul_i32 s23, s21, s20
	s_addc_u32 s15, s15, s24
	s_mul_i32 s22, s22, s20
	s_mul_i32 s21, s21, s15
	s_mul_hi_u32 s24, s20, s23
	s_add_i32 s21, s25, s21
	s_mul_hi_u32 s25, s15, s23
	s_add_i32 s21, s21, s22
	s_mul_i32 s22, s15, s23
	s_mul_i32 s27, s20, s21
	s_mul_hi_u32 s26, s20, s21
	s_add_u32 s24, s24, s27
	s_addc_u32 s26, 0, s26
	s_mul_hi_u32 s23, s15, s21
	s_add_u32 s22, s24, s22
	s_mul_i32 s21, s15, s21
	s_addc_u32 s22, s26, s25
	s_addc_u32 s23, s23, 0
	s_add_u32 s21, s22, s21
	s_addc_u32 s22, 0, s23
	s_add_u32 s24, s20, s21
	s_cselect_b32 s20, -1, 0
	s_cmp_lg_u32 s20, 0
	s_addc_u32 s15, s15, s22
	s_ashr_i32 s20, s17, 31
	s_add_u32 s22, s11, s20
	s_mov_b32 s21, s20
	s_addc_u32 s23, s17, s20
	s_xor_b64 s[22:23], s[22:23], s[20:21]
	s_mul_i32 s25, s22, s15
	s_mul_hi_u32 s26, s22, s24
	s_mul_hi_u32 s17, s22, s15
	;; [unrolled: 1-line block ×3, first 2 shown]
	s_mul_i32 s24, s23, s24
	s_add_u32 s25, s26, s25
	s_addc_u32 s17, 0, s17
	s_mul_hi_u32 s27, s23, s15
	s_add_u32 s24, s25, s24
	s_mul_i32 s15, s23, s15
	s_addc_u32 s17, s17, s28
	s_addc_u32 s24, s27, 0
	s_add_u32 s15, s17, s15
	s_addc_u32 s17, 0, s24
	s_mul_hi_u32 s24, s18, s15
	s_mul_i32 s25, s18, s17
	s_mul_i32 s26, s19, s15
	s_add_i32 s24, s24, s25
	s_mul_i32 s25, s18, s15
	s_add_i32 s24, s24, s26
	s_sub_i32 s26, s23, s24
	s_sub_u32 s22, s22, s25
	s_cselect_b32 s25, -1, 0
	s_cmp_lg_u32 s25, 0
	s_subb_u32 s26, s26, s19
	s_sub_u32 s27, s22, s18
	s_cselect_b32 s28, -1, 0
	s_cmp_lg_u32 s28, 0
	s_subb_u32 s26, s26, 0
	s_cmp_ge_u32 s26, s19
	s_cselect_b32 s28, -1, 0
	s_cmp_ge_u32 s27, s18
	s_cselect_b32 s27, -1, 0
	s_cmp_eq_u32 s26, s19
	s_cselect_b32 s26, s27, s28
	s_add_u32 s27, s15, 1
	s_addc_u32 s28, s17, 0
	s_add_u32 s29, s15, 2
	s_addc_u32 s30, s17, 0
	s_cmp_lg_u32 s26, 0
	s_cselect_b32 s26, s29, s27
	s_cselect_b32 s27, s30, s28
	s_cmp_lg_u32 s25, 0
	s_subb_u32 s23, s23, s24
	s_cmp_ge_u32 s23, s19
	s_cselect_b32 s24, -1, 0
	s_cmp_ge_u32 s22, s18
	s_cselect_b32 s18, -1, 0
	s_cmp_eq_u32 s23, s19
	s_cselect_b32 s18, s18, s24
	s_cmp_lg_u32 s18, 0
	s_cselect_b32 s19, s27, s17
	s_cselect_b32 s18, s26, s15
	s_xor_b64 s[20:21], s[20:21], 0
	s_xor_b64 s[18:19], s[18:19], s[20:21]
	s_sub_u32 s18, s18, s20
	s_andn2_b32 vcc_lo, exec_lo, s16
	s_cbranch_vccnz .LBB58_6
.LBB58_5:
	v_cvt_f32_u32_e32 v1, s9
	s_sub_i32 s16, 0, s9
	v_rcp_iflag_f32_e32 v1, v1
	v_mul_f32_e32 v1, 0x4f7ffffe, v1
	v_cvt_u32_f32_e32 v1, v1
	s_waitcnt lgkmcnt(0)
	v_readfirstlane_b32 s15, v1
	s_mul_i32 s16, s16, s15
	s_mul_hi_u32 s16, s15, s16
	s_add_i32 s15, s15, s16
	s_mul_hi_u32 s15, s11, s15
	s_mul_i32 s16, s15, s9
	s_sub_i32 s11, s11, s16
	s_add_i32 s16, s15, 1
	s_sub_i32 s17, s11, s9
	s_cmp_ge_u32 s11, s9
	s_cselect_b32 s15, s16, s15
	s_cselect_b32 s11, s17, s11
	s_add_i32 s16, s15, 1
	s_cmp_ge_u32 s11, s9
	s_cselect_b32 s18, s16, s15
.LBB58_6:
	s_cmp_eq_u32 s10, s18
	s_waitcnt lgkmcnt(0)
	s_mul_hi_u32 s11, s10, s12
	s_cselect_b32 s15, -1, 0
	s_add_i32 s11, s11, s10
	s_lshr_b32 s11, s11, s13
	s_mul_i32 s16, s11, s14
	s_cmp_eq_u32 s16, s10
	s_mul_hi_u32 s16, s18, s12
	s_cselect_b32 s17, -1, 0
	s_add_i32 s16, s16, s18
	s_lshr_b32 s16, s16, s13
	s_cmp_eq_u32 s11, s16
	s_mul_i32 s16, s16, s14
	s_cselect_b32 s19, -1, 0
	s_cmp_lg_u32 s16, s18
	s_cselect_b32 s16, -1, 0
	s_or_b32 s15, s15, s17
	s_and_b32 s16, s19, s16
	s_or_b32 s15, s15, s16
	s_and_b32 vcc_lo, exec_lo, s15
	s_cbranch_vccnz .LBB58_24
; %bb.7:
	s_clause 0x1
	s_load_dwordx8 s[20:27], s[4:5], 0x20
	s_load_dword s16, s[4:5], 0x40
	s_waitcnt lgkmcnt(0)
	s_mul_hi_u32 s15, s10, s20
	s_add_i32 s15, s15, s10
	s_lshr_b32 s15, s15, s21
	s_mul_i32 s17, s15, s22
	s_sub_i32 s17, s10, s17
	s_mul_hi_u32 s18, s17, s23
	s_add_i32 s18, s17, s18
	s_lshr_b32 s21, s18, s24
	s_mul_i32 s18, s21, s25
	s_sub_i32 s17, s17, s18
	s_mul_hi_u32 s18, s17, s26
	s_add_i32 s18, s17, s18
	s_lshr_b32 s22, s18, s27
	s_mul_i32 s16, s22, s16
	s_sub_i32 s16, s17, s16
	s_mul_hi_u32 s17, s16, s12
	s_add_i32 s16, s16, s17
	s_lshr_b32 s20, s16, s13
	s_lshl_b32 s16, s20, 5
	s_add_i32 s16, s16, s7
	s_cmp_lt_i32 s16, s0
	s_cselect_b32 s16, -1, 0
	s_add_i32 s22, s22, s8
	s_cmp_lt_i32 s22, s2
	s_cselect_b32 s17, -1, 0
	s_and_b32 s16, s16, s17
	s_andn2_b32 vcc_lo, exec_lo, s16
	s_cbranch_vccnz .LBB58_24
; %bb.8:
	s_load_dwordx4 s[16:19], s[4:5], 0x0
	s_mov_b32 s4, 0
	s_lshl_b32 s24, s9, 7
	s_mov_b32 s25, s4
	s_add_i32 s8, s7, s8
	s_lshl_b64 s[24:25], s[24:25], 2
	s_mul_i32 s0, s15, s0
	s_mul_i32 s21, s21, s2
	v_cvt_f32_u32_e32 v3, s9
	v_rcp_iflag_f32_e32 v3, v3
	s_waitcnt lgkmcnt(0)
	s_add_u32 s2, s18, s24
	s_addc_u32 s15, s19, s25
	s_add_i32 s0, s0, s7
	s_add_i32 s5, s22, s21
	s_mul_i32 s0, s0, s1
	s_mul_i32 s1, s1, s20
	s_add_i32 s0, s5, s0
	s_mulk_i32 s1, 0xe00
	s_mulk_i32 s0, 0x70
	v_mul_f32_e32 v7, 0x4f7ffffe, v3
	v_add3_u32 v1, s1, s0, v0
	s_lshl_b32 s0, s6, 5
	s_add_i32 s0, s0, s8
	v_ashrrev_i32_e32 v2, 31, v1
	s_ashr_i32 s1, s0, 31
	s_lshl_b64 s[0:1], s[0:1], 3
	v_lshlrev_b64 v[1:2], 2, v[1:2]
	s_add_u32 s0, s18, s0
	s_addc_u32 s1, s19, s1
	s_load_dwordx2 s[0:1], s[0:1], 0x0
	v_add_co_u32 v1, vcc_lo, s16, v1
	v_add_co_ci_u32_e64 v2, null, s17, v2, vcc_lo
	s_add_i32 s17, s6, -1
	v_mad_u64_u32 v[3:4], null, 0x70, s8, v[0:1]
	global_load_dword v5, v[1:2], off
	v_cvt_u32_f32_e32 v0, v7
	s_sub_i32 s16, 0, s9
	s_waitcnt lgkmcnt(0)
	v_mov_b32_e32 v4, s1
	v_mov_b32_e32 v6, s0
.LBB58_9:                               ; =>This Inner Loop Header: Depth=1
	s_mul_hi_i32 s5, s17, s3
	s_mul_i32 s6, s17, s3
	s_cmp_lg_u64 s[4:5], 0
	s_mov_b32 s7, -1
                                        ; implicit-def: $sgpr0_sgpr1
	s_cbranch_scc0 .LBB58_11
; %bb.10:                               ;   in Loop: Header=BB58_9 Depth=1
	s_add_u32 s0, s9, 0
	s_addc_u32 s1, 0, 0
	s_xor_b64 s[0:1], s[0:1], 0
	v_cvt_f32_u32_e32 v7, s0
	v_cvt_f32_u32_e32 v8, s1
	s_sub_u32 s21, 0, s0
	s_subb_u32 s22, 0, s1
	v_fmac_f32_e32 v7, 0x4f800000, v8
	v_rcp_f32_e32 v7, v7
	v_mul_f32_e32 v7, 0x5f7ffffc, v7
	v_mul_f32_e32 v8, 0x2f800000, v7
	v_trunc_f32_e32 v8, v8
	v_fmac_f32_e32 v7, 0xcf800000, v8
	v_cvt_u32_f32_e32 v8, v8
	v_cvt_u32_f32_e32 v7, v7
	v_readfirstlane_b32 s7, v8
	v_readfirstlane_b32 s20, v7
	s_mul_i32 s23, s21, s7
	s_mul_hi_u32 s25, s21, s20
	s_mul_i32 s24, s22, s20
	s_add_i32 s23, s25, s23
	s_mul_i32 s26, s21, s20
	s_add_i32 s23, s23, s24
	s_mul_hi_u32 s25, s20, s26
	s_mul_i32 s28, s20, s23
	s_mul_hi_u32 s27, s7, s26
	s_mul_i32 s24, s7, s26
	s_mul_hi_u32 s26, s20, s23
	s_add_u32 s25, s25, s28
	s_addc_u32 s26, 0, s26
	s_mul_hi_u32 s29, s7, s23
	s_add_u32 s24, s25, s24
	s_mul_i32 s23, s7, s23
	s_addc_u32 s24, s26, s27
	s_addc_u32 s25, s29, 0
	s_add_u32 s23, s24, s23
	s_addc_u32 s24, 0, s25
	s_add_u32 s20, s20, s23
	s_cselect_b32 s23, -1, 0
	s_mul_hi_u32 s25, s21, s20
	s_cmp_lg_u32 s23, 0
	s_mul_i32 s23, s21, s20
	s_addc_u32 s7, s7, s24
	s_mul_i32 s22, s22, s20
	s_mul_i32 s21, s21, s7
	s_mul_hi_u32 s24, s20, s23
	s_add_i32 s21, s25, s21
	s_mul_hi_u32 s25, s7, s23
	s_add_i32 s21, s21, s22
	s_mul_i32 s22, s7, s23
	s_mul_i32 s27, s20, s21
	s_mul_hi_u32 s26, s20, s21
	s_add_u32 s24, s24, s27
	s_addc_u32 s26, 0, s26
	s_mul_hi_u32 s23, s7, s21
	s_add_u32 s22, s24, s22
	s_mul_i32 s21, s7, s21
	s_addc_u32 s22, s26, s25
	s_addc_u32 s23, s23, 0
	s_add_u32 s21, s22, s21
	s_addc_u32 s22, 0, s23
	s_add_u32 s24, s20, s21
	s_cselect_b32 s20, -1, 0
	s_cmp_lg_u32 s20, 0
	s_addc_u32 s7, s7, s22
	s_ashr_i32 s20, s5, 31
	s_add_u32 s22, s6, s20
	s_mov_b32 s21, s20
	s_addc_u32 s23, s5, s20
	s_xor_b64 s[22:23], s[22:23], s[20:21]
	s_mul_i32 s25, s22, s7
	s_mul_hi_u32 s26, s22, s24
	s_mul_hi_u32 s5, s22, s7
	;; [unrolled: 1-line block ×3, first 2 shown]
	s_mul_i32 s24, s23, s24
	s_add_u32 s25, s26, s25
	s_addc_u32 s5, 0, s5
	s_mul_hi_u32 s27, s23, s7
	s_add_u32 s24, s25, s24
	s_mul_i32 s7, s23, s7
	s_addc_u32 s5, s5, s28
	s_addc_u32 s24, s27, 0
	s_add_u32 s5, s5, s7
	s_addc_u32 s7, 0, s24
	s_mul_hi_u32 s24, s0, s5
	s_mul_i32 s25, s0, s7
	s_mul_i32 s26, s1, s5
	s_add_i32 s24, s24, s25
	s_mul_i32 s25, s0, s5
	s_add_i32 s24, s24, s26
	s_sub_i32 s26, s23, s24
	s_sub_u32 s22, s22, s25
	s_cselect_b32 s25, -1, 0
	s_cmp_lg_u32 s25, 0
	s_subb_u32 s26, s26, s1
	s_sub_u32 s27, s22, s0
	s_cselect_b32 s28, -1, 0
	s_cmp_lg_u32 s28, 0
	s_subb_u32 s26, s26, 0
	s_cmp_ge_u32 s26, s1
	s_cselect_b32 s28, -1, 0
	s_cmp_ge_u32 s27, s0
	s_cselect_b32 s27, -1, 0
	s_cmp_eq_u32 s26, s1
	s_cselect_b32 s26, s27, s28
	s_add_u32 s27, s5, 1
	s_addc_u32 s28, s7, 0
	s_add_u32 s29, s5, 2
	s_addc_u32 s30, s7, 0
	s_cmp_lg_u32 s26, 0
	s_cselect_b32 s26, s29, s27
	s_cselect_b32 s27, s30, s28
	s_cmp_lg_u32 s25, 0
	s_subb_u32 s23, s23, s24
	s_cmp_ge_u32 s23, s1
	s_cselect_b32 s24, -1, 0
	s_cmp_ge_u32 s22, s0
	s_cselect_b32 s0, -1, 0
	s_cmp_eq_u32 s23, s1
	s_cselect_b32 s0, s0, s24
	s_cmp_lg_u32 s0, 0
	s_cselect_b32 s1, s27, s7
	s_cselect_b32 s0, s26, s5
	s_xor_b64 s[20:21], s[20:21], 0
	s_mov_b32 s7, 0
	s_xor_b64 s[0:1], s[0:1], s[20:21]
	s_sub_u32 s0, s0, s20
.LBB58_11:                              ;   in Loop: Header=BB58_9 Depth=1
	s_andn2_b32 vcc_lo, exec_lo, s7
	s_cbranch_vccnz .LBB58_13
; %bb.12:                               ;   in Loop: Header=BB58_9 Depth=1
	v_readfirstlane_b32 s0, v0
	s_mul_i32 s1, s16, s0
	s_mul_hi_u32 s1, s0, s1
	s_add_i32 s0, s0, s1
	s_mul_hi_u32 s0, s6, s0
	s_mul_i32 s1, s0, s9
	s_add_i32 s5, s0, 1
	s_sub_i32 s1, s6, s1
	s_sub_i32 s6, s1, s9
	s_cmp_ge_u32 s1, s9
	s_cselect_b32 s0, s5, s0
	s_cselect_b32 s1, s6, s1
	s_add_i32 s5, s0, 1
	s_cmp_ge_u32 s1, s9
	s_cselect_b32 s0, s5, s0
.LBB58_13:                              ;   in Loop: Header=BB58_9 Depth=1
	s_cmp_lg_u32 s10, s0
	s_mov_b32 s6, -1
                                        ; implicit-def: $sgpr5
                                        ; implicit-def: $vgpr8
                                        ; implicit-def: $vgpr7
                                        ; implicit-def: $vgpr9
                                        ; implicit-def: $sgpr1
                                        ; implicit-def: $sgpr20
	s_cbranch_scc0 .LBB58_18
; %bb.14:                               ;   in Loop: Header=BB58_9 Depth=1
	s_add_i32 s1, s17, s9
	s_mov_b32 s7, s4
	s_lshl_b32 s1, s1, 5
	s_mov_b32 s20, s10
	s_add_i32 s6, s1, s8
	s_mul_hi_u32 s1, s0, s12
	s_lshl_b64 s[6:7], s[6:7], 3
	s_add_u32 s6, s18, s6
	s_addc_u32 s7, s19, s7
	s_add_i32 s1, s1, s0
	s_lshr_b32 s1, s1, s13
	s_mul_i32 s5, s1, s14
	s_cmp_eq_u32 s5, s0
	s_cselect_b32 s5, -1, 0
	s_cmp_lt_u32 s1, s11
	s_cselect_b32 s1, -1, 0
	s_or_b32 s1, s1, s5
	s_mov_b32 s5, -1
	s_and_b32 vcc_lo, exec_lo, s1
	s_mov_b32 s1, s17
	s_cbranch_vccnz .LBB58_16
; %bb.15:                               ;   in Loop: Header=BB58_9 Depth=1
	s_add_i32 s1, s17, -1
	s_mov_b32 s5, 0
	s_mov_b32 s20, s0
.LBB58_16:                              ;   in Loop: Header=BB58_9 Depth=1
	v_mad_u64_u32 v[7:8], null, 0xe00, s17, v[3:4]
	s_load_dwordx2 s[6:7], s[6:7], 0x0
	v_ashrrev_i32_e32 v8, 31, v7
	v_lshlrev_b64 v[7:8], 2, v[7:8]
	v_add_co_u32 v7, vcc_lo, s2, v7
	v_add_co_ci_u32_e64 v8, null, s15, v8, vcc_lo
	s_waitcnt lgkmcnt(0)
	v_max_f32_e64 v9, s6, s6
	global_load_dword v8, v[7:8], off
	v_max_f32_e32 v7, v6, v6
	v_max_f32_e32 v7, v7, v9
	v_sub_f32_e32 v9, s6, v7
	v_sub_f32_e32 v10, v6, v7
	v_mul_f32_e32 v11, 0x3fb8aa3b, v9
	v_mul_f32_e32 v12, 0x3fb8aa3b, v10
	v_cmp_ngt_f32_e32 vcc_lo, 0xc2ce8ed0, v9
	v_fma_f32 v13, 0x3fb8aa3b, v9, -v11
	v_rndne_f32_e32 v14, v11
	v_fma_f32 v15, 0x3fb8aa3b, v10, -v12
	v_rndne_f32_e32 v16, v12
	v_fmac_f32_e32 v13, 0x32a5705f, v9
	v_sub_f32_e32 v11, v11, v14
	v_fmac_f32_e32 v15, 0x32a5705f, v10
	v_sub_f32_e32 v12, v12, v16
	v_add_f32_e32 v11, v11, v13
	v_cvt_i32_f32_e32 v13, v14
	v_add_f32_e32 v12, v12, v15
	v_cvt_i32_f32_e32 v14, v16
	v_exp_f32_e32 v11, v11
	v_exp_f32_e32 v12, v12
	v_ldexp_f32 v11, v11, v13
	v_ldexp_f32 v12, v12, v14
	v_cndmask_b32_e32 v11, 0, v11, vcc_lo
	v_cmp_ngt_f32_e32 vcc_lo, 0xc2ce8ed0, v10
	v_cndmask_b32_e32 v12, 0, v12, vcc_lo
	v_cmp_nlt_f32_e32 vcc_lo, 0x42b17218, v9
	v_cndmask_b32_e32 v11, 0x7f800000, v11, vcc_lo
	v_cmp_nlt_f32_e32 vcc_lo, 0x42b17218, v10
	v_cndmask_b32_e32 v12, 0x7f800000, v12, vcc_lo
	v_cmp_le_f32_e32 vcc_lo, 0xc1a00000, v9
	v_cndmask_b32_e32 v9, 0, v11, vcc_lo
	v_cmp_le_f32_e32 vcc_lo, 0xc1a00000, v10
	v_cndmask_b32_e32 v10, 0, v12, vcc_lo
	s_waitcnt vmcnt(0)
	v_mul_f32_e32 v8, v8, v9
	v_mul_f32_e32 v9, s7, v9
	v_fmac_f32_e32 v8, v5, v10
	v_fmac_f32_e32 v9, v4, v10
	s_cbranch_execz .LBB58_19
.LBB58_17:                              ;   in Loop: Header=BB58_9 Depth=1
	s_andn2_b32 vcc_lo, exec_lo, s5
	s_cbranch_vccnz .LBB58_20
	s_branch .LBB58_23
.LBB58_18:                              ;   in Loop: Header=BB58_9 Depth=1
	s_andn2_b32 vcc_lo, exec_lo, s6
	s_cbranch_vccnz .LBB58_17
.LBB58_19:                              ;   in Loop: Header=BB58_9 Depth=1
	v_mov_b32_e32 v9, v4
	v_mov_b32_e32 v7, v6
	s_waitcnt vmcnt(0)
	v_mov_b32_e32 v8, v5
	s_add_i32 s1, s17, -1
	s_mov_b32 s20, s10
	s_cbranch_execz .LBB58_23
.LBB58_20:                              ;   in Loop: Header=BB58_9 Depth=1
	v_mov_b32_e32 v4, v9
	v_mov_b32_e32 v6, v7
	s_waitcnt vmcnt(0)
	v_mov_b32_e32 v5, v8
	s_mov_b32 s10, s20
	s_mov_b32 s17, s1
	s_branch .LBB58_9
.LBB58_21:
                                        ; implicit-def: $sgpr10_sgpr11
	s_load_dwordx4 s[12:15], s[4:5], 0x44
	s_branch .LBB58_2
.LBB58_22:
                                        ; implicit-def: $sgpr18_sgpr19
	s_branch .LBB58_5
.LBB58_23:
	v_div_scale_f32 v0, null, v9, v9, v8
	v_rcp_f32_e32 v3, v0
	v_fma_f32 v4, -v0, v3, 1.0
	v_fmac_f32_e32 v3, v4, v3
	v_div_scale_f32 v4, vcc_lo, v8, v9, v8
	s_waitcnt vmcnt(0)
	v_mul_f32_e32 v5, v4, v3
	v_fma_f32 v6, -v0, v5, v4
	v_fmac_f32_e32 v5, v6, v3
	v_fma_f32 v0, -v0, v5, v4
	v_div_fmas_f32 v0, v0, v3, v5
	v_div_fixup_f32 v0, v0, v9, v8
	global_store_dword v[1:2], v0, off
.LBB58_24:
	s_endpgm
	.section	.rodata,"a",@progbits
	.p2align	6, 0x0
	.amdhsa_kernel _ZL33flash_attn_stream_k_fixup_generalILi112ELi32ELi1EEvPfPK15HIP_vector_typeIfLj2EEiiiiS1_IjLj3EES5_S5_S5_
		.amdhsa_group_segment_fixed_size 0
		.amdhsa_private_segment_fixed_size 0
		.amdhsa_kernarg_size 336
		.amdhsa_user_sgpr_count 6
		.amdhsa_user_sgpr_private_segment_buffer 1
		.amdhsa_user_sgpr_dispatch_ptr 0
		.amdhsa_user_sgpr_queue_ptr 0
		.amdhsa_user_sgpr_kernarg_segment_ptr 1
		.amdhsa_user_sgpr_dispatch_id 0
		.amdhsa_user_sgpr_flat_scratch_init 0
		.amdhsa_user_sgpr_private_segment_size 0
		.amdhsa_wavefront_size32 1
		.amdhsa_uses_dynamic_stack 0
		.amdhsa_system_sgpr_private_segment_wavefront_offset 0
		.amdhsa_system_sgpr_workgroup_id_x 1
		.amdhsa_system_sgpr_workgroup_id_y 1
		.amdhsa_system_sgpr_workgroup_id_z 1
		.amdhsa_system_sgpr_workgroup_info 0
		.amdhsa_system_vgpr_workitem_id 0
		.amdhsa_next_free_vgpr 17
		.amdhsa_next_free_sgpr 31
		.amdhsa_reserve_vcc 1
		.amdhsa_reserve_flat_scratch 0
		.amdhsa_float_round_mode_32 0
		.amdhsa_float_round_mode_16_64 0
		.amdhsa_float_denorm_mode_32 3
		.amdhsa_float_denorm_mode_16_64 3
		.amdhsa_dx10_clamp 1
		.amdhsa_ieee_mode 1
		.amdhsa_fp16_overflow 0
		.amdhsa_workgroup_processor_mode 1
		.amdhsa_memory_ordered 1
		.amdhsa_forward_progress 1
		.amdhsa_shared_vgpr_count 0
		.amdhsa_exception_fp_ieee_invalid_op 0
		.amdhsa_exception_fp_denorm_src 0
		.amdhsa_exception_fp_ieee_div_zero 0
		.amdhsa_exception_fp_ieee_overflow 0
		.amdhsa_exception_fp_ieee_underflow 0
		.amdhsa_exception_fp_ieee_inexact 0
		.amdhsa_exception_int_div_zero 0
	.end_amdhsa_kernel
	.section	.text._ZL33flash_attn_stream_k_fixup_generalILi112ELi32ELi1EEvPfPK15HIP_vector_typeIfLj2EEiiiiS1_IjLj3EES5_S5_S5_,"axG",@progbits,_ZL33flash_attn_stream_k_fixup_generalILi112ELi32ELi1EEvPfPK15HIP_vector_typeIfLj2EEiiiiS1_IjLj3EES5_S5_S5_,comdat
.Lfunc_end58:
	.size	_ZL33flash_attn_stream_k_fixup_generalILi112ELi32ELi1EEvPfPK15HIP_vector_typeIfLj2EEiiiiS1_IjLj3EES5_S5_S5_, .Lfunc_end58-_ZL33flash_attn_stream_k_fixup_generalILi112ELi32ELi1EEvPfPK15HIP_vector_typeIfLj2EEiiiiS1_IjLj3EES5_S5_S5_
                                        ; -- End function
	.set _ZL33flash_attn_stream_k_fixup_generalILi112ELi32ELi1EEvPfPK15HIP_vector_typeIfLj2EEiiiiS1_IjLj3EES5_S5_S5_.num_vgpr, 17
	.set _ZL33flash_attn_stream_k_fixup_generalILi112ELi32ELi1EEvPfPK15HIP_vector_typeIfLj2EEiiiiS1_IjLj3EES5_S5_S5_.num_agpr, 0
	.set _ZL33flash_attn_stream_k_fixup_generalILi112ELi32ELi1EEvPfPK15HIP_vector_typeIfLj2EEiiiiS1_IjLj3EES5_S5_S5_.numbered_sgpr, 31
	.set _ZL33flash_attn_stream_k_fixup_generalILi112ELi32ELi1EEvPfPK15HIP_vector_typeIfLj2EEiiiiS1_IjLj3EES5_S5_S5_.num_named_barrier, 0
	.set _ZL33flash_attn_stream_k_fixup_generalILi112ELi32ELi1EEvPfPK15HIP_vector_typeIfLj2EEiiiiS1_IjLj3EES5_S5_S5_.private_seg_size, 0
	.set _ZL33flash_attn_stream_k_fixup_generalILi112ELi32ELi1EEvPfPK15HIP_vector_typeIfLj2EEiiiiS1_IjLj3EES5_S5_S5_.uses_vcc, 1
	.set _ZL33flash_attn_stream_k_fixup_generalILi112ELi32ELi1EEvPfPK15HIP_vector_typeIfLj2EEiiiiS1_IjLj3EES5_S5_S5_.uses_flat_scratch, 0
	.set _ZL33flash_attn_stream_k_fixup_generalILi112ELi32ELi1EEvPfPK15HIP_vector_typeIfLj2EEiiiiS1_IjLj3EES5_S5_S5_.has_dyn_sized_stack, 0
	.set _ZL33flash_attn_stream_k_fixup_generalILi112ELi32ELi1EEvPfPK15HIP_vector_typeIfLj2EEiiiiS1_IjLj3EES5_S5_S5_.has_recursion, 0
	.set _ZL33flash_attn_stream_k_fixup_generalILi112ELi32ELi1EEvPfPK15HIP_vector_typeIfLj2EEiiiiS1_IjLj3EES5_S5_S5_.has_indirect_call, 0
	.section	.AMDGPU.csdata,"",@progbits
; Kernel info:
; codeLenInByte = 2940
; TotalNumSgprs: 33
; NumVgprs: 17
; ScratchSize: 0
; MemoryBound: 0
; FloatMode: 240
; IeeeMode: 1
; LDSByteSize: 0 bytes/workgroup (compile time only)
; SGPRBlocks: 0
; VGPRBlocks: 2
; NumSGPRsForWavesPerEU: 33
; NumVGPRsForWavesPerEU: 17
; Occupancy: 16
; WaveLimiterHint : 0
; COMPUTE_PGM_RSRC2:SCRATCH_EN: 0
; COMPUTE_PGM_RSRC2:USER_SGPR: 6
; COMPUTE_PGM_RSRC2:TRAP_HANDLER: 0
; COMPUTE_PGM_RSRC2:TGID_X_EN: 1
; COMPUTE_PGM_RSRC2:TGID_Y_EN: 1
; COMPUTE_PGM_RSRC2:TGID_Z_EN: 1
; COMPUTE_PGM_RSRC2:TIDIG_COMP_CNT: 0
	.section	.text._ZL15flash_attn_tileILi112ELi112ELi16ELi1ELb0EEvPKcS1_S1_S1_S1_PKiPfP15HIP_vector_typeIfLj2EEffffjfiS5_IjLj3EEiiiiiiiiiiiliiliiiiil,"axG",@progbits,_ZL15flash_attn_tileILi112ELi112ELi16ELi1ELb0EEvPKcS1_S1_S1_S1_PKiPfP15HIP_vector_typeIfLj2EEffffjfiS5_IjLj3EEiiiiiiiiiiiliiliiiiil,comdat
	.globl	_ZL15flash_attn_tileILi112ELi112ELi16ELi1ELb0EEvPKcS1_S1_S1_S1_PKiPfP15HIP_vector_typeIfLj2EEffffjfiS5_IjLj3EEiiiiiiiiiiiliiliiiiil ; -- Begin function _ZL15flash_attn_tileILi112ELi112ELi16ELi1ELb0EEvPKcS1_S1_S1_S1_PKiPfP15HIP_vector_typeIfLj2EEffffjfiS5_IjLj3EEiiiiiiiiiiiliiliiiiil
	.p2align	8
	.type	_ZL15flash_attn_tileILi112ELi112ELi16ELi1ELb0EEvPKcS1_S1_S1_S1_PKiPfP15HIP_vector_typeIfLj2EEffffjfiS5_IjLj3EEiiiiiiiiiiiliiliiiiil,@function
_ZL15flash_attn_tileILi112ELi112ELi16ELi1ELb0EEvPKcS1_S1_S1_S1_PKiPfP15HIP_vector_typeIfLj2EEffffjfiS5_IjLj3EEiiiiiiiiiiiliiliiiiil: ; @_ZL15flash_attn_tileILi112ELi112ELi16ELi1ELb0EEvPKcS1_S1_S1_S1_PKiPfP15HIP_vector_typeIfLj2EEffffjfiS5_IjLj3EEiiiiiiiiiiiliiliiiiil
; %bb.0:
	s_add_u32 s6, s6, s11
	s_addc_u32 s7, s7, 0
	s_setreg_b32 hwreg(HW_REG_FLAT_SCR_LO), s6
	s_setreg_b32 hwreg(HW_REG_FLAT_SCR_HI), s7
	s_clause 0x1
	s_load_dwordx4 s[28:31], s[4:5], 0x5c
	s_load_dwordx2 s[42:43], s[4:5], 0x80
	s_add_u32 s0, s0, s11
	s_addc_u32 s1, s1, 0
	s_mov_b32 s34, s9
	s_mov_b64 s[40:41], 0
	s_waitcnt lgkmcnt(0)
	v_cvt_f32_u32_e32 v2, s31
	s_sub_i32 s7, 0, s31
	v_rcp_iflag_f32_e32 v2, v2
	v_mul_f32_e32 v2, 0x4f7ffffe, v2
	v_cvt_u32_f32_e32 v2, v2
	v_readfirstlane_b32 s6, v2
	s_mul_i32 s7, s7, s6
	s_mul_hi_u32 s7, s6, s7
	s_add_i32 s6, s6, s7
	s_mul_hi_u32 s6, s10, s6
	s_mul_i32 s7, s6, s31
	s_add_i32 s9, s6, 1
	s_sub_i32 s7, s10, s7
	s_sub_i32 s11, s7, s31
	s_cmp_ge_u32 s7, s31
	s_cselect_b32 s6, s9, s6
	s_cselect_b32 s7, s11, s7
	s_add_i32 s9, s6, 1
	s_cmp_ge_u32 s7, s31
	s_cselect_b32 s33, s9, s6
	s_abs_i32 s6, s43
	s_abs_i32 s11, s31
	v_cvt_f32_u32_e32 v2, s6
	s_sub_i32 s9, 0, s6
	v_rcp_iflag_f32_e32 v2, v2
	v_mul_f32_e32 v2, 0x4f7ffffe, v2
	v_cvt_u32_f32_e32 v2, v2
	v_readfirstlane_b32 s7, v2
	s_mul_i32 s9, s9, s7
	s_mul_hi_u32 s9, s7, s9
	s_add_i32 s7, s7, s9
	s_xor_b32 s9, s31, s43
	s_mul_hi_u32 s7, s11, s7
	s_ashr_i32 s9, s9, 31
	s_mul_i32 s12, s7, s6
	s_sub_i32 s11, s11, s12
	s_add_i32 s12, s7, 1
	s_sub_i32 s13, s11, s6
	s_cmp_ge_u32 s11, s6
	s_cselect_b32 s7, s12, s7
	s_cselect_b32 s11, s13, s11
	s_add_i32 s12, s7, 1
	s_cmp_ge_u32 s11, s6
	s_cselect_b32 s6, s12, s7
	s_clause 0x1
	s_load_dwordx16 s[12:27], s[4:5], 0x0
	s_load_dwordx2 s[44:45], s[4:5], 0xb8
	s_xor_b32 s6, s6, s9
	s_sub_i32 s43, s6, s9
	s_mul_i32 s6, s33, s31
	s_abs_i32 s46, s43
	v_cvt_f32_u32_e32 v2, s46
	s_sub_i32 s7, 0, s46
	v_rcp_iflag_f32_e32 v2, v2
	s_waitcnt lgkmcnt(0)
	s_cmp_eq_u64 s[18:19], 0
	v_mul_f32_e32 v2, 0x4f7ffffe, v2
	v_cvt_u32_f32_e32 v2, v2
	v_readfirstlane_b32 s11, v2
	s_mul_i32 s7, s7, s11
	s_cbranch_scc1 .LBB59_2
; %bb.1:
	s_abs_i32 s9, s44
	s_abs_i32 s38, s33
	v_cvt_f32_u32_e32 v2, s9
	s_sub_i32 s36, 0, s9
	v_rcp_iflag_f32_e32 v2, v2
	v_mul_f32_e32 v2, 0x4f7ffffe, v2
	v_cvt_u32_f32_e32 v2, v2
	v_readfirstlane_b32 s35, v2
	s_mul_i32 s36, s36, s35
	s_mul_hi_u32 s36, s35, s36
	s_add_i32 s35, s35, s36
	s_load_dwordx2 s[36:37], s[4:5], 0xc8
	s_mul_hi_u32 s35, s38, s35
	s_mul_i32 s35, s35, s9
	s_sub_i32 s35, s38, s35
	s_ashr_i32 s38, s33, 31
	s_sub_i32 s39, s35, s9
	s_cmp_ge_u32 s35, s9
	s_cselect_b32 s35, s39, s35
	s_sub_i32 s39, s35, s9
	s_cmp_ge_u32 s35, s9
	s_cselect_b32 s9, s39, s35
	s_xor_b32 s9, s9, s38
	s_sub_i32 s9, s9, s38
	s_ashr_i32 s35, s9, 31
	s_waitcnt lgkmcnt(0)
	s_mul_hi_u32 s38, s36, s9
	s_mul_i32 s35, s36, s35
	s_mul_i32 s37, s37, s9
	s_add_i32 s35, s38, s35
	s_mul_i32 s9, s36, s9
	s_add_i32 s35, s35, s37
	s_add_u32 s40, s18, s9
	s_addc_u32 s41, s19, s35
.LBB59_2:
	s_clause 0x1
	s_load_dwordx4 s[36:39], s[4:5], 0x40
	s_load_dword s9, s[4:5], 0x50
	v_mov_b32_e32 v76, 1.0
	s_sub_i32 s18, s10, s6
	s_mul_hi_u32 s10, s11, s7
	s_waitcnt lgkmcnt(0)
	v_cmp_le_f32_e64 s19, s37, 0
	s_and_b32 vcc_lo, exec_lo, s19
	s_cbranch_vccnz .LBB59_4
; %bb.3:
	v_sub_co_u32 v3, vcc_lo, s18, s9
	v_mov_b32_e32 v2, s38
	s_add_i32 s6, s18, 1
	v_lshlrev_b32_e32 v3, 1, v3
	v_cndmask_b32_e32 v2, s39, v2, vcc_lo
	v_or_b32_e32 v3, 1, v3
	v_cndmask_b32_e64 v3, v3, s6, vcc_lo
	v_cmp_neq_f32_e32 vcc_lo, 1.0, v2
	s_mov_b32 s6, 0x3e76c4e1
	v_cvt_f32_i32_e32 v3, v3
	v_cndmask_b32_e32 v4, 1.0, v3, vcc_lo
	v_cmp_neq_f32_e32 vcc_lo, 0, v4
	v_cndmask_b32_e32 v5, 1.0, v2, vcc_lo
	v_frexp_mant_f32_e64 v2, |v5|
	v_cmp_eq_f32_e64 s9, 0, v5
	v_cmp_gt_f32_e32 vcc_lo, 0x3f2aaaab, v2
	v_cndmask_b32_e64 v3, 1.0, 2.0, vcc_lo
	v_mul_f32_e32 v2, v2, v3
	v_add_f32_e32 v3, 1.0, v2
	v_add_f32_e32 v7, -1.0, v2
	v_rcp_f32_e32 v6, v3
	v_add_f32_e32 v9, -1.0, v3
	v_sub_f32_e32 v2, v2, v9
	v_mul_f32_e32 v8, v7, v6
	v_mul_f32_e32 v10, v3, v8
	v_fma_f32 v3, v8, v3, -v10
	v_fmac_f32_e32 v3, v8, v2
	v_add_f32_e32 v2, v10, v3
	v_sub_f32_e32 v9, v7, v2
	v_sub_f32_e32 v10, v2, v10
	;; [unrolled: 1-line block ×5, first 2 shown]
	v_add_f32_e32 v2, v3, v2
	v_add_f32_e32 v2, v9, v2
	v_mul_f32_e32 v2, v6, v2
	v_add_f32_e32 v6, v8, v2
	v_sub_f32_e32 v3, v6, v8
	v_mul_f32_e32 v7, v6, v6
	v_sub_f32_e32 v8, v2, v3
	v_fma_f32 v2, v6, v6, -v7
	v_add_f32_e32 v3, v8, v8
	v_fmac_f32_e32 v2, v6, v3
	v_add_f32_e32 v9, v7, v2
	v_fmaak_f32 v3, s6, v9, 0x3e91f4c4
	v_sub_f32_e32 v7, v9, v7
	v_mul_f32_e32 v14, v6, v9
	v_fmaak_f32 v3, v9, v3, 0x3ecccdef
	v_sub_f32_e32 v7, v2, v7
	v_fma_f32 v15, v9, v6, -v14
	v_mul_f32_e32 v10, v9, v3
	v_fmac_f32_e32 v15, v9, v8
	v_ldexp_f32 v8, v8, 1
	v_fma_f32 v11, v9, v3, -v10
	v_fmac_f32_e32 v15, v7, v6
	v_fmac_f32_e32 v11, v7, v3
	v_cvt_f64_f32_e64 v[2:3], |v5|
	v_add_f32_e32 v12, v10, v11
	v_sub_f32_e32 v10, v12, v10
	v_add_f32_e32 v13, 0x3f2aaaaa, v12
	v_sub_f32_e32 v10, v11, v10
	v_add_f32_e32 v11, 0xbf2aaaaa, v13
	v_add_f32_e32 v10, 0x31739010, v10
	v_sub_f32_e32 v11, v12, v11
	v_frexp_exp_i32_f64_e32 v2, v[2:3]
	v_add_f32_e32 v9, v10, v11
	v_add_f32_e32 v10, v14, v15
	;; [unrolled: 1-line block ×3, first 2 shown]
	v_sub_f32_e32 v12, v10, v14
	v_sub_f32_e32 v3, v13, v7
	v_mul_f32_e32 v11, v10, v7
	v_sub_f32_e32 v12, v15, v12
	v_add_f32_e32 v3, v9, v3
	v_fma_f32 v9, v10, v7, -v11
	v_subrev_co_ci_u32_e64 v2, null, 0, v2, vcc_lo
	v_fmac_f32_e32 v9, v10, v3
	v_ldexp_f32 v3, v6, 1
	v_cvt_f32_i32_e32 v2, v2
	v_fmac_f32_e32 v9, v12, v7
	v_add_f32_e32 v6, v11, v9
	v_add_f32_e32 v7, v3, v6
	v_sub_f32_e32 v10, v6, v11
	v_mul_f32_e32 v11, 0x3f317218, v2
	v_sub_f32_e32 v3, v7, v3
	v_sub_f32_e32 v9, v9, v10
	v_fma_f32 v10, 0x3f317218, v2, -v11
	v_sub_f32_e32 v3, v6, v3
	v_add_f32_e32 v6, v8, v9
	v_fmamk_f32 v2, v2, 0xb102e308, v10
	v_add_f32_e32 v3, v6, v3
	v_add_f32_e32 v6, v11, v2
	;; [unrolled: 1-line block ×3, first 2 shown]
	v_sub_f32_e32 v11, v6, v11
	v_add_f32_e32 v9, v6, v8
	v_sub_f32_e32 v7, v8, v7
	v_sub_f32_e32 v2, v2, v11
	;; [unrolled: 1-line block ×6, first 2 shown]
	v_add_f32_e32 v8, v2, v3
	v_sub_f32_e32 v6, v6, v12
	v_add_f32_e32 v6, v7, v6
	v_sub_f32_e32 v7, v8, v2
	;; [unrolled: 2-line block ×3, first 2 shown]
	v_sub_f32_e32 v3, v3, v7
	v_add_f32_e32 v10, v9, v6
	v_sub_f32_e32 v2, v2, v8
	v_sub_f32_e32 v7, v10, v9
	v_add_f32_e32 v2, v3, v2
	v_sub_f32_e32 v3, v6, v7
	v_add_f32_e32 v2, v2, v3
	v_add_f32_e32 v3, v10, v2
	v_sub_f32_e32 v6, v3, v10
	v_mul_f32_e32 v7, v4, v3
	v_sub_f32_e32 v2, v2, v6
	v_fma_f32 v3, v4, v3, -v7
	v_cmp_class_f32_e64 vcc_lo, v7, 0x204
	v_fmac_f32_e32 v3, v4, v2
	v_add_f32_e32 v2, v7, v3
	v_cndmask_b32_e32 v6, v2, v7, vcc_lo
	v_sub_f32_e32 v2, v2, v7
	v_cmp_eq_f32_e32 vcc_lo, 0x42b17218, v6
	v_sub_f32_e32 v2, v3, v2
	v_cndmask_b32_e64 v8, 0, 0x37000000, vcc_lo
	v_cmp_neq_f32_e64 vcc_lo, 0x7f800000, |v6|
	v_sub_f32_e32 v9, v6, v8
	v_cndmask_b32_e32 v2, 0, v2, vcc_lo
	v_trunc_f32_e32 v6, v4
	v_mul_f32_e32 v10, 0x3fb8aa3b, v9
	v_cmp_ngt_f32_e32 vcc_lo, 0xc2ce8ed0, v9
	v_add_f32_e32 v2, v8, v2
	v_fma_f32 v11, 0x3fb8aa3b, v9, -v10
	v_rndne_f32_e32 v12, v10
	v_fmamk_f32 v11, v9, 0x32a5705f, v11
	v_sub_f32_e32 v10, v10, v12
	v_cvt_i32_f32_e32 v7, v12
	v_add_f32_e32 v10, v10, v11
	v_exp_f32_e32 v10, v10
	v_ldexp_f32 v3, v10, v7
	v_mul_f32_e32 v7, 0.5, v4
	v_cndmask_b32_e32 v3, 0, v3, vcc_lo
	v_cmp_nlt_f32_e32 vcc_lo, 0x42b17218, v9
	v_trunc_f32_e32 v10, v7
	v_cndmask_b32_e32 v3, 0x7f800000, v3, vcc_lo
	v_cmp_eq_f32_e32 vcc_lo, v6, v4
	v_cmp_neq_f32_e64 s6, v10, v7
	v_fma_f32 v2, v3, v2, v3
	v_cmp_class_f32_e64 s7, v3, 0x204
	s_and_b32 s6, vcc_lo, s6
	v_cndmask_b32_e64 v6, 1.0, v5, s6
	v_cndmask_b32_e64 v2, v2, v3, s7
	v_cmp_gt_f32_e64 s7, 0, v4
	v_bfi_b32 v2, 0x7fffffff, v2, v6
	s_xor_b32 s7, s7, s9
	v_cndmask_b32_e64 v6, 0, v5, s6
	v_cndmask_b32_e64 v3, 0x7f800000, 0, s7
	v_cmp_class_f32_e64 s6, v5, 0x204
	v_cndmask_b32_e32 v4, 0x7fc00000, v2, vcc_lo
	v_cmp_gt_f32_e32 vcc_lo, 0, v5
	v_bfi_b32 v3, 0x7fffffff, v3, v6
	v_cndmask_b32_e32 v2, v2, v4, vcc_lo
	s_or_b32 vcc_lo, s9, s6
	v_cndmask_b32_e32 v2, v2, v3, vcc_lo
	v_cmp_o_f32_e32 vcc_lo, v5, v5
	v_cndmask_b32_e32 v76, 0x7fc00000, v2, vcc_lo
.LBB59_4:
	s_load_dwordx4 s[48:51], s[4:5], 0x70
	s_add_i32 s9, s11, s10
	s_abs_i32 s7, s18
	s_lshl_b32 s35, s8, 4
	v_lshlrev_b32_e32 v3, 4, v0
	v_lshlrev_b32_e32 v69, 3, v0
	;; [unrolled: 1-line block ×3, first 2 shown]
	v_cmp_gt_u32_e64 s6, 28, v0
	v_add_nc_u32_e32 v2, 0x1040, v69
	v_add_nc_u32_e32 v68, s35, v67
	s_waitcnt lgkmcnt(0)
	s_mul_i32 s10, s33, s50
	s_mul_i32 s11, s18, s49
	s_ashr_i32 s19, s10, 31
	s_add_u32 s10, s12, s10
	s_addc_u32 s12, s13, s19
	s_ashr_i32 s13, s11, 31
	s_add_u32 s10, s10, s11
	s_addc_u32 s11, s12, s13
	v_add_co_u32 v3, s10, s10, v3
	v_add_co_ci_u32_e64 v4, null, s11, 0, s10
	s_ashr_i32 s49, s48, 31
	s_lshr_b64 s[10:11], s[48:49], 2
	s_and_saveexec_b32 s12, s6
	s_cbranch_execz .LBB59_6
; %bb.5:
	v_mul_hi_u32 v5, v68, s28
	v_mad_u32_u24 v9, 0x1c0, v1, v2
	v_add_nc_u32_e32 v5, v68, v5
	v_lshrrev_b32_e32 v5, s29, v5
	v_mul_lo_u32 v5, v5, s30
	v_sub_nc_u32_e32 v7, v68, v5
	v_mad_u64_u32 v[5:6], null, s10, v7, 0
	v_mad_u64_u32 v[6:7], null, s11, v7, v[6:7]
	v_lshlrev_b64 v[5:6], 2, v[5:6]
	v_add_co_u32 v5, vcc_lo, v3, v5
	v_add_co_ci_u32_e64 v6, null, v4, v6, vcc_lo
	global_load_dwordx4 v[5:8], v[5:6], off
	s_waitcnt vmcnt(0)
	v_fma_mixlo_f16 v6, s36, v6, 0
	v_fma_mixlo_f16 v5, s36, v5, 0
	;; [unrolled: 1-line block ×4, first 2 shown]
	v_lshlrev_b32_e32 v6, 16, v6
	v_and_b32_e32 v5, 0xffff, v5
	v_and_b32_e32 v7, 0xffff, v7
	v_lshlrev_b32_e32 v8, 16, v8
	v_or_b32_e32 v5, v6, v5
	v_or3_b32 v6, v8, v7, 0
	v_or3_b32 v5, 0, 0, v5
	ds_write_b64 v9, v[5:6]
.LBB59_6:
	s_or_b32 exec_lo, exec_lo, s12
	v_or_b32_e32 v65, 1, v67
	s_mul_hi_u32 s12, s7, s9
	v_add_nc_u32_e32 v66, s35, v65
	s_and_saveexec_b32 s9, s6
	s_cbranch_execz .LBB59_8
; %bb.7:
	v_mul_hi_u32 v5, v66, s28
	v_add_nc_u32_e32 v5, v66, v5
	v_lshrrev_b32_e32 v5, s29, v5
	v_mul_lo_u32 v5, v5, s30
	v_sub_nc_u32_e32 v7, v66, v5
	v_mad_u64_u32 v[5:6], null, s10, v7, 0
	v_mad_u64_u32 v[6:7], null, s11, v7, v[6:7]
	v_mad_u32_u24 v7, 0xe0, v65, v2
	v_lshlrev_b64 v[5:6], 2, v[5:6]
	v_add_co_u32 v3, vcc_lo, v3, v5
	v_add_co_ci_u32_e64 v4, null, v4, v6, vcc_lo
	global_load_dwordx4 v[3:6], v[3:4], off
	s_waitcnt vmcnt(0)
	v_fma_mixlo_f16 v4, s36, v4, 0
	v_fma_mixlo_f16 v3, s36, v3, 0
	;; [unrolled: 1-line block ×4, first 2 shown]
	v_lshlrev_b32_e32 v4, 16, v4
	v_and_b32_e32 v3, 0xffff, v3
	v_and_b32_e32 v5, 0xffff, v5
	v_lshlrev_b32_e32 v6, 16, v6
	v_or_b32_e32 v4, v4, v3
	v_or3_b32 v3, v6, v5, 0
	v_or3_b32 v2, 0, 0, v4
	ds_write_b64 v7, v[2:3]
.LBB59_8:
	s_or_b32 exec_lo, exec_lo, s9
	s_ashr_i32 s19, s18, 31
	s_ashr_i32 s13, s43, 31
	s_cmp_eq_u64 s[22:23], 0
	s_waitcnt lgkmcnt(0)
	s_barrier
	buffer_gl0_inv
	s_cbranch_scc1 .LBB59_10
; %bb.9:
	s_load_dword s9, s[4:5], 0xd0
	s_waitcnt lgkmcnt(0)
	s_mul_i32 s9, s9, s33
	s_add_i32 s8, s9, s8
	s_mov_b32 s9, 0
	s_lshl_b64 s[8:9], s[8:9], 2
	s_add_u32 s8, s22, s8
	s_addc_u32 s9, s23, s9
	s_load_dword s42, s[8:9], 0x0
.LBB59_10:
	s_clause 0x1
	s_load_dwordx2 s[22:23], s[4:5], 0x8c
	s_load_dwordx4 s[8:11], s[4:5], 0x98
	s_ashr_i32 s37, s33, 31
	s_load_dwordx2 s[38:39], s[4:5], 0xa8
	s_ashr_i32 s43, s45, 1
	s_mul_i32 s45, s12, s46
	v_lshlrev_b32_e32 v50, 2, v0
	v_lshl_add_u32 v86, v1, 5, v0
	v_lshrrev_b32_e32 v85, 1, v0
	v_lshrrev_b32_e32 v83, 2, v0
	v_lshlrev_b32_e32 v82, 7, v0
	v_and_b32_e32 v79, 4, v50
	v_and_b32_e32 v84, 12, v50
	v_lshl_add_u32 v71, v1, 7, 0x1e40
	v_lshrrev_b32_e32 v78, 3, v0
	v_and_b32_e32 v77, 28, v50
	v_mbcnt_lo_u32_b32 v70, -1, 0
	s_waitcnt lgkmcnt(0)
	s_ashr_i32 s44, s22, 2
	s_ashr_i32 s36, s10, 2
	s_mul_hi_u32 s10, s8, s33
	s_mul_i32 s22, s8, s37
	s_mul_i32 s9, s9, s33
	s_add_i32 s10, s10, s22
	s_mul_i32 s8, s8, s33
	s_add_i32 s10, s10, s9
	s_add_u32 s8, s14, s8
	s_addc_u32 s9, s15, s10
	s_sub_i32 s7, s7, s45
	s_xor_b32 s10, s19, s13
	s_add_i32 s13, s12, 1
	s_sub_i32 s14, s7, s46
	s_cmp_ge_u32 s7, s46
	s_mul_i32 s15, s38, s33
	s_cselect_b32 s12, s13, s12
	s_cselect_b32 s7, s14, s7
	s_add_i32 s13, s12, 1
	s_cmp_ge_u32 s7, s46
	s_cselect_b32 s7, s13, s12
	s_mul_hi_u32 s12, s38, s33
	s_xor_b32 s7, s7, s10
	s_mul_i32 s13, s38, s37
	s_sub_i32 s7, s7, s10
	s_mul_i32 s10, s39, s33
	s_mul_i32 s14, s7, s23
	;; [unrolled: 1-line block ×3, first 2 shown]
	s_ashr_i32 s22, s14, 31
	s_add_u32 s45, s8, s14
	s_addc_u32 s46, s9, s22
	s_add_i32 s8, s12, s13
	s_add_i32 s8, s8, s10
	s_add_u32 s9, s16, s15
	s_addc_u32 s8, s17, s8
	s_ashr_i32 s10, s7, 31
	s_add_u32 s37, s9, s7
	s_addc_u32 s38, s8, s10
	s_lshl_b32 s39, s34, 5
	s_sub_i32 s17, s42, 32
	s_cmp_ge_i32 s39, s17
	s_cbranch_scc1 .LBB59_42
; %bb.11:
	v_or_b32_e32 v2, 1, v68
	v_mul_hi_u32 v4, s28, v68
	v_lshl_add_u32 v9, v1, 4, v85
	v_lshl_add_u32 v10, v1, 3, v83
	v_lshlrev_b32_e32 v11, 2, v79
	v_mul_hi_u32 v5, s28, v2
	s_movk_i32 s8, 0x1c0
	v_lshlrev_b32_e32 v8, 7, v9
	v_mul_u32_u24_e32 v14, 0xe0, v9
	v_add_nc_u32_e32 v4, v68, v4
	v_mul_lo_u32 v3, s44, v86
	v_mad_u32_u24 v88, v1, s8, 0x1040
	v_cmp_gt_u32_e64 s8, 32, v9
	v_add_nc_u32_e32 v5, v2, v5
	v_lshrrev_b32_e32 v4, s29, v4
	v_mul_lo_u32 v7, s44, v10
	v_cmp_gt_u32_e64 s10, 16, v9
	v_or3_b32 v90, v8, v11, 64
	v_lshrrev_b32_e32 v6, s29, v5
	v_mul_lo_u32 v13, v4, s30
	v_mul_lo_u32 v5, s44, v9
	;; [unrolled: 1-line block ×3, first 2 shown]
	v_or_b32_e32 v14, v14, v11
	v_mul_lo_u32 v6, v6, s30
	v_mul_lo_u32 v11, s36, v10
	v_lshlrev_b32_e32 v12, 2, v84
	v_mul_u32_u24_e32 v15, 0xe0, v10
	v_sub_nc_u32_e32 v13, v68, v13
	v_cmp_gt_u32_e64 s9, 32, v10
	v_cmp_gt_u32_e64 s11, 16, v10
	v_lshl_or_b32 v89, v10, 7, v12
	v_sub_nc_u32_e32 v2, v2, v6
	v_mul_lo_u32 v91, v13, s43
	v_ashrrev_i32_e32 v4, 31, v3
	v_ashrrev_i32_e32 v6, 31, v5
	;; [unrolled: 1-line block ×3, first 2 shown]
	v_mul_lo_u32 v92, v2, s43
	v_lshl_add_u32 v2, v1, 2, v78
	v_add_nc_u32_e32 v93, 0xc0, v14
	v_ashrrev_i32_e32 v10, 31, v9
	v_add3_u32 v94, v15, v12, 0x80
	v_ashrrev_i32_e32 v12, 31, v11
	v_mul_lo_u32 v13, s36, v2
	v_lshlrev_b32_e32 v16, 2, v77
	v_lshlrev_b64 v[53:54], 2, v[3:4]
	v_lshlrev_b64 v[55:56], 2, v[5:6]
	;; [unrolled: 1-line block ×5, first 2 shown]
	v_cmp_gt_u32_e64 s7, 32, v86
	v_ashrrev_i32_e32 v14, 31, v13
	v_or_b32_e32 v87, 0x60, v82
	v_mov_b32_e32 v72, 0
	s_cmp_lg_u64 s[40:41], 0
	v_cmp_gt_u32_e64 s12, 16, v2
	v_lshlrev_b64 v[63:64], 2, v[13:14]
	v_mad_u32_u24 v95, 0xe0, v2, v16
	v_mov_b32_e32 v2, 0xfeffffff
	v_lshlrev_b32_e32 v96, 2, v79
	v_lshlrev_b32_e32 v97, 2, v84
	v_mbcnt_lo_u32_b32 v98, -1, 0
	v_mov_b32_e32 v99, 0x10001
	v_mov_b32_e32 v73, 0
	v_mov_b32_e32 v75, 0
	v_mov_b32_e32 v74, 0
	v_mov_b32_e32 v3, 0xfeffffff
	v_mov_b32_e32 v101, 0
	v_mov_b32_e32 v100, 0
	s_cselect_b32 s47, -1, 0
	s_add_u32 s22, s4, 0xd0
	s_addc_u32 s23, s5, 0
.LBB59_12:                              ; =>This Inner Loop Header: Depth=1
	s_mul_hi_i32 s15, s39, s44
	s_mul_i32 s14, s39, s44
	s_lshl_b64 s[14:15], s[14:15], 2
	s_add_u32 s13, s45, s14
	s_addc_u32 s14, s46, s15
	s_and_saveexec_b32 s15, s7
	s_cbranch_execnz .LBB59_34
; %bb.13:                               ;   in Loop: Header=BB59_12 Depth=1
	s_or_b32 exec_lo, exec_lo, s15
	s_and_saveexec_b32 s15, s8
	s_cbranch_execnz .LBB59_35
.LBB59_14:                              ;   in Loop: Header=BB59_12 Depth=1
	s_or_b32 exec_lo, exec_lo, s15
	s_and_saveexec_b32 s15, s9
	s_cbranch_execz .LBB59_16
.LBB59_15:                              ;   in Loop: Header=BB59_12 Depth=1
	v_add_co_u32 v4, vcc_lo, s13, v57
	v_add_co_ci_u32_e64 v5, null, s14, v58, vcc_lo
	v_add_co_u32 v4, vcc_lo, v4, v97
	v_add_co_ci_u32_e64 v5, null, 0, v5, vcc_lo
	global_load_dwordx4 v[4:7], v[4:5], off
	s_waitcnt vmcnt(0)
	ds_write_b128 v89, v[4:7]
.LBB59_16:                              ;   in Loop: Header=BB59_12 Depth=1
	s_or_b32 exec_lo, exec_lo, s15
	s_waitcnt lgkmcnt(0)
	s_barrier
	buffer_gl0_inv
	ds_read_b128 v[6:9], v82
	ds_read_b128 v[10:13], v88
	ds_read_b128 v[14:17], v88 offset:224
	v_mov_b32_e32 v5, 0
	v_mov_b32_e32 v4, 0
	s_waitcnt lgkmcnt(1)
	;;#ASMSTART
	v_dot2_f32_f16 v5, v6, v10, v5
	;;#ASMEND
	;;#ASMSTART
	v_dot2_f32_f16 v5, v7, v11, v5
	;;#ASMEND
	;;#ASMSTART
	v_dot2_f32_f16 v5, v8, v12, v5
	;;#ASMEND
	;;#ASMSTART
	v_dot2_f32_f16 v5, v9, v13, v5
	;;#ASMEND
	s_waitcnt lgkmcnt(0)
	;;#ASMSTART
	v_dot2_f32_f16 v4, v6, v14, v4
	;;#ASMEND
	;;#ASMSTART
	v_dot2_f32_f16 v4, v7, v15, v4
	;;#ASMEND
	;;#ASMSTART
	v_dot2_f32_f16 v4, v8, v16, v4
	;;#ASMEND
	;;#ASMSTART
	v_dot2_f32_f16 v4, v9, v17, v4
	;;#ASMEND
	ds_read_b128 v[6:9], v82 offset:16
	ds_read_b128 v[10:13], v88 offset:16
	ds_read_b128 v[14:17], v88 offset:240
	s_waitcnt lgkmcnt(1)
	;;#ASMSTART
	v_dot2_f32_f16 v5, v6, v10, v5
	;;#ASMEND
	;;#ASMSTART
	v_dot2_f32_f16 v5, v7, v11, v5
	;;#ASMEND
	;;#ASMSTART
	v_dot2_f32_f16 v5, v8, v12, v5
	;;#ASMEND
	;;#ASMSTART
	v_dot2_f32_f16 v5, v9, v13, v5
	;;#ASMEND
	s_waitcnt lgkmcnt(0)
	;;#ASMSTART
	v_dot2_f32_f16 v4, v6, v14, v4
	;;#ASMEND
	;;#ASMSTART
	v_dot2_f32_f16 v4, v7, v15, v4
	;;#ASMEND
	;;#ASMSTART
	v_dot2_f32_f16 v4, v8, v16, v4
	;;#ASMEND
	;;#ASMSTART
	v_dot2_f32_f16 v4, v9, v17, v4
	;;#ASMEND
	ds_read_b128 v[6:9], v82 offset:32
	ds_read_b128 v[10:13], v88 offset:32
	ds_read_b128 v[14:17], v88 offset:256
	;; [unrolled: 29-line block ×6, first 2 shown]
	s_waitcnt lgkmcnt(1)
	;;#ASMSTART
	v_dot2_f32_f16 v5, v6, v10, v5
	;;#ASMEND
	;;#ASMSTART
	v_dot2_f32_f16 v5, v7, v11, v5
	;;#ASMEND
	;; [unrolled: 3-line block ×4, first 2 shown]
	s_waitcnt lgkmcnt(0)
	;;#ASMSTART
	v_dot2_f32_f16 v4, v6, v14, v4
	;;#ASMEND
	;;#ASMSTART
	v_dot2_f32_f16 v4, v7, v15, v4
	;;#ASMEND
	;; [unrolled: 3-line block ×4, first 2 shown]
	s_barrier
	buffer_gl0_inv
	s_and_saveexec_b32 s15, s7
	s_cbranch_execnz .LBB59_36
; %bb.17:                               ;   in Loop: Header=BB59_12 Depth=1
	s_or_b32 exec_lo, exec_lo, s15
	s_and_saveexec_b32 s15, s8
	s_cbranch_execnz .LBB59_37
.LBB59_18:                              ;   in Loop: Header=BB59_12 Depth=1
	s_or_b32 exec_lo, exec_lo, s15
	s_and_saveexec_b32 s15, s9
	s_cbranch_execz .LBB59_20
.LBB59_19:                              ;   in Loop: Header=BB59_12 Depth=1
	v_add_co_u32 v6, vcc_lo, s13, v57
	v_add_co_ci_u32_e64 v7, null, s14, v58, vcc_lo
	v_add_co_u32 v6, vcc_lo, v6, v97
	v_add_co_ci_u32_e64 v7, null, 0, v7, vcc_lo
	global_load_dwordx4 v[6:9], v[6:7], off offset:112
	s_waitcnt vmcnt(0)
	ds_write_b128 v89, v[6:9]
.LBB59_20:                              ;   in Loop: Header=BB59_12 Depth=1
	s_or_b32 exec_lo, exec_lo, s15
	s_waitcnt lgkmcnt(0)
	s_barrier
	buffer_gl0_inv
	ds_read_b128 v[6:9], v82
	ds_read_b128 v[10:13], v88 offset:112
	ds_read_b128 v[14:17], v88 offset:336
	s_andn2_b32 vcc_lo, exec_lo, s47
	s_waitcnt lgkmcnt(1)
	;;#ASMSTART
	v_dot2_f32_f16 v5, v6, v10, v5
	;;#ASMEND
	;;#ASMSTART
	v_dot2_f32_f16 v5, v7, v11, v5
	;;#ASMEND
	;;#ASMSTART
	v_dot2_f32_f16 v5, v8, v12, v5
	;;#ASMEND
	;;#ASMSTART
	v_dot2_f32_f16 v5, v9, v13, v5
	;;#ASMEND
	s_waitcnt lgkmcnt(0)
	;;#ASMSTART
	v_dot2_f32_f16 v4, v6, v14, v4
	;;#ASMEND
	;;#ASMSTART
	v_dot2_f32_f16 v4, v7, v15, v4
	;;#ASMEND
	;;#ASMSTART
	v_dot2_f32_f16 v4, v8, v16, v4
	;;#ASMEND
	;;#ASMSTART
	v_dot2_f32_f16 v4, v9, v17, v4
	;;#ASMEND
	ds_read_b128 v[6:9], v82 offset:16
	ds_read_b128 v[10:13], v88 offset:128
	ds_read_b128 v[14:17], v88 offset:352
	s_waitcnt lgkmcnt(1)
	;;#ASMSTART
	v_dot2_f32_f16 v5, v6, v10, v5
	;;#ASMEND
	;;#ASMSTART
	v_dot2_f32_f16 v5, v7, v11, v5
	;;#ASMEND
	;;#ASMSTART
	v_dot2_f32_f16 v5, v8, v12, v5
	;;#ASMEND
	;;#ASMSTART
	v_dot2_f32_f16 v5, v9, v13, v5
	;;#ASMEND
	s_waitcnt lgkmcnt(0)
	;;#ASMSTART
	v_dot2_f32_f16 v4, v6, v14, v4
	;;#ASMEND
	;;#ASMSTART
	v_dot2_f32_f16 v4, v7, v15, v4
	;;#ASMEND
	;;#ASMSTART
	v_dot2_f32_f16 v4, v8, v16, v4
	;;#ASMEND
	;;#ASMSTART
	v_dot2_f32_f16 v4, v9, v17, v4
	;;#ASMEND
	ds_read_b128 v[6:9], v82 offset:32
	ds_read_b128 v[10:13], v88 offset:144
	ds_read_b128 v[14:17], v88 offset:368
	;; [unrolled: 29-line block ×6, first 2 shown]
	v_add_nc_u32_e32 v7, s39, v0
	v_mov_b32_e32 v6, 0
	v_mov_b32_e32 v8, 0
	s_waitcnt lgkmcnt(1)
	;;#ASMSTART
	v_dot2_f32_f16 v5, v9, v13, v5
	;;#ASMEND
	;;#ASMSTART
	v_dot2_f32_f16 v5, v10, v14, v5
	;;#ASMEND
	;; [unrolled: 3-line block ×4, first 2 shown]
	s_waitcnt lgkmcnt(0)
	;;#ASMSTART
	v_dot2_f32_f16 v4, v9, v17, v4
	;;#ASMEND
	;;#ASMSTART
	v_dot2_f32_f16 v4, v10, v18, v4
	;;#ASMEND
	;; [unrolled: 3-line block ×4, first 2 shown]
	s_cbranch_vccnz .LBB59_22
; %bb.21:                               ;   in Loop: Header=BB59_12 Depth=1
	v_add_nc_u32_e32 v8, v7, v91
	v_ashrrev_i32_e32 v9, 31, v8
	v_lshlrev_b64 v[8:9], 1, v[8:9]
	v_add_co_u32 v8, vcc_lo, s40, v8
	v_add_co_ci_u32_e64 v9, null, s41, v9, vcc_lo
	global_load_ushort v8, v[8:9], off
	s_waitcnt vmcnt(0)
	v_cvt_f32_f16_e32 v8, v8
	v_mul_f32_e32 v8, v76, v8
.LBB59_22:                              ;   in Loop: Header=BB59_12 Depth=1
	v_xor_b32_e32 v9, 16, v98
	v_add_f32_e32 v5, v5, v8
	v_max_f32_e32 v10, v2, v2
	v_xor_b32_e32 v11, 8, v98
	v_cmp_gt_i32_e32 vcc_lo, 32, v9
	v_cndmask_b32_e32 v8, v98, v9, vcc_lo
	v_add_f32_e32 v9, 0x40051340, v5
	v_cmp_gt_i32_e32 vcc_lo, 32, v11
	v_lshlrev_b32_e32 v8, 2, v8
	v_max_f32_e32 v10, v10, v9
	v_cndmask_b32_e32 v11, v98, v11, vcc_lo
	ds_bpermute_b32 v9, v8, v10
	s_waitcnt lgkmcnt(0)
	v_max_f32_e32 v12, v9, v9
	v_lshlrev_b32_e32 v9, 2, v11
	v_max_f32_e32 v11, v10, v12
	v_xor_b32_e32 v12, 4, v98
	ds_bpermute_b32 v10, v9, v11
	v_cmp_gt_i32_e32 vcc_lo, 32, v12
	v_cndmask_b32_e32 v12, v98, v12, vcc_lo
	s_waitcnt lgkmcnt(0)
	v_max_f32_e32 v13, v10, v10
	v_lshlrev_b32_e32 v10, 2, v12
	v_max_f32_e32 v12, v11, v13
	v_xor_b32_e32 v13, 2, v98
	ds_bpermute_b32 v11, v10, v12
	v_cmp_gt_i32_e32 vcc_lo, 32, v13
	v_cndmask_b32_e32 v13, v98, v13, vcc_lo
	;; [unrolled: 8-line block ×3, first 2 shown]
	s_andn2_b32 vcc_lo, exec_lo, s47
	s_waitcnt lgkmcnt(0)
	v_max_f32_e32 v15, v13, v13
	v_lshlrev_b32_e32 v13, 2, v14
	v_max_f32_e32 v12, v12, v15
	ds_bpermute_b32 v14, v13, v12
	s_cbranch_vccnz .LBB59_24
; %bb.23:                               ;   in Loop: Header=BB59_12 Depth=1
	v_add_nc_u32_e32 v6, v7, v92
	v_ashrrev_i32_e32 v7, 31, v6
	v_lshlrev_b64 v[6:7], 1, v[6:7]
	v_add_co_u32 v6, vcc_lo, s40, v6
	v_add_co_ci_u32_e64 v7, null, s41, v7, vcc_lo
	global_load_ushort v6, v[6:7], off
	s_waitcnt vmcnt(0)
	v_cvt_f32_f16_e32 v6, v6
	v_mul_f32_e32 v6, v76, v6
.LBB59_24:                              ;   in Loop: Header=BB59_12 Depth=1
	v_add_f32_e32 v4, v4, v6
	v_max_f32_e32 v6, v3, v3
	s_mul_hi_i32 s49, s39, s36
	s_mul_i32 s48, s39, s36
	s_waitcnt lgkmcnt(0)
	v_add_f32_e32 v7, 0x40051340, v4
	s_lshl_b64 s[48:49], s[48:49], 2
	s_barrier
	s_add_u32 s48, s37, s48
	s_addc_u32 s49, s38, s49
	v_max_f32_e32 v6, v6, v7
	buffer_gl0_inv
	ds_bpermute_b32 v7, v8, v6
	v_max_f32_e32 v8, v14, v14
	s_waitcnt lgkmcnt(0)
	v_max_f32_e32 v7, v7, v7
	v_max_f32_e32 v6, v6, v7
	ds_bpermute_b32 v7, v9, v6
	v_max_f32_e32 v9, v12, v12
	v_max_f32_e32 v51, v9, v8
	v_sub_f32_e32 v5, v5, v51
	v_sub_f32_e32 v103, v2, v51
	v_cmp_ngt_f32_e32 vcc_lo, 0xc2ce8ed0, v5
	v_cmp_ngt_f32_e64 s14, 0xc2ce8ed0, v103
	s_waitcnt lgkmcnt(0)
	v_max_f32_e32 v7, v7, v7
	v_max_f32_e32 v6, v6, v7
	ds_bpermute_b32 v7, v10, v6
	s_waitcnt lgkmcnt(0)
	v_max_f32_e32 v7, v7, v7
	v_max_f32_e32 v6, v6, v7
	ds_bpermute_b32 v7, v11, v6
	;; [unrolled: 4-line block ×3, first 2 shown]
	s_waitcnt lgkmcnt(0)
	v_max_f32_e32 v7, v7, v7
	v_max_f32_e32 v52, v6, v7
	v_mul_f32_e32 v6, 0x3fb8aa3b, v5
	v_sub_f32_e32 v4, v4, v52
	v_fma_f32 v8, 0x3fb8aa3b, v5, -v6
	v_rndne_f32_e32 v9, v6
	v_sub_f32_e32 v104, v3, v52
	v_mul_f32_e32 v7, 0x3fb8aa3b, v4
	v_fmac_f32_e32 v8, 0x32a5705f, v5
	v_sub_f32_e32 v6, v6, v9
	v_cmp_ngt_f32_e64 s15, 0xc2ce8ed0, v104
	v_cmp_nlt_f32_e64 s13, 0x42b17218, v104
	v_fma_f32 v10, 0x3fb8aa3b, v4, -v7
	v_rndne_f32_e32 v11, v7
	v_add_f32_e32 v6, v6, v8
	v_cvt_i32_f32_e32 v8, v9
	v_fmac_f32_e32 v10, 0x32a5705f, v4
	v_sub_f32_e32 v7, v7, v11
	v_exp_f32_e32 v6, v6
	v_cvt_i32_f32_e32 v9, v11
	v_add_f32_e32 v7, v7, v10
	v_exp_f32_e32 v7, v7
	v_ldexp_f32 v6, v6, v8
	v_cndmask_b32_e32 v6, 0, v6, vcc_lo
	v_cmp_ngt_f32_e32 vcc_lo, 0xc2ce8ed0, v4
	v_ldexp_f32 v7, v7, v9
	v_cndmask_b32_e32 v2, 0, v7, vcc_lo
	v_cmp_nlt_f32_e32 vcc_lo, 0x42b17218, v5
	v_cndmask_b32_e32 v81, 0x7f800000, v6, vcc_lo
	v_cmp_nlt_f32_e32 vcc_lo, 0x42b17218, v4
	v_add_nc_u32_e32 v4, v71, v50
	v_cndmask_b32_e32 v80, 0x7f800000, v2, vcc_lo
	v_cvt_f16_f32_e32 v2, v81
	v_cmp_nlt_f32_e32 vcc_lo, 0x42b17218, v103
	v_cvt_f16_f32_e32 v3, v80
	v_pack_b32_f16 v2, v2, v3
	ds_write_b32 v4, v2
	s_and_saveexec_b32 s50, s10
	s_cbranch_execnz .LBB59_38
; %bb.25:                               ;   in Loop: Header=BB59_12 Depth=1
	s_or_b32 exec_lo, exec_lo, s50
	s_and_saveexec_b32 s50, s11
	s_cbranch_execnz .LBB59_39
.LBB59_26:                              ;   in Loop: Header=BB59_12 Depth=1
	s_or_b32 exec_lo, exec_lo, s50
	v_lshlrev_b32_e32 v105, 2, v77
	s_and_saveexec_b32 s50, s12
	s_cbranch_execz .LBB59_28
.LBB59_27:                              ;   in Loop: Header=BB59_12 Depth=1
	v_add_co_u32 v2, s16, s48, v63
	v_add_co_ci_u32_e64 v3, null, s49, v64, s16
	v_add_co_u32 v2, s16, v2, v105
	v_add_co_ci_u32_e64 v3, null, 0, v3, s16
	global_load_dwordx4 v[2:5], v[2:3], off
	s_waitcnt vmcnt(0)
	ds_write_b128 v95, v[2:5]
.LBB59_28:                              ;   in Loop: Header=BB59_12 Depth=1
	s_or_b32 exec_lo, exec_lo, s50
	v_add_nc_u32_e32 v102, 0x800, v69
	s_waitcnt lgkmcnt(0)
	s_barrier
	buffer_gl0_inv
	ds_read2_b64 v[30:33], v69 offset1:28
	ds_read_b128 v[46:49], v71
	ds_read_b128 v[42:45], v71 offset:16
	ds_read_b128 v[38:41], v71 offset:32
	;; [unrolled: 1-line block ×3, first 2 shown]
	ds_read2_b64 v[34:37], v69 offset0:56 offset1:84
	ds_read2_b64 v[22:25], v69 offset0:112 offset1:140
	;; [unrolled: 1-line block ×7, first 2 shown]
	s_or_b32 s16, s39, 16
	s_waitcnt lgkmcnt(0)
	s_mul_hi_i32 s49, s16, s36
	s_mul_i32 s48, s16, s36
	s_barrier
	s_lshl_b64 s[48:49], s[48:49], 2
	buffer_gl0_inv
	s_add_u32 s48, s37, s48
	s_addc_u32 s49, s38, s49
	s_and_saveexec_b32 s50, s10
	s_cbranch_execnz .LBB59_40
; %bb.29:                               ;   in Loop: Header=BB59_12 Depth=1
	s_or_b32 exec_lo, exec_lo, s50
	s_and_saveexec_b32 s50, s11
	s_cbranch_execnz .LBB59_41
.LBB59_30:                              ;   in Loop: Header=BB59_12 Depth=1
	s_or_b32 exec_lo, exec_lo, s50
	s_and_saveexec_b32 s50, s12
	s_cbranch_execz .LBB59_32
.LBB59_31:                              ;   in Loop: Header=BB59_12 Depth=1
	v_add_co_u32 v106, s16, s48, v63
	v_add_co_ci_u32_e64 v107, null, s49, v64, s16
	v_add_co_u32 v105, s16, v106, v105
	v_add_co_ci_u32_e64 v106, null, 0, v107, s16
	global_load_dwordx4 v[105:108], v[105:106], off
	s_waitcnt vmcnt(0)
	ds_write_b128 v95, v[105:108]
.LBB59_32:                              ;   in Loop: Header=BB59_12 Depth=1
	s_or_b32 exec_lo, exec_lo, s50
	v_mul_f32_e32 v105, 0x3fb8aa3b, v103
	v_mul_f32_e32 v106, 0x3fb8aa3b, v104
	v_mul_u32_u24_sdwa v107, v46, v99 dst_sel:DWORD dst_unused:UNUSED_PAD src0_sel:WORD_0 src1_sel:DWORD
	v_mul_u32_u24_sdwa v46, v46, v99 dst_sel:DWORD dst_unused:UNUSED_PAD src0_sel:WORD_1 src1_sel:DWORD
	v_mul_u32_u24_sdwa v119, v26, v99 dst_sel:DWORD dst_unused:UNUSED_PAD src0_sel:WORD_0 src1_sel:DWORD
	v_fma_f32 v108, 0x3fb8aa3b, v103, -v105
	v_rndne_f32_e32 v109, v105
	v_fma_f32 v110, 0x3fb8aa3b, v104, -v106
	v_rndne_f32_e32 v111, v106
	v_mul_u32_u24_sdwa v120, v26, v99 dst_sel:DWORD dst_unused:UNUSED_PAD src0_sel:WORD_1 src1_sel:DWORD
	v_fmac_f32_e32 v108, 0x32a5705f, v103
	v_sub_f32_e32 v103, v105, v109
	v_fmac_f32_e32 v110, 0x32a5705f, v104
	v_sub_f32_e32 v104, v106, v111
	v_cvt_i32_f32_e32 v109, v109
	v_cvt_i32_f32_e32 v111, v111
	v_add_f32_e32 v103, v103, v108
	v_mul_u32_u24_sdwa v105, v47, v99 dst_sel:DWORD dst_unused:UNUSED_PAD src0_sel:WORD_0 src1_sel:DWORD
	v_add_f32_e32 v104, v104, v110
	v_mul_u32_u24_sdwa v47, v47, v99 dst_sel:DWORD dst_unused:UNUSED_PAD src0_sel:WORD_1 src1_sel:DWORD
	v_mul_u32_u24_sdwa v106, v48, v99 dst_sel:DWORD dst_unused:UNUSED_PAD src0_sel:WORD_0 src1_sel:DWORD
	v_exp_f32_e32 v103, v103
	v_mul_u32_u24_sdwa v48, v48, v99 dst_sel:DWORD dst_unused:UNUSED_PAD src0_sel:WORD_1 src1_sel:DWORD
	v_exp_f32_e32 v104, v104
	v_mul_u32_u24_sdwa v121, v27, v99 dst_sel:DWORD dst_unused:UNUSED_PAD src0_sel:WORD_0 src1_sel:DWORD
	v_mul_u32_u24_sdwa v108, v49, v99 dst_sel:DWORD dst_unused:UNUSED_PAD src0_sel:WORD_0 src1_sel:DWORD
	v_mul_u32_u24_sdwa v49, v49, v99 dst_sel:DWORD dst_unused:UNUSED_PAD src0_sel:WORD_1 src1_sel:DWORD
	v_mul_u32_u24_sdwa v110, v42, v99 dst_sel:DWORD dst_unused:UNUSED_PAD src0_sel:WORD_0 src1_sel:DWORD
	v_mul_u32_u24_sdwa v42, v42, v99 dst_sel:DWORD dst_unused:UNUSED_PAD src0_sel:WORD_1 src1_sel:DWORD
	;; [unrolled: 2-line block ×3, first 2 shown]
	v_ldexp_f32 v103, v103, v109
	v_mul_u32_u24_sdwa v113, v44, v99 dst_sel:DWORD dst_unused:UNUSED_PAD src0_sel:WORD_0 src1_sel:DWORD
	v_ldexp_f32 v104, v104, v111
	v_mul_u32_u24_sdwa v44, v44, v99 dst_sel:DWORD dst_unused:UNUSED_PAD src0_sel:WORD_1 src1_sel:DWORD
	v_mul_u32_u24_sdwa v109, v45, v99 dst_sel:DWORD dst_unused:UNUSED_PAD src0_sel:WORD_0 src1_sel:DWORD
	v_cndmask_b32_e64 v103, 0, v103, s14
	v_mul_u32_u24_sdwa v45, v45, v99 dst_sel:DWORD dst_unused:UNUSED_PAD src0_sel:WORD_1 src1_sel:DWORD
	v_cndmask_b32_e64 v104, 0, v104, s15
	v_mul_u32_u24_sdwa v111, v38, v99 dst_sel:DWORD dst_unused:UNUSED_PAD src0_sel:WORD_0 src1_sel:DWORD
	v_mul_u32_u24_sdwa v38, v38, v99 dst_sel:DWORD dst_unused:UNUSED_PAD src0_sel:WORD_1 src1_sel:DWORD
	v_cndmask_b32_e32 v103, 0x7f800000, v103, vcc_lo
	v_mul_u32_u24_sdwa v114, v39, v99 dst_sel:DWORD dst_unused:UNUSED_PAD src0_sel:WORD_0 src1_sel:DWORD
	v_cndmask_b32_e64 v104, 0x7f800000, v104, s13
	v_mul_u32_u24_sdwa v39, v39, v99 dst_sel:DWORD dst_unused:UNUSED_PAD src0_sel:WORD_1 src1_sel:DWORD
	v_mul_u32_u24_sdwa v115, v40, v99 dst_sel:DWORD dst_unused:UNUSED_PAD src0_sel:WORD_0 src1_sel:DWORD
	v_cvt_f16_f32_e32 v117, v103
	v_mul_u32_u24_sdwa v40, v40, v99 dst_sel:DWORD dst_unused:UNUSED_PAD src0_sel:WORD_1 src1_sel:DWORD
	v_cvt_f16_f32_e32 v118, v104
	v_mul_u32_u24_sdwa v116, v41, v99 dst_sel:DWORD dst_unused:UNUSED_PAD src0_sel:WORD_0 src1_sel:DWORD
	v_mul_u32_u24_sdwa v41, v41, v99 dst_sel:DWORD dst_unused:UNUSED_PAD src0_sel:WORD_1 src1_sel:DWORD
	v_mul_u32_u24_sdwa v26, v117, v99 dst_sel:DWORD dst_unused:UNUSED_PAD src0_sel:WORD_0 src1_sel:DWORD
	s_waitcnt lgkmcnt(0)
	v_mul_u32_u24_sdwa v117, v118, v99 dst_sel:DWORD dst_unused:UNUSED_PAD src0_sel:WORD_0 src1_sel:DWORD
	v_pk_mul_f16 v118, v30, v107
	v_pk_mul_f16 v30, v30, v46
	;; [unrolled: 1-line block ×3, first 2 shown]
	s_barrier
	v_pk_mul_f16 v72, v72, v117
	v_pk_fma_f16 v26, v74, v26, v118
	v_pk_fma_f16 v30, v73, v117, v30
	v_mul_u32_u24_sdwa v73, v27, v99 dst_sel:DWORD dst_unused:UNUSED_PAD src0_sel:WORD_1 src1_sel:DWORD
	v_pk_fma_f16 v27, v31, v107, v75
	v_pk_fma_f16 v31, v31, v46, v72
	;; [unrolled: 1-line block ×4, first 2 shown]
	v_mul_u32_u24_sdwa v32, v28, v99 dst_sel:DWORD dst_unused:UNUSED_PAD src0_sel:WORD_0 src1_sel:DWORD
	v_pk_fma_f16 v27, v33, v105, v27
	v_pk_fma_f16 v31, v33, v47, v31
	;; [unrolled: 1-line block ×4, first 2 shown]
	v_mul_u32_u24_sdwa v33, v28, v99 dst_sel:DWORD dst_unused:UNUSED_PAD src0_sel:WORD_1 src1_sel:DWORD
	v_pk_fma_f16 v27, v35, v106, v27
	v_pk_fma_f16 v28, v35, v48, v31
	;; [unrolled: 1-line block ×4, first 2 shown]
	buffer_gl0_inv
	v_pk_fma_f16 v27, v37, v108, v27
	v_pk_fma_f16 v28, v37, v49, v28
	;; [unrolled: 1-line block ×4, first 2 shown]
	v_mul_u32_u24_sdwa v31, v29, v99 dst_sel:DWORD dst_unused:UNUSED_PAD src0_sel:WORD_0 src1_sel:DWORD
	v_pk_fma_f16 v27, v23, v110, v27
	v_pk_fma_f16 v23, v23, v42, v28
	;; [unrolled: 1-line block ×4, first 2 shown]
	v_mul_u32_u24_sdwa v30, v29, v99 dst_sel:DWORD dst_unused:UNUSED_PAD src0_sel:WORD_1 src1_sel:DWORD
	v_pk_fma_f16 v24, v25, v112, v27
	v_pk_fma_f16 v23, v25, v43, v23
	;; [unrolled: 1-line block ×4, first 2 shown]
	v_fmac_f32_e32 v81, v101, v103
	v_pk_fma_f16 v22, v19, v113, v24
	v_pk_fma_f16 v19, v19, v44, v23
	v_pk_fma_f16 v23, v20, v109, v25
	v_pk_fma_f16 v18, v20, v45, v18
	v_fmac_f32_e32 v80, v100, v104
	v_pk_fma_f16 v22, v21, v109, v22
	v_pk_fma_f16 v24, v21, v45, v19
	;; [unrolled: 1-line block ×4, first 2 shown]
	ds_read_b128 v[18:21], v71 offset:64
	v_pk_fma_f16 v26, v15, v111, v22
	v_pk_fma_f16 v15, v15, v38, v24
	;; [unrolled: 1-line block ×4, first 2 shown]
	ds_read2_b64 v[22:25], v69 offset1:28
	v_pk_fma_f16 v26, v17, v114, v26
	v_pk_fma_f16 v28, v17, v39, v15
	;; [unrolled: 1-line block ×4, first 2 shown]
	ds_read_b128 v[14:17], v71 offset:80
	v_pk_fma_f16 v34, v11, v115, v26
	v_pk_fma_f16 v11, v11, v40, v28
	;; [unrolled: 1-line block ×4, first 2 shown]
	ds_read2_b64 v[26:29], v69 offset0:56 offset1:84
	v_pk_fma_f16 v12, v13, v116, v34
	v_pk_fma_f16 v11, v13, v41, v11
	;; [unrolled: 1-line block ×4, first 2 shown]
	s_waitcnt lgkmcnt(3)
	v_mul_u32_u24_sdwa v10, v18, v99 dst_sel:DWORD dst_unused:UNUSED_PAD src0_sel:WORD_0 src1_sel:DWORD
	v_pk_fma_f16 v12, v7, v119, v12
	v_pk_fma_f16 v7, v7, v120, v11
	;; [unrolled: 1-line block ×4, first 2 shown]
	v_mul_u32_u24_sdwa v8, v18, v99 dst_sel:DWORD dst_unused:UNUSED_PAD src0_sel:WORD_1 src1_sel:DWORD
	v_pk_fma_f16 v12, v9, v121, v12
	v_pk_fma_f16 v7, v9, v73, v7
	;; [unrolled: 1-line block ×4, first 2 shown]
	v_mul_u32_u24_sdwa v6, v19, v99 dst_sel:DWORD dst_unused:UNUSED_PAD src0_sel:WORD_0 src1_sel:DWORD
	v_pk_fma_f16 v11, v3, v32, v12
	v_pk_fma_f16 v3, v3, v33, v7
	;; [unrolled: 1-line block ×4, first 2 shown]
	v_mul_u32_u24_sdwa v9, v19, v99 dst_sel:DWORD dst_unused:UNUSED_PAD src0_sel:WORD_1 src1_sel:DWORD
	v_pk_fma_f16 v4, v5, v31, v11
	v_pk_fma_f16 v3, v5, v30, v3
	s_waitcnt lgkmcnt(2)
	v_pk_fma_f16 v5, v22, v10, v7
	v_pk_fma_f16 v2, v22, v8, v2
	v_mul_u32_u24_sdwa v12, v20, v99 dst_sel:DWORD dst_unused:UNUSED_PAD src0_sel:WORD_0 src1_sel:DWORD
	v_pk_fma_f16 v7, v23, v10, v4
	v_pk_fma_f16 v8, v23, v8, v3
	;; [unrolled: 1-line block ×4, first 2 shown]
	ds_read2_b64 v[2:5], v69 offset0:112 offset1:140
	v_mul_u32_u24_sdwa v13, v20, v99 dst_sel:DWORD dst_unused:UNUSED_PAD src0_sel:WORD_1 src1_sel:DWORD
	v_pk_fma_f16 v6, v25, v6, v7
	v_pk_fma_f16 v7, v25, v9, v8
	s_waitcnt lgkmcnt(1)
	v_pk_fma_f16 v8, v26, v12, v10
	v_mul_u32_u24_sdwa v10, v21, v99 dst_sel:DWORD dst_unused:UNUSED_PAD src0_sel:WORD_0 src1_sel:DWORD
	v_pk_fma_f16 v9, v26, v13, v11
	v_mul_u32_u24_sdwa v11, v21, v99 dst_sel:DWORD dst_unused:UNUSED_PAD src0_sel:WORD_1 src1_sel:DWORD
	v_pk_fma_f16 v12, v27, v12, v6
	v_pk_fma_f16 v13, v27, v13, v7
	;; [unrolled: 1-line block ×3, first 2 shown]
	v_mul_u32_u24_sdwa v20, v14, v99 dst_sel:DWORD dst_unused:UNUSED_PAD src0_sel:WORD_0 src1_sel:DWORD
	v_pk_fma_f16 v19, v28, v11, v9
	ds_read2_b64 v[6:9], v69 offset0:168 offset1:196
	v_mul_u32_u24_sdwa v14, v14, v99 dst_sel:DWORD dst_unused:UNUSED_PAD src0_sel:WORD_1 src1_sel:DWORD
	v_pk_fma_f16 v21, v29, v10, v12
	v_pk_fma_f16 v22, v29, v11, v13
	v_mul_u32_u24_sdwa v23, v15, v99 dst_sel:DWORD dst_unused:UNUSED_PAD src0_sel:WORD_0 src1_sel:DWORD
	ds_read_b128 v[10:13], v71 offset:96
	v_mul_u32_u24_sdwa v15, v15, v99 dst_sel:DWORD dst_unused:UNUSED_PAD src0_sel:WORD_1 src1_sel:DWORD
	s_waitcnt lgkmcnt(2)
	v_pk_fma_f16 v18, v2, v20, v18
	v_pk_fma_f16 v2, v2, v14, v19
	;; [unrolled: 1-line block ×4, first 2 shown]
	v_mul_u32_u24_sdwa v22, v16, v99 dst_sel:DWORD dst_unused:UNUSED_PAD src0_sel:WORD_0 src1_sel:DWORD
	v_pk_fma_f16 v14, v4, v23, v18
	ds_read2_b64 v[18:21], v69 offset0:224 offset1:252
	v_pk_fma_f16 v2, v4, v15, v2
	v_mul_u32_u24_sdwa v16, v16, v99 dst_sel:DWORD dst_unused:UNUSED_PAD src0_sel:WORD_1 src1_sel:DWORD
	v_pk_fma_f16 v23, v5, v23, v24
	v_pk_fma_f16 v15, v5, v15, v3
	v_mul_u32_u24_sdwa v24, v17, v99 dst_sel:DWORD dst_unused:UNUSED_PAD src0_sel:WORD_0 src1_sel:DWORD
	v_mul_u32_u24_sdwa v25, v17, v99 dst_sel:DWORD dst_unused:UNUSED_PAD src0_sel:WORD_1 src1_sel:DWORD
	s_waitcnt lgkmcnt(2)
	v_pk_fma_f16 v14, v6, v22, v14
	v_pk_fma_f16 v6, v6, v16, v2
	;; [unrolled: 1-line block ×4, first 2 shown]
	ds_read_b128 v[2:5], v71 offset:112
	v_pk_fma_f16 v23, v8, v24, v14
	ds_read2_b64 v[14:17], v102 offset0:24 offset1:52
	v_pk_fma_f16 v6, v8, v25, v6
	s_waitcnt lgkmcnt(3)
	v_mul_u32_u24_sdwa v8, v10, v99 dst_sel:DWORD dst_unused:UNUSED_PAD src0_sel:WORD_0 src1_sel:DWORD
	v_mul_u32_u24_sdwa v10, v10, v99 dst_sel:DWORD dst_unused:UNUSED_PAD src0_sel:WORD_1 src1_sel:DWORD
	v_pk_fma_f16 v22, v9, v24, v22
	v_pk_fma_f16 v7, v9, v25, v7
	s_waitcnt lgkmcnt(2)
	v_pk_fma_f16 v9, v18, v8, v23
	v_pk_fma_f16 v6, v18, v10, v6
	v_mul_u32_u24_sdwa v18, v11, v99 dst_sel:DWORD dst_unused:UNUSED_PAD src0_sel:WORD_0 src1_sel:DWORD
	v_mul_u32_u24_sdwa v11, v11, v99 dst_sel:DWORD dst_unused:UNUSED_PAD src0_sel:WORD_1 src1_sel:DWORD
	v_pk_fma_f16 v22, v19, v8, v22
	v_pk_fma_f16 v10, v19, v10, v7
	v_mul_u32_u24_sdwa v23, v12, v99 dst_sel:DWORD dst_unused:UNUSED_PAD src0_sel:WORD_0 src1_sel:DWORD
	v_pk_fma_f16 v19, v20, v18, v9
	v_pk_fma_f16 v20, v20, v11, v6
	ds_read2_b64 v[6:9], v102 offset0:80 offset1:108
	v_mul_u32_u24_sdwa v12, v12, v99 dst_sel:DWORD dst_unused:UNUSED_PAD src0_sel:WORD_1 src1_sel:DWORD
	v_pk_fma_f16 v18, v21, v18, v22
	v_pk_fma_f16 v10, v21, v11, v10
	s_waitcnt lgkmcnt(1)
	v_pk_fma_f16 v11, v14, v23, v19
	v_mul_u32_u24_sdwa v19, v13, v99 dst_sel:DWORD dst_unused:UNUSED_PAD src0_sel:WORD_0 src1_sel:DWORD
	v_pk_fma_f16 v14, v14, v12, v20
	v_mul_u32_u24_sdwa v20, v13, v99 dst_sel:DWORD dst_unused:UNUSED_PAD src0_sel:WORD_1 src1_sel:DWORD
	v_pk_fma_f16 v18, v15, v23, v18
	v_pk_fma_f16 v15, v15, v12, v10
	;; [unrolled: 1-line block ×3, first 2 shown]
	ds_read2_b64 v[10:13], v102 offset0:136 offset1:164
	s_waitcnt lgkmcnt(0)
	s_barrier
	buffer_gl0_inv
	s_load_dword s13, s[22:23], 0x4
	v_pk_fma_f16 v14, v16, v20, v14
	v_mul_u32_u24_sdwa v16, v2, v99 dst_sel:DWORD dst_unused:UNUSED_PAD src0_sel:WORD_0 src1_sel:DWORD
	v_mul_u32_u24_sdwa v2, v2, v99 dst_sel:DWORD dst_unused:UNUSED_PAD src0_sel:WORD_1 src1_sel:DWORD
	v_pk_fma_f16 v18, v17, v19, v18
	v_pk_fma_f16 v15, v17, v20, v15
	;; [unrolled: 1-line block ×4, first 2 shown]
	v_mul_u32_u24_sdwa v14, v3, v99 dst_sel:DWORD dst_unused:UNUSED_PAD src0_sel:WORD_0 src1_sel:DWORD
	v_mul_u32_u24_sdwa v3, v3, v99 dst_sel:DWORD dst_unused:UNUSED_PAD src0_sel:WORD_1 src1_sel:DWORD
	v_pk_fma_f16 v16, v7, v16, v18
	v_pk_fma_f16 v2, v7, v2, v15
	;; [unrolled: 1-line block ×4, first 2 shown]
	v_mul_u32_u24_sdwa v8, v4, v99 dst_sel:DWORD dst_unused:UNUSED_PAD src0_sel:WORD_0 src1_sel:DWORD
	v_mul_u32_u24_sdwa v4, v4, v99 dst_sel:DWORD dst_unused:UNUSED_PAD src0_sel:WORD_1 src1_sel:DWORD
	v_pk_fma_f16 v14, v9, v14, v16
	v_pk_fma_f16 v2, v9, v3, v2
	s_waitcnt lgkmcnt(0)
	s_lshl_b32 s13, s13, 5
	v_pk_fma_f16 v3, v10, v8, v7
	v_pk_fma_f16 v6, v10, v4, v6
	v_mul_u32_u24_sdwa v7, v5, v99 dst_sel:DWORD dst_unused:UNUSED_PAD src0_sel:WORD_0 src1_sel:DWORD
	v_mul_u32_u24_sdwa v5, v5, v99 dst_sel:DWORD dst_unused:UNUSED_PAD src0_sel:WORD_1 src1_sel:DWORD
	v_pk_fma_f16 v8, v11, v8, v14
	v_pk_fma_f16 v2, v11, v4, v2
	s_add_i32 s39, s13, s39
	v_pk_fma_f16 v74, v12, v7, v3
	v_pk_fma_f16 v73, v12, v5, v6
	;; [unrolled: 1-line block ×4, first 2 shown]
	s_cmp_lt_i32 s39, s17
	s_cbranch_scc0 .LBB59_43
; %bb.33:                               ;   in Loop: Header=BB59_12 Depth=1
	v_mov_b32_e32 v2, v51
	v_mov_b32_e32 v3, v52
	;; [unrolled: 1-line block ×4, first 2 shown]
	s_branch .LBB59_12
.LBB59_34:                              ;   in Loop: Header=BB59_12 Depth=1
	v_add_co_u32 v4, vcc_lo, s13, v53
	v_add_co_ci_u32_e64 v5, null, s14, v54, vcc_lo
	global_load_dwordx4 v[4:7], v[4:5], off offset:96
	s_waitcnt vmcnt(0)
	ds_write_b128 v87, v[4:7]
	s_or_b32 exec_lo, exec_lo, s15
	s_and_saveexec_b32 s15, s8
	s_cbranch_execz .LBB59_14
.LBB59_35:                              ;   in Loop: Header=BB59_12 Depth=1
	v_add_co_u32 v4, vcc_lo, s13, v55
	v_add_co_ci_u32_e64 v5, null, s14, v56, vcc_lo
	v_add_co_u32 v4, vcc_lo, v4, v96
	v_add_co_ci_u32_e64 v5, null, 0, v5, vcc_lo
	global_load_dwordx4 v[4:7], v[4:5], off offset:64
	s_waitcnt vmcnt(0)
	ds_write_b128 v90, v[4:7]
	s_or_b32 exec_lo, exec_lo, s15
	s_and_saveexec_b32 s15, s9
	s_cbranch_execnz .LBB59_15
	s_branch .LBB59_16
.LBB59_36:                              ;   in Loop: Header=BB59_12 Depth=1
	v_add_co_u32 v6, vcc_lo, s13, v53
	v_add_co_ci_u32_e64 v7, null, s14, v54, vcc_lo
	global_load_dwordx4 v[6:9], v[6:7], off offset:208
	s_waitcnt vmcnt(0)
	ds_write_b128 v87, v[6:9]
	s_or_b32 exec_lo, exec_lo, s15
	s_and_saveexec_b32 s15, s8
	s_cbranch_execz .LBB59_18
.LBB59_37:                              ;   in Loop: Header=BB59_12 Depth=1
	v_add_co_u32 v6, vcc_lo, s13, v55
	v_add_co_ci_u32_e64 v7, null, s14, v56, vcc_lo
	v_add_co_u32 v6, vcc_lo, v6, v96
	v_add_co_ci_u32_e64 v7, null, 0, v7, vcc_lo
	global_load_dwordx4 v[6:9], v[6:7], off offset:176
	s_waitcnt vmcnt(0)
	ds_write_b128 v90, v[6:9]
	s_or_b32 exec_lo, exec_lo, s15
	s_and_saveexec_b32 s15, s9
	s_cbranch_execnz .LBB59_19
	s_branch .LBB59_20
.LBB59_38:                              ;   in Loop: Header=BB59_12 Depth=1
	v_add_co_u32 v2, s16, s48, v59
	v_add_co_ci_u32_e64 v3, null, s49, v60, s16
	v_add_co_u32 v2, s16, v2, v96
	v_add_co_ci_u32_e64 v3, null, 0, v3, s16
	global_load_dwordx4 v[2:5], v[2:3], off offset:192
	s_waitcnt vmcnt(0)
	ds_write_b128 v93, v[2:5]
	s_or_b32 exec_lo, exec_lo, s50
	s_and_saveexec_b32 s50, s11
	s_cbranch_execz .LBB59_26
.LBB59_39:                              ;   in Loop: Header=BB59_12 Depth=1
	v_add_co_u32 v2, s16, s48, v61
	v_add_co_ci_u32_e64 v3, null, s49, v62, s16
	v_add_co_u32 v2, s16, v2, v97
	v_add_co_ci_u32_e64 v3, null, 0, v3, s16
	global_load_dwordx4 v[2:5], v[2:3], off offset:128
	s_waitcnt vmcnt(0)
	ds_write_b128 v94, v[2:5]
	s_or_b32 exec_lo, exec_lo, s50
	v_lshlrev_b32_e32 v105, 2, v77
	s_and_saveexec_b32 s50, s12
	s_cbranch_execnz .LBB59_27
	s_branch .LBB59_28
.LBB59_40:                              ;   in Loop: Header=BB59_12 Depth=1
	v_add_co_u32 v106, s16, s48, v59
	v_add_co_ci_u32_e64 v107, null, s49, v60, s16
	v_add_co_u32 v106, s16, v106, v96
	v_add_co_ci_u32_e64 v107, null, 0, v107, s16
	global_load_dwordx4 v[106:109], v[106:107], off offset:192
	s_waitcnt vmcnt(0)
	ds_write_b128 v93, v[106:109]
	s_or_b32 exec_lo, exec_lo, s50
	s_and_saveexec_b32 s50, s11
	s_cbranch_execz .LBB59_30
.LBB59_41:                              ;   in Loop: Header=BB59_12 Depth=1
	v_add_co_u32 v106, s16, s48, v61
	v_add_co_ci_u32_e64 v107, null, s49, v62, s16
	v_add_co_u32 v106, s16, v106, v97
	v_add_co_ci_u32_e64 v107, null, 0, v107, s16
	global_load_dwordx4 v[106:109], v[106:107], off offset:128
	s_waitcnt vmcnt(0)
	ds_write_b128 v94, v[106:109]
	s_or_b32 exec_lo, exec_lo, s50
	s_and_saveexec_b32 s50, s12
	s_cbranch_execnz .LBB59_31
	s_branch .LBB59_32
.LBB59_42:
	v_mov_b32_e32 v51, 0xfeffffff
	v_mov_b32_e32 v74, 0
	;; [unrolled: 1-line block ×8, first 2 shown]
.LBB59_43:
	s_cmp_gt_i32 s42, s39
	s_cbranch_scc1 .LBB59_46
; %bb.44:
	v_mbcnt_lo_u32_b32 v2, -1, 0
	v_mov_b32_e32 v90, 32
	v_xor_b32_e32 v87, 16, v2
	v_xor_b32_e32 v64, 8, v2
	v_xor_b32_e32 v88, 4, v2
	v_xor_b32_e32 v89, 2, v2
	v_xor_b32_e32 v91, 1, v2
	s_cbranch_execz .LBB59_47
; %bb.45:
	v_mov_b32_e32 v70, v2
	s_branch .LBB59_82
.LBB59_46:
                                        ; implicit-def: $vgpr2
                                        ; implicit-def: $vgpr90
                                        ; implicit-def: $vgpr87
                                        ; implicit-def: $vgpr64
                                        ; implicit-def: $vgpr88
                                        ; implicit-def: $vgpr89
                                        ; implicit-def: $vgpr91
.LBB59_47:
	v_mul_lo_u32 v2, s44, v86
	s_mul_hi_i32 s9, s39, s44
	s_mul_i32 s8, s39, s44
	v_or_b32_e32 v10, 0x60, v82
	s_lshl_b64 s[10:11], s[8:9], 2
	v_cmp_gt_u32_e64 s9, 32, v86
	s_sub_i32 s22, s42, s39
	s_add_u32 s23, s45, s10
	v_ashrrev_i32_e32 v3, 31, v2
	s_mov_b64 s[12:13], src_private_base
	s_addc_u32 s42, s46, s11
	v_cmp_gt_i32_e32 vcc_lo, s22, v86
	v_lshlrev_b64 v[2:3], 2, v[2:3]
	s_and_saveexec_b32 s8, s9
	s_cbranch_execz .LBB59_49
; %bb.48:
	v_add_co_u32 v4, s7, s23, v2
	v_add_co_ci_u32_e64 v5, null, s42, v3, s7
	v_mov_b32_e32 v6, 0
	v_add_co_u32 v4, s7, 0x60, v4
	v_add_co_ci_u32_e64 v5, null, 0, v5, s7
	buffer_store_dword v6, off, s[0:3], 0
	buffer_store_dword v6, off, s[0:3], 0 offset:4
	buffer_store_dword v6, off, s[0:3], 0 offset:8
	;; [unrolled: 1-line block ×3, first 2 shown]
	v_cndmask_b32_e32 v4, 0, v4, vcc_lo
	v_cndmask_b32_e32 v5, s13, v5, vcc_lo
	flat_load_dwordx4 v[4:7], v[4:5]
	s_waitcnt vmcnt(0) lgkmcnt(0)
	ds_write_b128 v10, v[4:7]
.LBB59_49:
	s_or_b32 exec_lo, exec_lo, s8
	v_lshl_add_u32 v49, v1, 4, v85
	v_lshlrev_b32_e32 v61, 2, v79
	s_mov_b64 s[14:15], src_private_base
	v_mul_lo_u32 v4, s44, v49
	v_lshlrev_b32_e32 v6, 7, v49
	v_cmp_gt_u32_e64 s10, 32, v49
	v_cmp_gt_i32_e64 s7, s22, v49
	v_or3_b32 v11, v6, v61, 64
	v_ashrrev_i32_e32 v5, 31, v4
	v_lshlrev_b64 v[4:5], 2, v[4:5]
	s_and_saveexec_b32 s11, s10
	s_cbranch_execz .LBB59_51
; %bb.50:
	v_add_co_u32 v6, s8, s23, v4
	v_add_co_ci_u32_e64 v7, null, s42, v5, s8
	v_mov_b32_e32 v8, 0
	v_add_co_u32 v6, s8, v6, v61
	v_add_co_ci_u32_e64 v7, null, 0, v7, s8
	buffer_store_dword v8, off, s[0:3], 0
	buffer_store_dword v8, off, s[0:3], 0 offset:4
	buffer_store_dword v8, off, s[0:3], 0 offset:8
	;; [unrolled: 1-line block ×3, first 2 shown]
	v_add_co_u32 v6, s8, v6, 64
	v_add_co_ci_u32_e64 v7, null, 0, v7, s8
	v_cndmask_b32_e64 v6, 0, v6, s7
	v_cndmask_b32_e64 v7, s15, v7, s7
	flat_load_dwordx4 v[6:9], v[6:7]
	s_waitcnt vmcnt(0) lgkmcnt(0)
	ds_write_b128 v11, v[6:9]
.LBB59_51:
	s_or_b32 exec_lo, exec_lo, s11
	v_lshl_add_u32 v62, v1, 3, v83
	v_lshlrev_b32_e32 v63, 2, v84
	v_mov_b32_e32 v8, 0
	s_mov_b64 s[16:17], src_private_base
	v_mul_lo_u32 v6, s44, v62
	v_cmp_gt_u32_e64 s11, 32, v62
	v_lshl_or_b32 v12, v62, 7, v63
	v_cmp_gt_i32_e64 s8, s22, v62
	v_ashrrev_i32_e32 v7, 31, v6
	v_lshlrev_b64 v[6:7], 2, v[6:7]
	s_and_saveexec_b32 s14, s11
	s_cbranch_execz .LBB59_53
; %bb.52:
	v_add_co_u32 v9, s12, s23, v6
	v_add_co_ci_u32_e64 v13, null, s42, v7, s12
	buffer_store_dword v8, off, s[0:3], 0
	buffer_store_dword v8, off, s[0:3], 0 offset:4
	buffer_store_dword v8, off, s[0:3], 0 offset:8
	;; [unrolled: 1-line block ×3, first 2 shown]
	v_add_co_u32 v9, s12, v9, v63
	v_add_co_ci_u32_e64 v13, null, 0, v13, s12
	v_cndmask_b32_e64 v14, s17, v13, s8
	v_cndmask_b32_e64 v13, 0, v9, s8
	flat_load_dwordx4 v[13:16], v[13:14]
	s_waitcnt vmcnt(0) lgkmcnt(0)
	ds_write_b128 v12, v[13:16]
.LBB59_53:
	s_or_b32 exec_lo, exec_lo, s14
	v_mul_u32_u24_e32 v25, 0x1c0, v1
	s_waitcnt lgkmcnt(0)
	s_waitcnt_vscnt null, 0x0
	s_barrier
	buffer_gl0_inv
	ds_read_b128 v[13:16], v82
	ds_read_b128 v[17:20], v25 offset:4160
	ds_read_b128 v[21:24], v25 offset:4384
	v_mov_b32_e32 v9, 0
	s_waitcnt lgkmcnt(1)
	;;#ASMSTART
	v_dot2_f32_f16 v9, v13, v17, v9
	;;#ASMEND
	;;#ASMSTART
	v_dot2_f32_f16 v9, v14, v18, v9
	;;#ASMEND
	;;#ASMSTART
	v_dot2_f32_f16 v9, v15, v19, v9
	;;#ASMEND
	;;#ASMSTART
	v_dot2_f32_f16 v9, v16, v20, v9
	;;#ASMEND
	s_waitcnt lgkmcnt(0)
	;;#ASMSTART
	v_dot2_f32_f16 v8, v13, v21, v8
	;;#ASMEND
	;;#ASMSTART
	v_dot2_f32_f16 v8, v14, v22, v8
	;;#ASMEND
	;;#ASMSTART
	v_dot2_f32_f16 v8, v15, v23, v8
	;;#ASMEND
	;;#ASMSTART
	v_dot2_f32_f16 v8, v16, v24, v8
	;;#ASMEND
	ds_read_b128 v[13:16], v82 offset:16
	ds_read_b128 v[17:20], v25 offset:4176
	ds_read_b128 v[21:24], v25 offset:4400
	s_waitcnt lgkmcnt(1)
	;;#ASMSTART
	v_dot2_f32_f16 v9, v13, v17, v9
	;;#ASMEND
	;;#ASMSTART
	v_dot2_f32_f16 v9, v14, v18, v9
	;;#ASMEND
	;;#ASMSTART
	v_dot2_f32_f16 v9, v15, v19, v9
	;;#ASMEND
	;;#ASMSTART
	v_dot2_f32_f16 v9, v16, v20, v9
	;;#ASMEND
	s_waitcnt lgkmcnt(0)
	;;#ASMSTART
	v_dot2_f32_f16 v8, v13, v21, v8
	;;#ASMEND
	;;#ASMSTART
	v_dot2_f32_f16 v8, v14, v22, v8
	;;#ASMEND
	;;#ASMSTART
	v_dot2_f32_f16 v8, v15, v23, v8
	;;#ASMEND
	;;#ASMSTART
	v_dot2_f32_f16 v8, v16, v24, v8
	;;#ASMEND
	ds_read_b128 v[13:16], v82 offset:32
	ds_read_b128 v[17:20], v25 offset:4192
	ds_read_b128 v[21:24], v25 offset:4416
	;; [unrolled: 29-line block ×6, first 2 shown]
	s_waitcnt lgkmcnt(1)
	;;#ASMSTART
	v_dot2_f32_f16 v9, v13, v17, v9
	;;#ASMEND
	;;#ASMSTART
	v_dot2_f32_f16 v9, v14, v18, v9
	;;#ASMEND
	;; [unrolled: 3-line block ×4, first 2 shown]
	s_waitcnt lgkmcnt(0)
	;;#ASMSTART
	v_dot2_f32_f16 v8, v13, v21, v8
	;;#ASMEND
	;;#ASMSTART
	v_dot2_f32_f16 v8, v14, v22, v8
	;;#ASMEND
	;; [unrolled: 3-line block ×4, first 2 shown]
	s_barrier
	buffer_gl0_inv
	s_and_saveexec_b32 s12, s9
	s_cbranch_execnz .LBB59_60
; %bb.54:
	s_or_b32 exec_lo, exec_lo, s12
	s_movk_i32 s9, 0x1040
	s_and_saveexec_b32 s12, s10
	s_cbranch_execnz .LBB59_61
.LBB59_55:
	s_or_b32 exec_lo, exec_lo, s12
	v_mad_u32_u24 v2, 0x1c0, v1, s9
	s_and_saveexec_b32 s9, s11
	s_cbranch_execz .LBB59_57
.LBB59_56:
	v_add_co_u32 v3, vcc_lo, s23, v6
	v_add_co_ci_u32_e64 v4, null, s42, v7, vcc_lo
	v_mov_b32_e32 v5, 0
	v_add_co_u32 v3, vcc_lo, v3, v63
	v_add_co_ci_u32_e64 v4, null, 0, v4, vcc_lo
	buffer_store_dword v5, off, s[0:3], 0
	buffer_store_dword v5, off, s[0:3], 0 offset:4
	buffer_store_dword v5, off, s[0:3], 0 offset:8
	;; [unrolled: 1-line block ×3, first 2 shown]
	v_add_co_u32 v3, vcc_lo, 0x70, v3
	v_add_co_ci_u32_e64 v4, null, 0, v4, vcc_lo
	v_cndmask_b32_e64 v3, 0, v3, s8
	v_cndmask_b32_e64 v4, s17, v4, s8
	flat_load_dwordx4 v[3:6], v[3:4]
	s_waitcnt vmcnt(0) lgkmcnt(0)
	ds_write_b128 v12, v[3:6]
.LBB59_57:
	s_or_b32 exec_lo, exec_lo, s9
	s_waitcnt lgkmcnt(0)
	s_waitcnt_vscnt null, 0x0
	s_barrier
	buffer_gl0_inv
	ds_read_b128 v[3:6], v82
	ds_read_b128 v[10:13], v2 offset:112
	ds_read_b128 v[14:17], v2 offset:336
	s_cmp_lg_u64 s[40:41], 0
	v_cmp_gt_i32_e64 s9, s22, v0
	s_cselect_b32 s11, -1, 0
	s_waitcnt lgkmcnt(1)
	;;#ASMSTART
	v_dot2_f32_f16 v9, v3, v10, v9
	;;#ASMEND
	;;#ASMSTART
	v_dot2_f32_f16 v9, v4, v11, v9
	;;#ASMEND
	;;#ASMSTART
	v_dot2_f32_f16 v9, v5, v12, v9
	;;#ASMEND
	;;#ASMSTART
	v_dot2_f32_f16 v9, v6, v13, v9
	;;#ASMEND
	s_waitcnt lgkmcnt(0)
	;;#ASMSTART
	v_dot2_f32_f16 v8, v3, v14, v8
	;;#ASMEND
	;;#ASMSTART
	v_dot2_f32_f16 v8, v4, v15, v8
	;;#ASMEND
	;;#ASMSTART
	v_dot2_f32_f16 v8, v5, v16, v8
	;;#ASMEND
	;;#ASMSTART
	v_dot2_f32_f16 v8, v6, v17, v8
	;;#ASMEND
	ds_read_b128 v[3:6], v82 offset:16
	ds_read_b128 v[10:13], v2 offset:128
	ds_read_b128 v[14:17], v2 offset:352
	s_waitcnt lgkmcnt(1)
	;;#ASMSTART
	v_dot2_f32_f16 v9, v3, v10, v9
	;;#ASMEND
	;;#ASMSTART
	v_dot2_f32_f16 v9, v4, v11, v9
	;;#ASMEND
	;;#ASMSTART
	v_dot2_f32_f16 v9, v5, v12, v9
	;;#ASMEND
	;;#ASMSTART
	v_dot2_f32_f16 v9, v6, v13, v9
	;;#ASMEND
	s_waitcnt lgkmcnt(0)
	;;#ASMSTART
	v_dot2_f32_f16 v8, v3, v14, v8
	;;#ASMEND
	;;#ASMSTART
	v_dot2_f32_f16 v8, v4, v15, v8
	;;#ASMEND
	;;#ASMSTART
	v_dot2_f32_f16 v8, v5, v16, v8
	;;#ASMEND
	;;#ASMSTART
	v_dot2_f32_f16 v8, v6, v17, v8
	;;#ASMEND
	ds_read_b128 v[3:6], v82 offset:32
	ds_read_b128 v[10:13], v2 offset:144
	ds_read_b128 v[14:17], v2 offset:368
	;; [unrolled: 29-line block ×6, first 2 shown]
	v_add_nc_u32_e32 v2, s39, v0
	v_mov_b32_e32 v5, v51
	v_cndmask_b32_e64 v3, 0, 1, s11
	s_waitcnt lgkmcnt(1)
	;;#ASMSTART
	v_dot2_f32_f16 v9, v10, v14, v9
	;;#ASMEND
	;;#ASMSTART
	v_dot2_f32_f16 v9, v11, v15, v9
	;;#ASMEND
	;; [unrolled: 3-line block ×4, first 2 shown]
	s_waitcnt lgkmcnt(0)
	;;#ASMSTART
	v_dot2_f32_f16 v8, v10, v18, v8
	;;#ASMEND
	;;#ASMSTART
	v_dot2_f32_f16 v8, v11, v19, v8
	;;#ASMEND
	;; [unrolled: 3-line block ×4, first 2 shown]
	s_and_saveexec_b32 s10, s9
	s_cbranch_execz .LBB59_64
; %bb.58:
	s_andn2_b32 vcc_lo, exec_lo, s11
	s_cbranch_vccnz .LBB59_62
; %bb.59:
	v_mul_hi_u32 v4, s28, v68
	v_add_nc_u32_e32 v4, v68, v4
	v_lshrrev_b32_e32 v4, s29, v4
	v_mul_lo_u32 v4, v4, s30
	v_sub_nc_u32_e32 v4, v68, v4
	v_mad_u64_u32 v[4:5], null, v4, s43, v[2:3]
	v_ashrrev_i32_e32 v5, 31, v4
	v_lshlrev_b64 v[4:5], 1, v[4:5]
	v_add_co_u32 v4, vcc_lo, s40, v4
	v_add_co_ci_u32_e64 v5, null, s41, v5, vcc_lo
	global_load_ushort v4, v[4:5], off
	s_waitcnt vmcnt(0)
	v_cvt_f32_f16_e32 v4, v4
	v_mul_f32_e32 v4, v76, v4
	s_branch .LBB59_63
.LBB59_60:
	v_add_co_u32 v2, s9, s23, v2
	v_add_co_ci_u32_e64 v3, null, s42, v3, s9
	v_mov_b32_e32 v13, 0
	v_add_co_u32 v2, s9, 0xd0, v2
	v_add_co_ci_u32_e64 v3, null, 0, v3, s9
	buffer_store_dword v13, off, s[0:3], 0
	buffer_store_dword v13, off, s[0:3], 0 offset:4
	buffer_store_dword v13, off, s[0:3], 0 offset:8
	;; [unrolled: 1-line block ×3, first 2 shown]
	v_cndmask_b32_e32 v2, 0, v2, vcc_lo
	v_cndmask_b32_e32 v3, s13, v3, vcc_lo
	flat_load_dwordx4 v[13:16], v[2:3]
	s_waitcnt vmcnt(0) lgkmcnt(0)
	ds_write_b128 v10, v[13:16]
	s_or_b32 exec_lo, exec_lo, s12
	s_movk_i32 s9, 0x1040
	s_and_saveexec_b32 s12, s10
	s_cbranch_execz .LBB59_55
.LBB59_61:
	v_add_co_u32 v2, vcc_lo, s23, v4
	v_add_co_ci_u32_e64 v3, null, s42, v5, vcc_lo
	v_mov_b32_e32 v4, 0
	v_add_co_u32 v2, vcc_lo, v2, v61
	v_add_co_ci_u32_e64 v3, null, 0, v3, vcc_lo
	buffer_store_dword v4, off, s[0:3], 0
	buffer_store_dword v4, off, s[0:3], 0 offset:4
	buffer_store_dword v4, off, s[0:3], 0 offset:8
	;; [unrolled: 1-line block ×3, first 2 shown]
	v_add_co_u32 v2, vcc_lo, 0xb0, v2
	v_add_co_ci_u32_e64 v3, null, 0, v3, vcc_lo
	v_cndmask_b32_e64 v2, 0, v2, s7
	v_cndmask_b32_e64 v3, s15, v3, s7
	flat_load_dwordx4 v[2:5], v[2:3]
	s_waitcnt vmcnt(0) lgkmcnt(0)
	ds_write_b128 v11, v[2:5]
	s_or_b32 exec_lo, exec_lo, s12
	v_mad_u32_u24 v2, 0x1c0, v1, s9
	s_and_saveexec_b32 s9, s11
	s_cbranch_execnz .LBB59_56
	s_branch .LBB59_57
.LBB59_62:
	v_mov_b32_e32 v4, 0
.LBB59_63:
	v_add_f32_e32 v9, v9, v4
	v_max_f32_e32 v5, v51, v51
	v_add_f32_e32 v4, 0x40051340, v9
	v_max_f32_e32 v5, v5, v4
.LBB59_64:
	s_or_b32 exec_lo, exec_lo, s10
	v_xor_b32_e32 v87, 16, v70
	v_xor_b32_e32 v64, 8, v70
	v_max_f32_e32 v7, v5, v5
	v_xor_b32_e32 v88, 4, v70
	v_xor_b32_e32 v89, 2, v70
	v_cmp_gt_i32_e32 vcc_lo, 32, v87
	v_xor_b32_e32 v91, 1, v70
	v_mov_b32_e32 v90, 32
	v_cndmask_b32_e32 v4, v70, v87, vcc_lo
	v_cmp_gt_i32_e32 vcc_lo, 32, v64
	v_lshlrev_b32_e32 v4, 2, v4
	ds_bpermute_b32 v6, v4, v5
	v_cndmask_b32_e32 v5, v70, v64, vcc_lo
	v_cmp_gt_i32_e32 vcc_lo, 32, v88
	v_lshlrev_b32_e32 v5, 2, v5
	v_cndmask_b32_e32 v10, v70, v88, vcc_lo
	v_cmp_gt_i32_e32 vcc_lo, 32, v89
	s_waitcnt lgkmcnt(0)
	v_max_f32_e32 v6, v6, v6
	v_max_f32_e32 v7, v7, v6
	ds_bpermute_b32 v6, v5, v7
	s_waitcnt lgkmcnt(0)
	v_max_f32_e32 v11, v6, v6
	v_lshlrev_b32_e32 v6, 2, v10
	v_max_f32_e32 v10, v7, v11
	v_cndmask_b32_e32 v11, v70, v89, vcc_lo
	v_cmp_gt_i32_e32 vcc_lo, 32, v91
	ds_bpermute_b32 v7, v6, v10
	s_waitcnt lgkmcnt(0)
	v_max_f32_e32 v12, v7, v7
	v_lshlrev_b32_e32 v7, 2, v11
	v_max_f32_e32 v11, v10, v12
	v_cndmask_b32_e32 v12, v70, v91, vcc_lo
	ds_bpermute_b32 v10, v7, v11
	s_waitcnt lgkmcnt(0)
	v_max_f32_e32 v13, v10, v10
	v_lshlrev_b32_e32 v10, 2, v12
	v_max_f32_e32 v11, v11, v13
	ds_bpermute_b32 v12, v10, v11
	s_waitcnt lgkmcnt(0)
	v_max_f32_e32 v12, v12, v12
	v_max_f32_e32 v53, v11, v12
	v_mov_b32_e32 v11, v52
	s_and_saveexec_b32 s10, s9
	s_cbranch_execz .LBB59_69
; %bb.65:
	v_cmp_ne_u32_e32 vcc_lo, 1, v3
	s_cbranch_vccnz .LBB59_67
; %bb.66:
	v_or_b32_e32 v3, 1, v68
	v_mul_hi_u32 v11, s28, v3
	v_add_nc_u32_e32 v11, v3, v11
	v_lshrrev_b32_e32 v11, s29, v11
	v_mul_lo_u32 v11, v11, s30
	v_sub_nc_u32_e32 v3, v3, v11
	v_mad_u64_u32 v[2:3], null, v3, s43, v[2:3]
	v_ashrrev_i32_e32 v3, 31, v2
	v_lshlrev_b64 v[2:3], 1, v[2:3]
	v_add_co_u32 v2, vcc_lo, s40, v2
	v_add_co_ci_u32_e64 v3, null, s41, v3, vcc_lo
	global_load_ushort v2, v[2:3], off
	s_waitcnt vmcnt(0)
	v_cvt_f32_f16_e32 v2, v2
	v_mul_f32_e32 v2, v76, v2
	s_branch .LBB59_68
.LBB59_67:
	v_mov_b32_e32 v2, 0
.LBB59_68:
	v_add_f32_e32 v8, v8, v2
	v_max_f32_e32 v3, v52, v52
	v_add_f32_e32 v2, 0x40051340, v8
	v_max_f32_e32 v11, v3, v2
.LBB59_69:
	s_or_b32 exec_lo, exec_lo, s10
	ds_bpermute_b32 v2, v4, v11
	v_max_f32_e32 v3, v11, v11
	s_mul_hi_i32 s13, s39, s36
	s_mul_i32 s12, s39, s36
	s_mov_b64 s[10:11], src_private_base
	s_lshl_b64 s[12:13], s[12:13], 2
	s_waitcnt lgkmcnt(0)
	s_add_u32 s10, s37, s12
	s_addc_u32 s16, s38, s13
	s_barrier
	buffer_gl0_inv
	v_max_f32_e32 v2, v2, v2
	v_max_f32_e32 v2, v3, v2
	ds_bpermute_b32 v3, v5, v2
	s_waitcnt lgkmcnt(0)
	v_max_f32_e32 v3, v3, v3
	v_max_f32_e32 v2, v2, v3
	ds_bpermute_b32 v3, v6, v2
	s_waitcnt lgkmcnt(0)
	;; [unrolled: 4-line block ×4, first 2 shown]
	v_max_f32_e32 v3, v3, v3
	v_max_f32_e32 v54, v2, v3
	v_sub_f32_e32 v2, v9, v53
	v_sub_f32_e32 v3, v8, v54
	v_mul_f32_e32 v4, 0x3fb8aa3b, v2
	v_cmp_ngt_f32_e32 vcc_lo, 0xc2ce8ed0, v2
	v_mul_f32_e32 v5, 0x3fb8aa3b, v3
	v_fma_f32 v6, 0x3fb8aa3b, v2, -v4
	v_rndne_f32_e32 v7, v4
	v_cmp_nlt_f32_e64 s9, 0x42b17218, v3
	v_fma_f32 v8, 0x3fb8aa3b, v3, -v5
	v_rndne_f32_e32 v9, v5
	v_fmac_f32_e32 v6, 0x32a5705f, v2
	v_sub_f32_e32 v4, v4, v7
	v_fmac_f32_e32 v8, 0x32a5705f, v3
	v_sub_f32_e32 v5, v5, v9
	v_add_f32_e32 v4, v4, v6
	v_cvt_i32_f32_e32 v6, v7
	v_cvt_i32_f32_e32 v7, v9
	v_add_f32_e32 v5, v5, v8
	v_exp_f32_e32 v4, v4
	v_exp_f32_e32 v5, v5
	v_ldexp_f32 v4, v4, v6
	v_ldexp_f32 v5, v5, v7
	v_cndmask_b32_e32 v4, 0, v4, vcc_lo
	v_cmp_ngt_f32_e32 vcc_lo, 0xc2ce8ed0, v3
	v_cndmask_b32_e32 v5, 0, v5, vcc_lo
	v_cmp_nlt_f32_e32 vcc_lo, 0x42b17218, v2
	v_mul_lo_u32 v2, s36, v49
	v_cndmask_b32_e64 v3, 0x7f800000, v5, s9
	v_cndmask_b32_e32 v4, 0x7f800000, v4, vcc_lo
	v_cmp_gt_u32_e32 vcc_lo, s22, v0
	v_mul_u32_u24_e32 v5, 0xe0, v49
	v_cndmask_b32_e32 v76, 0, v4, vcc_lo
	v_cndmask_b32_e32 v82, 0, v3, vcc_lo
	v_ashrrev_i32_e32 v3, 31, v2
	v_lshl_or_b32 v5, v79, 2, v5
	v_add_nc_u32_e32 v4, v71, v50
	v_cvt_f16_f32_e32 v6, v76
	v_cvt_f16_f32_e32 v7, v82
	v_lshlrev_b64 v[57:58], 2, v[2:3]
	v_cmp_gt_u32_e32 vcc_lo, 16, v49
	v_add_nc_u32_e32 v79, 0xc0, v5
	v_pack_b32_f16 v5, v6, v7
	ds_write_b32 v4, v5
	s_and_saveexec_b32 s12, vcc_lo
	s_cbranch_execz .LBB59_71
; %bb.70:
	v_add_co_u32 v2, s9, s10, v57
	v_add_co_ci_u32_e64 v3, null, s16, v58, s9
	v_mov_b32_e32 v4, 0
	v_add_co_u32 v2, s9, v2, v61
	v_add_co_ci_u32_e64 v3, null, 0, v3, s9
	buffer_store_dword v4, off, s[0:3], 0
	buffer_store_dword v4, off, s[0:3], 0 offset:4
	buffer_store_dword v4, off, s[0:3], 0 offset:8
	;; [unrolled: 1-line block ×3, first 2 shown]
	v_add_co_u32 v2, s9, 0xc0, v2
	v_add_co_ci_u32_e64 v3, null, 0, v3, s9
	v_cndmask_b32_e64 v2, 0, v2, s7
	v_cndmask_b32_e64 v3, s11, v3, s7
	flat_load_dwordx4 v[2:5], v[2:3]
	s_waitcnt vmcnt(0) lgkmcnt(0)
	ds_write_b128 v79, v[2:5]
.LBB59_71:
	s_or_b32 exec_lo, exec_lo, s12
	v_mul_lo_u32 v2, s36, v62
	v_mul_u32_u24_e32 v4, 0xe0, v62
	v_cmp_gt_u32_e64 s9, 16, v62
	s_mov_b64 s[14:15], src_private_base
	v_add3_u32 v84, v4, v63, 0x80
	v_ashrrev_i32_e32 v3, 31, v2
	v_lshlrev_b64 v[59:60], 2, v[2:3]
	s_and_saveexec_b32 s12, s9
	s_cbranch_execz .LBB59_73
; %bb.72:
	v_add_co_u32 v2, s7, s10, v59
	v_add_co_ci_u32_e64 v3, null, s16, v60, s7
	v_mov_b32_e32 v4, 0
	v_add_co_u32 v2, s7, v2, v63
	v_add_co_ci_u32_e64 v3, null, 0, v3, s7
	buffer_store_dword v4, off, s[0:3], 0
	buffer_store_dword v4, off, s[0:3], 0 offset:4
	buffer_store_dword v4, off, s[0:3], 0 offset:8
	;; [unrolled: 1-line block ×3, first 2 shown]
	v_add_co_u32 v2, s7, 0x80, v2
	v_add_co_ci_u32_e64 v3, null, 0, v3, s7
	v_cndmask_b32_e64 v2, 0, v2, s8
	v_cndmask_b32_e64 v3, s15, v3, s8
	flat_load_dwordx4 v[2:5], v[2:3]
	s_waitcnt vmcnt(0) lgkmcnt(0)
	ds_write_b128 v84, v[2:5]
.LBB59_73:
	s_or_b32 exec_lo, exec_lo, s12
	v_lshl_add_u32 v78, v1, 2, v78
	v_lshlrev_b32_e32 v83, 2, v77
	v_mov_b32_e32 v1, 0
	s_mov_b64 s[12:13], src_private_base
	v_mul_lo_u32 v2, s36, v78
	v_cmp_gt_u32_e64 s7, 16, v78
	v_mad_u32_u24 v77, 0xe0, v78, v83
	v_ashrrev_i32_e32 v3, 31, v2
	v_lshlrev_b64 v[55:56], 2, v[2:3]
	s_and_saveexec_b32 s12, s7
	s_cbranch_execz .LBB59_75
; %bb.74:
	v_add_co_u32 v2, s8, s10, v55
	v_add_co_ci_u32_e64 v3, null, s16, v56, s8
	buffer_store_dword v1, off, s[0:3], 0
	buffer_store_dword v1, off, s[0:3], 0 offset:4
	buffer_store_dword v1, off, s[0:3], 0 offset:8
	;; [unrolled: 1-line block ×3, first 2 shown]
	v_add_co_u32 v2, s8, v2, v83
	v_add_co_ci_u32_e64 v3, null, 0, v3, s8
	v_cmp_gt_i32_e64 s8, s22, v78
	v_cndmask_b32_e64 v3, s13, v3, s8
	v_cndmask_b32_e64 v2, 0, v2, s8
	flat_load_dwordx4 v[1:4], v[2:3]
	s_waitcnt vmcnt(0) lgkmcnt(0)
	ds_write_b128 v77, v[1:4]
.LBB59_75:
	s_or_b32 exec_lo, exec_lo, s12
	v_sub_f32_e32 v51, v51, v53
	v_sub_f32_e32 v85, v52, v54
	s_waitcnt lgkmcnt(0)
	s_waitcnt_vscnt null, 0x0
	s_barrier
	buffer_gl0_inv
	v_mul_f32_e32 v1, 0x3fb8aa3b, v51
	v_mul_f32_e32 v2, 0x3fb8aa3b, v85
	v_cmp_ngt_f32_e64 s8, 0xc2ce8ed0, v51
	ds_read2_b64 v[25:28], v69 offset1:28
	ds_read_b128 v[45:48], v71
	ds_read_b128 v[41:44], v71 offset:16
	v_fma_f32 v3, 0x3fb8aa3b, v51, -v1
	v_rndne_f32_e32 v4, v1
	v_fma_f32 v5, 0x3fb8aa3b, v85, -v2
	v_rndne_f32_e32 v9, v2
	ds_read_b128 v[37:40], v71 offset:32
	ds_read_b128 v[33:36], v71 offset:48
	v_fmac_f32_e32 v3, 0x32a5705f, v51
	v_sub_f32_e32 v1, v1, v4
	v_fmac_f32_e32 v5, 0x32a5705f, v85
	v_sub_f32_e32 v2, v2, v9
	v_cvt_i32_f32_e32 v4, v4
	v_cvt_i32_f32_e32 v52, v9
	v_add_f32_e32 v1, v1, v3
	v_add_nc_u32_e32 v3, 0x800, v69
	v_add_f32_e32 v2, v2, v5
	ds_read2_b64 v[29:32], v69 offset0:56 offset1:84
	ds_read2_b64 v[21:24], v69 offset0:112 offset1:140
	;; [unrolled: 1-line block ×3, first 2 shown]
	v_exp_f32_e32 v1, v1
	ds_read2_b64 v[5:8], v69 offset0:224 offset1:252
	v_exp_f32_e32 v2, v2
	ds_read2_b64 v[17:20], v3 offset0:24 offset1:52
	ds_read2_b64 v[9:12], v3 offset0:80 offset1:108
	s_or_b32 s10, s39, 16
	s_mul_hi_i32 s17, s10, s36
	s_mul_i32 s16, s10, s36
	v_ldexp_f32 v86, v1, v4
	s_lshl_b64 s[16:17], s[16:17], 2
	v_ldexp_f32 v52, v2, v52
	ds_read2_b64 v[1:4], v3 offset0:136 offset1:164
	s_waitcnt lgkmcnt(0)
	v_cndmask_b32_e64 v86, 0, v86, s8
	v_cmp_ngt_f32_e64 s8, 0xc2ce8ed0, v85
	s_barrier
	buffer_gl0_inv
	v_cndmask_b32_e64 v92, 0, v52, s8
	v_cmp_nlt_f32_e64 s8, 0x42b17218, v51
	v_cndmask_b32_e64 v52, 0x7f800000, v86, s8
	v_cmp_nlt_f32_e64 s8, 0x42b17218, v85
	v_cvt_f16_f32_e32 v85, v52
	v_cndmask_b32_e64 v51, 0x7f800000, v92, s8
	s_add_u32 s8, s37, s16
	s_addc_u32 s10, s38, s17
	s_add_i32 s22, s22, -16
	v_cvt_f16_f32_e32 v86, v51
	s_and_saveexec_b32 s12, vcc_lo
	s_cbranch_execz .LBB59_77
; %bb.76:
	v_add_co_u32 v57, vcc_lo, s8, v57
	v_add_co_ci_u32_e64 v58, null, s10, v58, vcc_lo
	v_add_co_u32 v57, vcc_lo, v57, v61
	v_add_co_ci_u32_e64 v58, null, 0, v58, vcc_lo
	;; [unrolled: 2-line block ×3, first 2 shown]
	v_cmp_gt_i32_e32 vcc_lo, s22, v49
	v_mov_b32_e32 v49, 0
	buffer_store_dword v49, off, s[0:3], 0
	buffer_store_dword v49, off, s[0:3], 0 offset:4
	buffer_store_dword v49, off, s[0:3], 0 offset:8
	;; [unrolled: 1-line block ×3, first 2 shown]
	v_cndmask_b32_e32 v58, s11, v58, vcc_lo
	v_cndmask_b32_e32 v57, 0, v57, vcc_lo
	flat_load_dwordx4 v[92:95], v[57:58]
	s_waitcnt vmcnt(0) lgkmcnt(0)
	ds_write_b128 v79, v[92:95]
.LBB59_77:
	s_or_b32 exec_lo, exec_lo, s12
	s_and_saveexec_b32 s11, s9
	s_cbranch_execz .LBB59_79
; %bb.78:
	v_add_co_u32 v49, vcc_lo, s8, v59
	v_add_co_ci_u32_e64 v57, null, s10, v60, vcc_lo
	v_mov_b32_e32 v59, 0
	v_add_co_u32 v49, vcc_lo, v49, v63
	v_add_co_ci_u32_e64 v57, null, 0, v57, vcc_lo
	buffer_store_dword v59, off, s[0:3], 0
	buffer_store_dword v59, off, s[0:3], 0 offset:4
	buffer_store_dword v59, off, s[0:3], 0 offset:8
	buffer_store_dword v59, off, s[0:3], 0 offset:12
	v_add_co_u32 v49, vcc_lo, 0x80, v49
	v_add_co_ci_u32_e64 v57, null, 0, v57, vcc_lo
	v_cmp_gt_i32_e32 vcc_lo, s22, v62
	v_cndmask_b32_e32 v58, s15, v57, vcc_lo
	v_cndmask_b32_e32 v57, 0, v49, vcc_lo
	flat_load_dwordx4 v[57:60], v[57:58]
	s_waitcnt vmcnt(0) lgkmcnt(0)
	ds_write_b128 v84, v[57:60]
.LBB59_79:
	s_or_b32 exec_lo, exec_lo, s11
	v_mov_b32_e32 v49, 0x10001
	v_mul_u32_u24_sdwa v98, v85, v49 dst_sel:DWORD dst_unused:UNUSED_PAD src0_sel:WORD_0 src1_sel:DWORD
	v_mul_u32_u24_sdwa v99, v86, v49 dst_sel:DWORD dst_unused:UNUSED_PAD src0_sel:WORD_0 src1_sel:DWORD
	;; [unrolled: 1-line block ×3, first 2 shown]
	v_mul_u32_u24_sdwa v97, v45, v49 dst_sel:DWORD dst_unused:UNUSED_PAD src0_sel:WORD_1 src1_sel:DWORD
	v_mul_u32_u24_sdwa v94, v46, v49 dst_sel:DWORD dst_unused:UNUSED_PAD src0_sel:WORD_0 src1_sel:DWORD
	v_mul_u32_u24_sdwa v95, v46, v49 dst_sel:DWORD dst_unused:UNUSED_PAD src0_sel:WORD_1 src1_sel:DWORD
	v_mul_u32_u24_sdwa v92, v47, v49 dst_sel:DWORD dst_unused:UNUSED_PAD src0_sel:WORD_0 src1_sel:DWORD
	;; [unrolled: 2-line block ×15, first 2 shown]
	v_mul_u32_u24_sdwa v34, v36, v49 dst_sel:DWORD dst_unused:UNUSED_PAD src0_sel:WORD_1 src1_sel:DWORD
	s_and_saveexec_b32 s9, s7
	s_cbranch_execz .LBB59_81
; %bb.80:
	v_add_co_u32 v36, vcc_lo, s8, v55
	v_add_co_ci_u32_e64 v55, null, s10, v56, vcc_lo
	v_add_co_u32 v36, vcc_lo, v36, v83
	v_add_co_ci_u32_e64 v55, null, 0, v55, vcc_lo
	v_cmp_gt_i32_e32 vcc_lo, s22, v78
	v_mov_b32_e32 v78, 0
	buffer_store_dword v78, off, s[0:3], 0
	buffer_store_dword v78, off, s[0:3], 0 offset:4
	buffer_store_dword v78, off, s[0:3], 0 offset:8
	;; [unrolled: 1-line block ×3, first 2 shown]
	v_cndmask_b32_e32 v56, s13, v55, vcc_lo
	v_cndmask_b32_e32 v55, 0, v36, vcc_lo
	flat_load_dwordx4 v[100:103], v[55:56]
	s_waitcnt vmcnt(0) lgkmcnt(0)
	ds_write_b128 v77, v[100:103]
.LBB59_81:
	s_or_b32 exec_lo, exec_lo, s9
	v_pk_mul_f16 v36, v25, v96
	v_pk_mul_f16 v25, v25, v97
	;; [unrolled: 1-line block ×4, first 2 shown]
	s_waitcnt lgkmcnt(0)
	s_waitcnt_vscnt null, 0x0
	v_pk_fma_f16 v36, v74, v98, v36
	v_pk_fma_f16 v25, v73, v99, v25
	v_pk_fma_f16 v55, v26, v96, v55
	v_pk_fma_f16 v26, v26, v97, v56
	s_barrier
	v_pk_fma_f16 v36, v27, v94, v36
	v_pk_fma_f16 v25, v27, v95, v25
	;; [unrolled: 1-line block ×4, first 2 shown]
	buffer_gl0_inv
	v_pk_fma_f16 v28, v29, v92, v36
	v_pk_fma_f16 v25, v29, v93, v25
	;; [unrolled: 1-line block ×4, first 2 shown]
	v_fmac_f32_e32 v76, v81, v52
	v_pk_fma_f16 v36, v31, v85, v28
	v_pk_fma_f16 v31, v31, v86, v25
	v_pk_fma_f16 v55, v32, v85, v29
	v_pk_fma_f16 v56, v32, v86, v30
	ds_read2_b64 v[25:28], v69 offset1:28
	v_pk_fma_f16 v36, v21, v79, v36
	v_pk_fma_f16 v21, v21, v84, v31
	;; [unrolled: 1-line block ×4, first 2 shown]
	ds_read_b128 v[29:32], v71 offset:64
	ds_read_b128 v[72:75], v71 offset:80
	v_pk_fma_f16 v36, v23, v62, v36
	v_pk_fma_f16 v21, v23, v63, v21
	v_pk_fma_f16 v55, v24, v62, v55
	v_pk_fma_f16 v56, v24, v63, v22
	ds_read2_b64 v[83:86], v69 offset0:56 offset1:84
	v_pk_fma_f16 v36, v13, v60, v36
	v_pk_fma_f16 v13, v13, v61, v21
	v_pk_fma_f16 v55, v14, v60, v55
	v_pk_fma_f16 v14, v14, v61, v56
	ds_read2_b64 v[21:24], v69 offset0:112 offset1:140
	;; [unrolled: 5-line block ×3, first 2 shown]
	v_pk_fma_f16 v16, v5, v48, v36
	v_pk_fma_f16 v5, v5, v57, v13
	;; [unrolled: 1-line block ×4, first 2 shown]
	s_waitcnt lgkmcnt(4)
	v_mul_u32_u24_sdwa v13, v29, v49 dst_sel:DWORD dst_unused:UNUSED_PAD src0_sel:WORD_0 src1_sel:DWORD
	v_pk_fma_f16 v14, v7, v46, v16
	v_pk_fma_f16 v5, v7, v47, v5
	v_pk_fma_f16 v15, v8, v46, v15
	v_pk_fma_f16 v6, v8, v47, v6
	v_mul_u32_u24_sdwa v7, v29, v49 dst_sel:DWORD dst_unused:UNUSED_PAD src0_sel:WORD_1 src1_sel:DWORD
	v_pk_fma_f16 v8, v17, v44, v14
	v_pk_fma_f16 v5, v17, v45, v5
	v_pk_fma_f16 v15, v18, v44, v15
	v_pk_fma_f16 v6, v18, v45, v6
	v_mul_u32_u24_sdwa v14, v30, v49 dst_sel:DWORD dst_unused:UNUSED_PAD src0_sel:WORD_0 src1_sel:DWORD
	v_pk_fma_f16 v8, v19, v42, v8
	v_pk_fma_f16 v5, v19, v43, v5
	v_pk_fma_f16 v15, v20, v42, v15
	v_pk_fma_f16 v6, v20, v43, v6
	v_mul_u32_u24_sdwa v16, v30, v49 dst_sel:DWORD dst_unused:UNUSED_PAD src0_sel:WORD_1 src1_sel:DWORD
	v_pk_fma_f16 v8, v9, v40, v8
	v_pk_fma_f16 v5, v9, v41, v5
	v_pk_fma_f16 v15, v10, v40, v15
	v_pk_fma_f16 v6, v10, v41, v6
	;; [unrolled: 10-line block ×4, first 2 shown]
	s_waitcnt lgkmcnt(3)
	v_mul_u32_u24_sdwa v6, v72, v49 dst_sel:DWORD dst_unused:UNUSED_PAD src0_sel:WORD_0 src1_sel:DWORD
	v_pk_fma_f16 v4, v27, v14, v4
	v_pk_fma_f16 v1, v27, v16, v1
	v_pk_fma_f16 v8, v28, v14, v8
	v_pk_fma_f16 v2, v28, v16, v2
	v_mul_u32_u24_sdwa v7, v72, v49 dst_sel:DWORD dst_unused:UNUSED_PAD src0_sel:WORD_1 src1_sel:DWORD
	s_waitcnt lgkmcnt(2)
	v_pk_fma_f16 v4, v83, v9, v4
	v_pk_fma_f16 v1, v83, v10, v1
	;; [unrolled: 1-line block ×4, first 2 shown]
	v_mul_u32_u24_sdwa v13, v73, v49 dst_sel:DWORD dst_unused:UNUSED_PAD src0_sel:WORD_0 src1_sel:DWORD
	v_pk_fma_f16 v4, v85, v5, v4
	v_pk_fma_f16 v1, v85, v3, v1
	v_mul_u32_u24_sdwa v14, v73, v49 dst_sel:DWORD dst_unused:UNUSED_PAD src0_sel:WORD_1 src1_sel:DWORD
	v_pk_fma_f16 v5, v86, v5, v8
	v_pk_fma_f16 v8, v86, v3, v2
	s_waitcnt lgkmcnt(1)
	v_pk_fma_f16 v9, v21, v6, v4
	v_pk_fma_f16 v10, v21, v7, v1
	ds_read_b128 v[1:4], v71 offset:96
	v_pk_fma_f16 v15, v22, v6, v5
	v_pk_fma_f16 v16, v22, v7, v8
	;; [unrolled: 1-line block ×4, first 2 shown]
	v_mul_u32_u24_sdwa v19, v74, v49 dst_sel:DWORD dst_unused:UNUSED_PAD src0_sel:WORD_0 src1_sel:DWORD
	ds_read2_b64 v[5:8], v69 offset0:224 offset1:252
	v_mul_u32_u24_sdwa v20, v74, v49 dst_sel:DWORD dst_unused:UNUSED_PAD src0_sel:WORD_1 src1_sel:DWORD
	v_pk_fma_f16 v13, v24, v13, v15
	v_pk_fma_f16 v14, v24, v14, v16
	s_waitcnt lgkmcnt(2)
	v_pk_fma_f16 v15, v60, v19, v17
	v_mul_u32_u24_sdwa v17, v75, v49 dst_sel:DWORD dst_unused:UNUSED_PAD src0_sel:WORD_0 src1_sel:DWORD
	v_pk_fma_f16 v16, v60, v20, v18
	v_mul_u32_u24_sdwa v18, v75, v49 dst_sel:DWORD dst_unused:UNUSED_PAD src0_sel:WORD_1 src1_sel:DWORD
	v_add_nc_u32_e32 v21, 0x800, v69
	v_pk_fma_f16 v19, v61, v19, v13
	v_pk_fma_f16 v20, v61, v20, v14
	;; [unrolled: 1-line block ×4, first 2 shown]
	ds_read2_b64 v[13:16], v21 offset0:24 offset1:52
	ds_read_b128 v[9:12], v71 offset:112
	s_waitcnt lgkmcnt(3)
	v_mul_u32_u24_sdwa v24, v1, v49 dst_sel:DWORD dst_unused:UNUSED_PAD src0_sel:WORD_0 src1_sel:DWORD
	v_mul_u32_u24_sdwa v1, v1, v49 dst_sel:DWORD dst_unused:UNUSED_PAD src0_sel:WORD_1 src1_sel:DWORD
	v_pk_fma_f16 v17, v63, v17, v19
	v_pk_fma_f16 v18, v63, v18, v20
	v_fmac_f32_e32 v82, v80, v51
	s_waitcnt lgkmcnt(2)
	v_pk_fma_f16 v19, v5, v24, v22
	v_pk_fma_f16 v5, v5, v1, v23
	v_mul_u32_u24_sdwa v22, v2, v49 dst_sel:DWORD dst_unused:UNUSED_PAD src0_sel:WORD_0 src1_sel:DWORD
	v_mul_u32_u24_sdwa v2, v2, v49 dst_sel:DWORD dst_unused:UNUSED_PAD src0_sel:WORD_1 src1_sel:DWORD
	v_pk_fma_f16 v23, v6, v24, v17
	v_pk_fma_f16 v1, v6, v1, v18
	v_mov_b32_e32 v51, v53
	v_pk_fma_f16 v6, v7, v22, v19
	v_pk_fma_f16 v5, v7, v2, v5
	v_mul_u32_u24_sdwa v7, v3, v49 dst_sel:DWORD dst_unused:UNUSED_PAD src0_sel:WORD_0 src1_sel:DWORD
	ds_read2_b64 v[17:20], v21 offset0:80 offset1:108
	v_mul_u32_u24_sdwa v3, v3, v49 dst_sel:DWORD dst_unused:UNUSED_PAD src0_sel:WORD_1 src1_sel:DWORD
	v_pk_fma_f16 v22, v8, v22, v23
	v_pk_fma_f16 v1, v8, v2, v1
	s_waitcnt lgkmcnt(2)
	v_pk_fma_f16 v2, v13, v7, v6
	v_mul_u32_u24_sdwa v6, v4, v49 dst_sel:DWORD dst_unused:UNUSED_PAD src0_sel:WORD_0 src1_sel:DWORD
	v_pk_fma_f16 v5, v13, v3, v5
	v_mul_u32_u24_sdwa v8, v4, v49 dst_sel:DWORD dst_unused:UNUSED_PAD src0_sel:WORD_1 src1_sel:DWORD
	v_pk_fma_f16 v7, v14, v7, v22
	v_pk_fma_f16 v13, v14, v3, v1
	;; [unrolled: 1-line block ×3, first 2 shown]
	ds_read2_b64 v[1:4], v21 offset0:136 offset1:164
	v_pk_fma_f16 v5, v15, v8, v5
	s_waitcnt lgkmcnt(2)
	v_mul_u32_u24_sdwa v15, v9, v49 dst_sel:DWORD dst_unused:UNUSED_PAD src0_sel:WORD_0 src1_sel:DWORD
	v_mul_u32_u24_sdwa v9, v9, v49 dst_sel:DWORD dst_unused:UNUSED_PAD src0_sel:WORD_1 src1_sel:DWORD
	v_pk_fma_f16 v6, v16, v6, v7
	v_pk_fma_f16 v7, v16, v8, v13
	v_mul_u32_u24_sdwa v13, v10, v49 dst_sel:DWORD dst_unused:UNUSED_PAD src0_sel:WORD_0 src1_sel:DWORD
	v_mul_u32_u24_sdwa v10, v10, v49 dst_sel:DWORD dst_unused:UNUSED_PAD src0_sel:WORD_1 src1_sel:DWORD
	v_mov_b32_e32 v80, v82
	s_waitcnt lgkmcnt(1)
	v_pk_fma_f16 v8, v17, v15, v14
	v_pk_fma_f16 v5, v17, v9, v5
	;; [unrolled: 1-line block ×4, first 2 shown]
	v_mul_u32_u24_sdwa v9, v11, v49 dst_sel:DWORD dst_unused:UNUSED_PAD src0_sel:WORD_0 src1_sel:DWORD
	v_pk_fma_f16 v8, v19, v13, v8
	v_pk_fma_f16 v5, v19, v10, v5
	v_mul_u32_u24_sdwa v11, v11, v49 dst_sel:DWORD dst_unused:UNUSED_PAD src0_sel:WORD_1 src1_sel:DWORD
	v_pk_fma_f16 v6, v20, v13, v6
	v_pk_fma_f16 v7, v20, v10, v7
	v_mul_u32_u24_sdwa v10, v12, v49 dst_sel:DWORD dst_unused:UNUSED_PAD src0_sel:WORD_1 src1_sel:DWORD
	s_waitcnt lgkmcnt(0)
	v_pk_fma_f16 v8, v1, v9, v8
	v_pk_fma_f16 v1, v1, v11, v5
	v_mul_u32_u24_sdwa v5, v12, v49 dst_sel:DWORD dst_unused:UNUSED_PAD src0_sel:WORD_0 src1_sel:DWORD
	v_pk_fma_f16 v6, v2, v9, v6
	v_pk_fma_f16 v2, v2, v11, v7
	v_mov_b32_e32 v81, v76
	v_pk_fma_f16 v73, v3, v10, v1
	v_pk_fma_f16 v74, v3, v5, v8
	;; [unrolled: 1-line block ×4, first 2 shown]
	v_mov_b32_e32 v52, v54
	s_barrier
	buffer_gl0_inv
.LBB59_82:
	v_cmp_lt_i32_e32 vcc_lo, v87, v90
	s_cmp_eq_u64 s[20:21], 0
	s_cselect_b32 s7, -1, 0
	s_cmp_lg_u32 s34, 0
	v_cndmask_b32_e32 v1, v70, v87, vcc_lo
	v_cmp_lt_i32_e32 vcc_lo, v64, v90
	s_cselect_b32 s8, -1, 0
	s_or_b32 s7, s8, s7
	v_lshlrev_b32_e32 v1, 2, v1
	v_cndmask_b32_e32 v3, v70, v64, vcc_lo
	v_cmp_lt_i32_e32 vcc_lo, v88, v90
	ds_bpermute_b32 v2, v1, v81
	ds_bpermute_b32 v1, v1, v80
	v_lshlrev_b32_e32 v3, 2, v3
	v_cndmask_b32_e32 v5, v70, v88, vcc_lo
	v_cmp_lt_i32_e32 vcc_lo, v89, v90
	v_lshlrev_b32_e32 v5, 2, v5
	s_waitcnt lgkmcnt(1)
	v_add_f32_e32 v2, v81, v2
	s_waitcnt lgkmcnt(0)
	v_add_f32_e32 v1, v80, v1
	ds_bpermute_b32 v4, v3, v2
	ds_bpermute_b32 v3, v3, v1
	s_waitcnt lgkmcnt(1)
	v_add_f32_e32 v2, v2, v4
	s_waitcnt lgkmcnt(0)
	v_add_f32_e32 v1, v1, v3
	ds_bpermute_b32 v3, v5, v2
	ds_bpermute_b32 v4, v5, v1
	v_cndmask_b32_e32 v5, v70, v89, vcc_lo
	v_cmp_lt_i32_e32 vcc_lo, v91, v90
	v_lshlrev_b32_e32 v5, 2, v5
	s_waitcnt lgkmcnt(1)
	v_add_f32_e32 v2, v2, v3
	s_waitcnt lgkmcnt(0)
	v_add_f32_e32 v1, v1, v4
	ds_bpermute_b32 v3, v5, v2
	ds_bpermute_b32 v4, v5, v1
	v_cndmask_b32_e32 v5, v70, v91, vcc_lo
	s_and_b32 vcc_lo, exec_lo, s7
	v_lshlrev_b32_e32 v5, 2, v5
	s_waitcnt lgkmcnt(1)
	v_add_f32_e32 v2, v2, v3
	s_waitcnt lgkmcnt(0)
	v_add_f32_e32 v3, v1, v4
	ds_bpermute_b32 v1, v5, v2
	ds_bpermute_b32 v4, v5, v3
	s_waitcnt lgkmcnt(1)
	v_add_f32_e32 v1, v2, v1
	s_waitcnt lgkmcnt(0)
	v_add_f32_e32 v2, v3, v4
	s_cbranch_vccnz .LBB59_85
; %bb.83:
	s_lshl_b64 s[8:9], s[18:19], 2
	v_mov_b32_e32 v3, 0
	s_add_u32 s8, s20, s8
	s_addc_u32 s9, s21, s9
	v_max_f32_e32 v4, v51, v51
	v_max_f32_e32 v7, v52, v52
	global_load_dword v3, v3, s[8:9]
	s_waitcnt vmcnt(0)
	v_max_f32_e32 v6, v3, v3
	v_max_f32_e32 v5, v4, v6
	;; [unrolled: 1-line block ×3, first 2 shown]
	v_sub_f32_e32 v4, v51, v5
	v_sub_f32_e32 v7, v3, v5
	;; [unrolled: 1-line block ×4, first 2 shown]
	v_mov_b32_e32 v52, v6
	v_mul_f32_e32 v3, 0x3fb8aa3b, v4
	v_mul_f32_e32 v10, 0x3fb8aa3b, v7
	;; [unrolled: 1-line block ×4, first 2 shown]
	v_cmp_ngt_f32_e32 vcc_lo, 0xc2ce8ed0, v4
	v_fma_f32 v13, 0x3fb8aa3b, v4, -v3
	v_rndne_f32_e32 v14, v3
	v_fma_f32 v15, 0x3fb8aa3b, v7, -v10
	v_rndne_f32_e32 v16, v10
	v_fma_f32 v17, 0x3fb8aa3b, v8, -v11
	v_fmac_f32_e32 v13, 0x32a5705f, v4
	v_sub_f32_e32 v3, v3, v14
	v_rndne_f32_e32 v18, v11
	v_fmac_f32_e32 v15, 0x32a5705f, v7
	v_sub_f32_e32 v10, v10, v16
	v_fma_f32 v19, 0x3fb8aa3b, v9, -v12
	v_add_f32_e32 v3, v3, v13
	v_rndne_f32_e32 v20, v12
	v_fmac_f32_e32 v17, 0x32a5705f, v8
	v_sub_f32_e32 v11, v11, v18
	v_add_f32_e32 v10, v10, v15
	v_exp_f32_e32 v3, v3
	v_fmac_f32_e32 v19, 0x32a5705f, v9
	v_sub_f32_e32 v12, v12, v20
	v_add_f32_e32 v11, v11, v17
	v_exp_f32_e32 v10, v10
	v_cvt_i32_f32_e32 v13, v14
	v_cvt_i32_f32_e32 v14, v16
	v_add_f32_e32 v12, v12, v19
	v_exp_f32_e32 v11, v11
	v_cvt_i32_f32_e32 v15, v18
	v_ldexp_f32 v3, v3, v13
	v_cvt_i32_f32_e32 v16, v20
	v_exp_f32_e32 v12, v12
	v_mov_b32_e32 v17, 0x10001
	v_ldexp_f32 v10, v10, v14
	v_cndmask_b32_e32 v3, 0, v3, vcc_lo
	v_cmp_ngt_f32_e32 vcc_lo, 0xc2ce8ed0, v7
	v_mov_b32_e32 v51, v5
	v_ldexp_f32 v11, v11, v15
	v_cndmask_b32_e32 v10, 0, v10, vcc_lo
	v_cmp_ngt_f32_e32 vcc_lo, 0xc2ce8ed0, v8
	v_ldexp_f32 v12, v12, v16
	v_cndmask_b32_e32 v11, 0, v11, vcc_lo
	v_cmp_ngt_f32_e32 vcc_lo, 0xc2ce8ed0, v9
	v_cndmask_b32_e32 v12, 0, v12, vcc_lo
	v_cmp_nlt_f32_e32 vcc_lo, 0x42b17218, v4
	v_cndmask_b32_e32 v13, 0x7f800000, v3, vcc_lo
	v_cmp_nlt_f32_e32 vcc_lo, 0x42b17218, v7
	;; [unrolled: 2-line block ×3, first 2 shown]
	v_cvt_f16_f32_e32 v8, v13
	v_fmac_f32_e32 v3, v1, v13
	v_cndmask_b32_e32 v7, 0x7f800000, v11, vcc_lo
	v_cmp_nlt_f32_e32 vcc_lo, 0x42b17218, v9
	v_cvt_f16_f32_e32 v9, v7
	v_cndmask_b32_e32 v4, 0x7f800000, v12, vcc_lo
	v_fmac_f32_e32 v4, v2, v7
	v_mul_u32_u24_sdwa v7, v8, v17 dst_sel:DWORD dst_unused:UNUSED_PAD src0_sel:WORD_0 src1_sel:DWORD
	v_mul_u32_u24_sdwa v8, v9, v17 dst_sel:DWORD dst_unused:UNUSED_PAD src0_sel:WORD_0 src1_sel:DWORD
	v_mov_b32_e32 v1, v3
	v_mov_b32_e32 v2, v4
	v_pk_mul_f16 v74, v74, v7
	v_pk_mul_f16 v75, v75, v7
	;; [unrolled: 1-line block ×4, first 2 shown]
	s_mov_b32 s7, exec_lo
	v_cmpx_gt_i32_e64 s30, v68
	s_cbranch_execnz .LBB59_86
.LBB59_84:
	s_endpgm
.LBB59_85:
	v_mov_b32_e32 v3, v1
	v_mov_b32_e32 v4, v2
	s_mov_b32 s7, exec_lo
	v_cmpx_gt_i32_e64 s30, v68
	s_cbranch_execz .LBB59_84
.LBB59_86:
	s_load_dword s4, s[4:5], 0xd4
	v_mov_b32_e32 v7, 1.0
	s_waitcnt lgkmcnt(0)
	s_cmp_lg_u32 s4, 1
	s_cselect_b32 s8, -1, 0
	s_cmp_eq_u32 s4, 1
	s_cselect_b32 s5, -1, 0
	s_and_b32 vcc_lo, exec_lo, s8
	s_cbranch_vccnz .LBB59_88
; %bb.87:
	v_div_scale_f32 v5, null, v3, v3, 1.0
	v_rcp_f32_e32 v6, v5
	v_fma_f32 v7, -v5, v6, 1.0
	v_fmac_f32_e32 v6, v7, v6
	v_div_scale_f32 v7, vcc_lo, 1.0, v3, 1.0
	v_mul_f32_e32 v8, v7, v6
	v_fma_f32 v9, -v5, v8, v7
	v_fmac_f32_e32 v8, v9, v6
	v_fma_f32 v5, -v5, v8, v7
	v_div_fmas_f32 v5, v5, v6, v8
	v_div_fixup_f32 v7, v5, v3, 1.0
.LBB59_88:
	s_mul_i32 s7, s33, s30
	s_add_i32 s7, s7, s35
	v_add_nc_u32_e32 v3, s7, v67
	v_mad_u64_u32 v[5:6], null, v3, s31, s[18:19]
	v_mad_u64_u32 v[5:6], null, s4, v5, s[34:35]
	s_and_saveexec_b32 s9, s6
	s_cbranch_execz .LBB59_90
; %bb.89:
	v_mad_u64_u32 v[8:9], null, 0x70, v5, v[50:51]
	v_mov_b32_e32 v9, 0
	v_cvt_f32_f16_sdwa v3, v75 dst_sel:DWORD dst_unused:UNUSED_PAD src0_sel:WORD_1
	v_cvt_f32_f16_e32 v6, v75
	v_cvt_f32_f16_sdwa v13, v74 dst_sel:DWORD dst_unused:UNUSED_PAD src0_sel:WORD_1
	v_cvt_f32_f16_e32 v14, v74
	v_mul_f32_e32 v10, v7, v3
	v_lshlrev_b64 v[11:12], 2, v[8:9]
	v_mul_f32_e32 v9, v7, v6
	v_mul_f32_e32 v8, v7, v13
	;; [unrolled: 1-line block ×3, first 2 shown]
	v_add_co_u32 v11, vcc_lo, s24, v11
	v_add_co_ci_u32_e64 v12, null, s25, v12, vcc_lo
	global_store_dwordx4 v[11:12], v[7:10], off
.LBB59_90:
	s_or_b32 exec_lo, exec_lo, s9
	v_cmp_eq_u32_e32 vcc_lo, 0, v0
	s_and_b32 s8, vcc_lo, s8
	s_and_saveexec_b32 s9, s8
	s_cbranch_execz .LBB59_92
; %bb.91:
	v_ashrrev_i32_e32 v6, 31, v5
	v_mov_b32_e32 v0, v51
	v_lshlrev_b64 v[5:6], 3, v[5:6]
	v_add_co_u32 v5, vcc_lo, s26, v5
	v_add_co_ci_u32_e64 v6, null, s27, v6, vcc_lo
	global_store_dwordx2 v[5:6], v[0:1], off
.LBB59_92:
	s_or_b32 exec_lo, exec_lo, s9
	v_cmp_gt_i32_e32 vcc_lo, s30, v66
	s_and_b32 exec_lo, exec_lo, vcc_lo
	s_cbranch_execz .LBB59_84
; %bb.93:
	v_mov_b32_e32 v3, 1.0
	s_andn2_b32 vcc_lo, exec_lo, s5
	s_cbranch_vccnz .LBB59_95
; %bb.94:
	v_div_scale_f32 v0, null, v4, v4, 1.0
	v_rcp_f32_e32 v1, v0
	v_fma_f32 v3, -v0, v1, 1.0
	v_fmac_f32_e32 v1, v3, v1
	v_div_scale_f32 v3, vcc_lo, 1.0, v4, 1.0
	v_mul_f32_e32 v5, v3, v1
	v_fma_f32 v6, -v0, v5, v3
	v_fmac_f32_e32 v5, v6, v1
	v_fma_f32 v0, -v0, v5, v3
	v_div_fmas_f32 v0, v0, v1, v5
	v_div_fixup_f32 v3, v0, v4, 1.0
.LBB59_95:
	v_add_nc_u32_e32 v0, s7, v65
	v_mad_u64_u32 v[0:1], null, v0, s31, s[18:19]
	v_mad_u64_u32 v[0:1], null, s4, v0, s[34:35]
	s_and_saveexec_b32 s4, s6
	s_cbranch_execz .LBB59_97
; %bb.96:
	v_mad_u64_u32 v[4:5], null, 0x70, v0, v[50:51]
	v_mov_b32_e32 v5, 0
	v_cvt_f32_f16_sdwa v1, v72 dst_sel:DWORD dst_unused:UNUSED_PAD src0_sel:WORD_1
	v_cvt_f32_f16_e32 v9, v72
	v_cvt_f32_f16_sdwa v10, v73 dst_sel:DWORD dst_unused:UNUSED_PAD src0_sel:WORD_1
	v_cvt_f32_f16_e32 v11, v73
	v_mul_f32_e32 v6, v3, v1
	v_lshlrev_b64 v[7:8], 2, v[4:5]
	v_mul_f32_e32 v5, v3, v9
	v_mul_f32_e32 v4, v3, v10
	;; [unrolled: 1-line block ×3, first 2 shown]
	v_add_co_u32 v7, vcc_lo, s24, v7
	v_add_co_ci_u32_e64 v8, null, s25, v8, vcc_lo
	global_store_dwordx4 v[7:8], v[3:6], off
.LBB59_97:
	s_or_b32 exec_lo, exec_lo, s4
	s_and_b32 exec_lo, exec_lo, s8
	s_cbranch_execz .LBB59_84
; %bb.98:
	v_ashrrev_i32_e32 v1, 31, v0
	v_lshlrev_b64 v[0:1], 3, v[0:1]
	v_add_co_u32 v3, vcc_lo, s26, v0
	v_add_co_ci_u32_e64 v4, null, s27, v1, vcc_lo
	v_mov_b32_e32 v1, v52
	global_store_dwordx2 v[3:4], v[1:2], off
	s_endpgm
	.section	.rodata,"a",@progbits
	.p2align	6, 0x0
	.amdhsa_kernel _ZL15flash_attn_tileILi112ELi112ELi16ELi1ELb0EEvPKcS1_S1_S1_S1_PKiPfP15HIP_vector_typeIfLj2EEffffjfiS5_IjLj3EEiiiiiiiiiiiliiliiiiil
		.amdhsa_group_segment_fixed_size 8768
		.amdhsa_private_segment_fixed_size 32
		.amdhsa_kernarg_size 464
		.amdhsa_user_sgpr_count 8
		.amdhsa_user_sgpr_private_segment_buffer 1
		.amdhsa_user_sgpr_dispatch_ptr 0
		.amdhsa_user_sgpr_queue_ptr 0
		.amdhsa_user_sgpr_kernarg_segment_ptr 1
		.amdhsa_user_sgpr_dispatch_id 0
		.amdhsa_user_sgpr_flat_scratch_init 1
		.amdhsa_user_sgpr_private_segment_size 0
		.amdhsa_wavefront_size32 1
		.amdhsa_uses_dynamic_stack 0
		.amdhsa_system_sgpr_private_segment_wavefront_offset 1
		.amdhsa_system_sgpr_workgroup_id_x 1
		.amdhsa_system_sgpr_workgroup_id_y 1
		.amdhsa_system_sgpr_workgroup_id_z 1
		.amdhsa_system_sgpr_workgroup_info 0
		.amdhsa_system_vgpr_workitem_id 1
		.amdhsa_next_free_vgpr 122
		.amdhsa_next_free_sgpr 52
		.amdhsa_reserve_vcc 1
		.amdhsa_reserve_flat_scratch 1
		.amdhsa_float_round_mode_32 0
		.amdhsa_float_round_mode_16_64 0
		.amdhsa_float_denorm_mode_32 3
		.amdhsa_float_denorm_mode_16_64 3
		.amdhsa_dx10_clamp 1
		.amdhsa_ieee_mode 1
		.amdhsa_fp16_overflow 0
		.amdhsa_workgroup_processor_mode 1
		.amdhsa_memory_ordered 1
		.amdhsa_forward_progress 1
		.amdhsa_shared_vgpr_count 0
		.amdhsa_exception_fp_ieee_invalid_op 0
		.amdhsa_exception_fp_denorm_src 0
		.amdhsa_exception_fp_ieee_div_zero 0
		.amdhsa_exception_fp_ieee_overflow 0
		.amdhsa_exception_fp_ieee_underflow 0
		.amdhsa_exception_fp_ieee_inexact 0
		.amdhsa_exception_int_div_zero 0
	.end_amdhsa_kernel
	.section	.text._ZL15flash_attn_tileILi112ELi112ELi16ELi1ELb0EEvPKcS1_S1_S1_S1_PKiPfP15HIP_vector_typeIfLj2EEffffjfiS5_IjLj3EEiiiiiiiiiiiliiliiiiil,"axG",@progbits,_ZL15flash_attn_tileILi112ELi112ELi16ELi1ELb0EEvPKcS1_S1_S1_S1_PKiPfP15HIP_vector_typeIfLj2EEffffjfiS5_IjLj3EEiiiiiiiiiiiliiliiiiil,comdat
.Lfunc_end59:
	.size	_ZL15flash_attn_tileILi112ELi112ELi16ELi1ELb0EEvPKcS1_S1_S1_S1_PKiPfP15HIP_vector_typeIfLj2EEffffjfiS5_IjLj3EEiiiiiiiiiiiliiliiiiil, .Lfunc_end59-_ZL15flash_attn_tileILi112ELi112ELi16ELi1ELb0EEvPKcS1_S1_S1_S1_PKiPfP15HIP_vector_typeIfLj2EEffffjfiS5_IjLj3EEiiiiiiiiiiiliiliiiiil
                                        ; -- End function
	.set _ZL15flash_attn_tileILi112ELi112ELi16ELi1ELb0EEvPKcS1_S1_S1_S1_PKiPfP15HIP_vector_typeIfLj2EEffffjfiS5_IjLj3EEiiiiiiiiiiiliiliiiiil.num_vgpr, 122
	.set _ZL15flash_attn_tileILi112ELi112ELi16ELi1ELb0EEvPKcS1_S1_S1_S1_PKiPfP15HIP_vector_typeIfLj2EEffffjfiS5_IjLj3EEiiiiiiiiiiiliiliiiiil.num_agpr, 0
	.set _ZL15flash_attn_tileILi112ELi112ELi16ELi1ELb0EEvPKcS1_S1_S1_S1_PKiPfP15HIP_vector_typeIfLj2EEffffjfiS5_IjLj3EEiiiiiiiiiiiliiliiiiil.numbered_sgpr, 52
	.set _ZL15flash_attn_tileILi112ELi112ELi16ELi1ELb0EEvPKcS1_S1_S1_S1_PKiPfP15HIP_vector_typeIfLj2EEffffjfiS5_IjLj3EEiiiiiiiiiiiliiliiiiil.num_named_barrier, 0
	.set _ZL15flash_attn_tileILi112ELi112ELi16ELi1ELb0EEvPKcS1_S1_S1_S1_PKiPfP15HIP_vector_typeIfLj2EEffffjfiS5_IjLj3EEiiiiiiiiiiiliiliiiiil.private_seg_size, 32
	.set _ZL15flash_attn_tileILi112ELi112ELi16ELi1ELb0EEvPKcS1_S1_S1_S1_PKiPfP15HIP_vector_typeIfLj2EEffffjfiS5_IjLj3EEiiiiiiiiiiiliiliiiiil.uses_vcc, 1
	.set _ZL15flash_attn_tileILi112ELi112ELi16ELi1ELb0EEvPKcS1_S1_S1_S1_PKiPfP15HIP_vector_typeIfLj2EEffffjfiS5_IjLj3EEiiiiiiiiiiiliiliiiiil.uses_flat_scratch, 1
	.set _ZL15flash_attn_tileILi112ELi112ELi16ELi1ELb0EEvPKcS1_S1_S1_S1_PKiPfP15HIP_vector_typeIfLj2EEffffjfiS5_IjLj3EEiiiiiiiiiiiliiliiiiil.has_dyn_sized_stack, 0
	.set _ZL15flash_attn_tileILi112ELi112ELi16ELi1ELb0EEvPKcS1_S1_S1_S1_PKiPfP15HIP_vector_typeIfLj2EEffffjfiS5_IjLj3EEiiiiiiiiiiiliiliiiiil.has_recursion, 0
	.set _ZL15flash_attn_tileILi112ELi112ELi16ELi1ELb0EEvPKcS1_S1_S1_S1_PKiPfP15HIP_vector_typeIfLj2EEffffjfiS5_IjLj3EEiiiiiiiiiiiliiliiiiil.has_indirect_call, 0
	.section	.AMDGPU.csdata,"",@progbits
; Kernel info:
; codeLenInByte = 18352
; TotalNumSgprs: 54
; NumVgprs: 122
; ScratchSize: 32
; MemoryBound: 0
; FloatMode: 240
; IeeeMode: 1
; LDSByteSize: 8768 bytes/workgroup (compile time only)
; SGPRBlocks: 0
; VGPRBlocks: 15
; NumSGPRsForWavesPerEU: 54
; NumVGPRsForWavesPerEU: 122
; Occupancy: 8
; WaveLimiterHint : 1
; COMPUTE_PGM_RSRC2:SCRATCH_EN: 1
; COMPUTE_PGM_RSRC2:USER_SGPR: 8
; COMPUTE_PGM_RSRC2:TRAP_HANDLER: 0
; COMPUTE_PGM_RSRC2:TGID_X_EN: 1
; COMPUTE_PGM_RSRC2:TGID_Y_EN: 1
; COMPUTE_PGM_RSRC2:TGID_Z_EN: 1
; COMPUTE_PGM_RSRC2:TIDIG_COMP_CNT: 1
	.section	.text._ZL33flash_attn_stream_k_fixup_uniformILi112ELi16ELi1EEvPfPK15HIP_vector_typeIfLj2EEiiiiiiS1_IjLj3EES5_S5_,"axG",@progbits,_ZL33flash_attn_stream_k_fixup_uniformILi112ELi16ELi1EEvPfPK15HIP_vector_typeIfLj2EEiiiiiiS1_IjLj3EES5_S5_,comdat
	.globl	_ZL33flash_attn_stream_k_fixup_uniformILi112ELi16ELi1EEvPfPK15HIP_vector_typeIfLj2EEiiiiiiS1_IjLj3EES5_S5_ ; -- Begin function _ZL33flash_attn_stream_k_fixup_uniformILi112ELi16ELi1EEvPfPK15HIP_vector_typeIfLj2EEiiiiiiS1_IjLj3EES5_S5_
	.p2align	8
	.type	_ZL33flash_attn_stream_k_fixup_uniformILi112ELi16ELi1EEvPfPK15HIP_vector_typeIfLj2EEiiiiiiS1_IjLj3EES5_S5_,@function
_ZL33flash_attn_stream_k_fixup_uniformILi112ELi16ELi1EEvPfPK15HIP_vector_typeIfLj2EEiiiiiiS1_IjLj3EES5_S5_: ; @_ZL33flash_attn_stream_k_fixup_uniformILi112ELi16ELi1EEvPfPK15HIP_vector_typeIfLj2EEiiiiiiS1_IjLj3EES5_S5_
; %bb.0:
	s_clause 0x2
	s_load_dwordx8 s[12:19], s[4:5], 0x1c
	s_load_dwordx4 s[20:23], s[4:5], 0x3c
	s_load_dwordx2 s[10:11], s[4:5], 0x10
	s_waitcnt lgkmcnt(0)
	s_mul_hi_u32 s0, s15, s6
	s_add_i32 s0, s6, s0
	s_lshr_b32 s0, s0, s16
	s_mul_i32 s1, s0, s17
	s_sub_i32 s1, s6, s1
	s_mul_hi_u32 s2, s1, s18
	s_add_i32 s2, s1, s2
	s_lshr_b32 s9, s2, s19
	s_mul_i32 s2, s9, s20
	s_sub_i32 s1, s1, s2
	;; [unrolled: 5-line block ×3, first 2 shown]
	s_lshl_b32 s1, s15, 4
	s_add_i32 s1, s1, s7
	s_cmp_lt_i32 s1, s10
	s_cselect_b32 s1, -1, 0
	s_add_i32 s16, s16, s8
	s_cmp_lt_i32 s16, s13
	s_cselect_b32 s2, -1, 0
	s_and_b32 s1, s1, s2
	s_andn2_b32 vcc_lo, exec_lo, s1
	s_cbranch_vccnz .LBB60_6
; %bb.1:
	s_mul_i32 s10, s0, s10
	s_load_dwordx4 s[0:3], s[4:5], 0x0
	s_add_i32 s4, s10, s7
	s_mul_i32 s9, s9, s13
	s_mul_i32 s4, s4, s11
	s_add_i32 s5, s16, s9
	s_mul_i32 s9, s11, s15
	s_add_i32 s4, s5, s4
	s_mulk_i32 s9, 0x700
	s_mulk_i32 s4, 0x70
	s_add_i32 s8, s7, s8
	v_add3_u32 v1, s4, s9, v0
	s_mul_i32 s4, s14, s6
	s_add_i32 s9, s4, s14
	v_ashrrev_i32_e32 v2, 31, v1
	v_lshlrev_b64 v[1:2], 2, v[1:2]
	s_waitcnt lgkmcnt(0)
	v_add_co_u32 v1, vcc_lo, s0, v1
	v_add_co_ci_u32_e64 v2, null, s1, v2, vcc_lo
	s_lshl_b32 s0, s9, 4
	s_add_i32 s0, s8, s0
	global_load_dword v5, v[1:2], off
	s_add_i32 s0, s0, -16
	s_ashr_i32 s1, s0, 31
	s_lshl_b64 s[0:1], s[0:1], 3
	s_add_u32 s0, s2, s0
	s_addc_u32 s1, s3, s1
	s_add_i32 s5, s9, -2
	s_load_dword s10, s[0:1], 0x4
	s_cmp_lt_i32 s5, s4
	s_cbranch_scc1 .LBB60_4
; %bb.2:
	s_load_dword s11, s[0:1], 0x0
	s_lshl_b32 s0, s12, 6
	s_waitcnt lgkmcnt(0)
	v_mov_b32_e32 v6, s10
	s_ashr_i32 s1, s0, 31
	s_lshl_b64 s[0:1], s[0:1], 2
	s_add_u32 s5, s2, s0
	s_addc_u32 s7, s3, s1
	s_add_i32 s6, s6, 1
	s_mul_i32 s1, s8, 0x70
	s_mul_i32 s0, s14, s6
	s_lshl_b32 s6, s0, 4
	s_mulk_i32 s0, 0x700
	s_add_i32 s6, s8, s6
	s_add_i32 s1, s1, s0
	s_lshl_b32 s0, s12, 4
	v_add3_u32 v3, s1, v0, 0xfffff200
	s_add_i32 s0, s6, s0
	v_mov_b32_e32 v0, s11
	s_add_i32 s6, s9, -1
	s_sub_i32 s0, s0, 32
.LBB60_3:                               ; =>This Inner Loop Header: Depth=1
	v_ashrrev_i32_e32 v4, 31, v3
	s_ashr_i32 s1, s0, 31
	s_lshl_b64 s[8:9], s[0:1], 3
	s_add_u32 s8, s2, s8
	v_lshlrev_b64 v[7:8], 2, v[3:4]
	s_addc_u32 s9, s3, s9
	v_add_nc_u32_e32 v3, 0xfffff900, v3
	s_add_i32 s6, s6, -1
	s_add_i32 s0, s0, -16
	s_cmp_le_i32 s6, s4
	v_add_co_u32 v7, vcc_lo, s5, v7
	v_add_co_ci_u32_e64 v8, null, s7, v8, vcc_lo
	s_load_dwordx2 s[8:9], s[8:9], 0x0
	global_load_dword v4, v[7:8], off
	v_max_f32_e32 v7, v0, v0
	s_waitcnt lgkmcnt(0)
	v_max_f32_e64 v8, s8, s8
	v_max_f32_e32 v7, v7, v8
	v_sub_f32_e32 v8, s8, v7
	v_sub_f32_e32 v0, v0, v7
	v_mul_f32_e32 v9, 0x3fb8aa3b, v8
	v_mul_f32_e32 v12, 0x3fb8aa3b, v0
	v_cmp_ngt_f32_e32 vcc_lo, 0xc2ce8ed0, v8
	v_fma_f32 v10, 0x3fb8aa3b, v8, -v9
	v_rndne_f32_e32 v11, v9
	v_fma_f32 v13, 0x3fb8aa3b, v0, -v12
	v_rndne_f32_e32 v14, v12
	v_fmac_f32_e32 v10, 0x32a5705f, v8
	v_sub_f32_e32 v9, v9, v11
	v_fmac_f32_e32 v13, 0x32a5705f, v0
	v_cvt_i32_f32_e32 v11, v11
	v_add_f32_e32 v9, v9, v10
	v_sub_f32_e32 v10, v12, v14
	v_exp_f32_e32 v9, v9
	v_add_f32_e32 v10, v10, v13
	v_exp_f32_e32 v10, v10
	v_ldexp_f32 v9, v9, v11
	v_cvt_i32_f32_e32 v11, v14
	v_cndmask_b32_e32 v9, 0, v9, vcc_lo
	v_cmp_nlt_f32_e32 vcc_lo, 0x42b17218, v8
	v_ldexp_f32 v10, v10, v11
	v_mov_b32_e32 v11, v6
	v_cndmask_b32_e32 v9, 0x7f800000, v9, vcc_lo
	v_cmp_ngt_f32_e32 vcc_lo, 0xc2ce8ed0, v0
	v_cndmask_b32_e32 v10, 0, v10, vcc_lo
	v_cmp_le_f32_e32 vcc_lo, 0xc1a00000, v8
	v_cndmask_b32_e32 v8, 0, v9, vcc_lo
	v_cmp_nlt_f32_e32 vcc_lo, 0x42b17218, v0
	s_waitcnt vmcnt(1)
	v_mov_b32_e32 v9, v5
	v_cndmask_b32_e32 v5, 0x7f800000, v10, vcc_lo
	v_mul_f32_e32 v10, s9, v8
	v_cmp_le_f32_e32 vcc_lo, 0xc1a00000, v0
	v_mov_b32_e32 v0, v7
	v_mov_b32_e32 v6, v10
	v_cndmask_b32_e32 v12, 0, v5, vcc_lo
	v_fmac_f32_e32 v6, v11, v12
	s_waitcnt vmcnt(0)
	v_mul_f32_e32 v5, v4, v8
	v_fmac_f32_e32 v5, v9, v12
	s_cbranch_scc0 .LBB60_3
	s_branch .LBB60_5
.LBB60_4:
	s_waitcnt lgkmcnt(0)
	v_mov_b32_e32 v6, s10
.LBB60_5:
	s_waitcnt vmcnt(0)
	v_div_scale_f32 v0, null, v6, v6, v5
	v_rcp_f32_e32 v3, v0
	v_fma_f32 v4, -v0, v3, 1.0
	v_fmac_f32_e32 v3, v4, v3
	v_div_scale_f32 v4, vcc_lo, v5, v6, v5
	v_mul_f32_e32 v7, v4, v3
	v_fma_f32 v8, -v0, v7, v4
	v_fmac_f32_e32 v7, v8, v3
	v_fma_f32 v0, -v0, v7, v4
	v_div_fmas_f32 v0, v0, v3, v7
	v_div_fixup_f32 v0, v0, v6, v5
	global_store_dword v[1:2], v0, off
.LBB60_6:
	s_endpgm
	.section	.rodata,"a",@progbits
	.p2align	6, 0x0
	.amdhsa_kernel _ZL33flash_attn_stream_k_fixup_uniformILi112ELi16ELi1EEvPfPK15HIP_vector_typeIfLj2EEiiiiiiS1_IjLj3EES5_S5_
		.amdhsa_group_segment_fixed_size 0
		.amdhsa_private_segment_fixed_size 0
		.amdhsa_kernarg_size 76
		.amdhsa_user_sgpr_count 6
		.amdhsa_user_sgpr_private_segment_buffer 1
		.amdhsa_user_sgpr_dispatch_ptr 0
		.amdhsa_user_sgpr_queue_ptr 0
		.amdhsa_user_sgpr_kernarg_segment_ptr 1
		.amdhsa_user_sgpr_dispatch_id 0
		.amdhsa_user_sgpr_flat_scratch_init 0
		.amdhsa_user_sgpr_private_segment_size 0
		.amdhsa_wavefront_size32 1
		.amdhsa_uses_dynamic_stack 0
		.amdhsa_system_sgpr_private_segment_wavefront_offset 0
		.amdhsa_system_sgpr_workgroup_id_x 1
		.amdhsa_system_sgpr_workgroup_id_y 1
		.amdhsa_system_sgpr_workgroup_id_z 1
		.amdhsa_system_sgpr_workgroup_info 0
		.amdhsa_system_vgpr_workitem_id 0
		.amdhsa_next_free_vgpr 15
		.amdhsa_next_free_sgpr 24
		.amdhsa_reserve_vcc 1
		.amdhsa_reserve_flat_scratch 0
		.amdhsa_float_round_mode_32 0
		.amdhsa_float_round_mode_16_64 0
		.amdhsa_float_denorm_mode_32 3
		.amdhsa_float_denorm_mode_16_64 3
		.amdhsa_dx10_clamp 1
		.amdhsa_ieee_mode 1
		.amdhsa_fp16_overflow 0
		.amdhsa_workgroup_processor_mode 1
		.amdhsa_memory_ordered 1
		.amdhsa_forward_progress 1
		.amdhsa_shared_vgpr_count 0
		.amdhsa_exception_fp_ieee_invalid_op 0
		.amdhsa_exception_fp_denorm_src 0
		.amdhsa_exception_fp_ieee_div_zero 0
		.amdhsa_exception_fp_ieee_overflow 0
		.amdhsa_exception_fp_ieee_underflow 0
		.amdhsa_exception_fp_ieee_inexact 0
		.amdhsa_exception_int_div_zero 0
	.end_amdhsa_kernel
	.section	.text._ZL33flash_attn_stream_k_fixup_uniformILi112ELi16ELi1EEvPfPK15HIP_vector_typeIfLj2EEiiiiiiS1_IjLj3EES5_S5_,"axG",@progbits,_ZL33flash_attn_stream_k_fixup_uniformILi112ELi16ELi1EEvPfPK15HIP_vector_typeIfLj2EEiiiiiiS1_IjLj3EES5_S5_,comdat
.Lfunc_end60:
	.size	_ZL33flash_attn_stream_k_fixup_uniformILi112ELi16ELi1EEvPfPK15HIP_vector_typeIfLj2EEiiiiiiS1_IjLj3EES5_S5_, .Lfunc_end60-_ZL33flash_attn_stream_k_fixup_uniformILi112ELi16ELi1EEvPfPK15HIP_vector_typeIfLj2EEiiiiiiS1_IjLj3EES5_S5_
                                        ; -- End function
	.set _ZL33flash_attn_stream_k_fixup_uniformILi112ELi16ELi1EEvPfPK15HIP_vector_typeIfLj2EEiiiiiiS1_IjLj3EES5_S5_.num_vgpr, 15
	.set _ZL33flash_attn_stream_k_fixup_uniformILi112ELi16ELi1EEvPfPK15HIP_vector_typeIfLj2EEiiiiiiS1_IjLj3EES5_S5_.num_agpr, 0
	.set _ZL33flash_attn_stream_k_fixup_uniformILi112ELi16ELi1EEvPfPK15HIP_vector_typeIfLj2EEiiiiiiS1_IjLj3EES5_S5_.numbered_sgpr, 24
	.set _ZL33flash_attn_stream_k_fixup_uniformILi112ELi16ELi1EEvPfPK15HIP_vector_typeIfLj2EEiiiiiiS1_IjLj3EES5_S5_.num_named_barrier, 0
	.set _ZL33flash_attn_stream_k_fixup_uniformILi112ELi16ELi1EEvPfPK15HIP_vector_typeIfLj2EEiiiiiiS1_IjLj3EES5_S5_.private_seg_size, 0
	.set _ZL33flash_attn_stream_k_fixup_uniformILi112ELi16ELi1EEvPfPK15HIP_vector_typeIfLj2EEiiiiiiS1_IjLj3EES5_S5_.uses_vcc, 1
	.set _ZL33flash_attn_stream_k_fixup_uniformILi112ELi16ELi1EEvPfPK15HIP_vector_typeIfLj2EEiiiiiiS1_IjLj3EES5_S5_.uses_flat_scratch, 0
	.set _ZL33flash_attn_stream_k_fixup_uniformILi112ELi16ELi1EEvPfPK15HIP_vector_typeIfLj2EEiiiiiiS1_IjLj3EES5_S5_.has_dyn_sized_stack, 0
	.set _ZL33flash_attn_stream_k_fixup_uniformILi112ELi16ELi1EEvPfPK15HIP_vector_typeIfLj2EEiiiiiiS1_IjLj3EES5_S5_.has_recursion, 0
	.set _ZL33flash_attn_stream_k_fixup_uniformILi112ELi16ELi1EEvPfPK15HIP_vector_typeIfLj2EEiiiiiiS1_IjLj3EES5_S5_.has_indirect_call, 0
	.section	.AMDGPU.csdata,"",@progbits
; Kernel info:
; codeLenInByte = 828
; TotalNumSgprs: 26
; NumVgprs: 15
; ScratchSize: 0
; MemoryBound: 0
; FloatMode: 240
; IeeeMode: 1
; LDSByteSize: 0 bytes/workgroup (compile time only)
; SGPRBlocks: 0
; VGPRBlocks: 1
; NumSGPRsForWavesPerEU: 26
; NumVGPRsForWavesPerEU: 15
; Occupancy: 16
; WaveLimiterHint : 0
; COMPUTE_PGM_RSRC2:SCRATCH_EN: 0
; COMPUTE_PGM_RSRC2:USER_SGPR: 6
; COMPUTE_PGM_RSRC2:TRAP_HANDLER: 0
; COMPUTE_PGM_RSRC2:TGID_X_EN: 1
; COMPUTE_PGM_RSRC2:TGID_Y_EN: 1
; COMPUTE_PGM_RSRC2:TGID_Z_EN: 1
; COMPUTE_PGM_RSRC2:TIDIG_COMP_CNT: 0
	.section	.text._ZL33flash_attn_stream_k_fixup_generalILi112ELi16ELi1EEvPfPK15HIP_vector_typeIfLj2EEiiiiS1_IjLj3EES5_S5_S5_,"axG",@progbits,_ZL33flash_attn_stream_k_fixup_generalILi112ELi16ELi1EEvPfPK15HIP_vector_typeIfLj2EEiiiiS1_IjLj3EES5_S5_S5_,comdat
	.globl	_ZL33flash_attn_stream_k_fixup_generalILi112ELi16ELi1EEvPfPK15HIP_vector_typeIfLj2EEiiiiS1_IjLj3EES5_S5_S5_ ; -- Begin function _ZL33flash_attn_stream_k_fixup_generalILi112ELi16ELi1EEvPfPK15HIP_vector_typeIfLj2EEiiiiS1_IjLj3EES5_S5_S5_
	.p2align	8
	.type	_ZL33flash_attn_stream_k_fixup_generalILi112ELi16ELi1EEvPfPK15HIP_vector_typeIfLj2EEiiiiS1_IjLj3EES5_S5_S5_,@function
_ZL33flash_attn_stream_k_fixup_generalILi112ELi16ELi1EEvPfPK15HIP_vector_typeIfLj2EEiiiiS1_IjLj3EES5_S5_S5_: ; @_ZL33flash_attn_stream_k_fixup_generalILi112ELi16ELi1EEvPfPK15HIP_vector_typeIfLj2EEiiiiS1_IjLj3EES5_S5_S5_
; %bb.0:
	s_clause 0x1
	s_load_dwordx4 s[0:3], s[4:5], 0x10
	s_load_dword s9, s[4:5], 0x50
	s_mov_b32 s16, 0
	s_waitcnt lgkmcnt(0)
	s_mul_hi_i32 s17, s3, s6
	s_mul_i32 s18, s3, s6
	s_cmp_lg_u64 s[16:17], 0
	s_cbranch_scc0 .LBB61_21
; %bb.1:
	s_add_u32 s10, s9, 0
	s_addc_u32 s11, 0, 0
	s_xor_b64 s[10:11], s[10:11], 0
	v_cvt_f32_u32_e32 v1, s10
	v_cvt_f32_u32_e32 v2, s11
	s_sub_u32 s14, 0, s10
	s_subb_u32 s15, 0, s11
	v_fmamk_f32 v1, v2, 0x4f800000, v1
	v_rcp_f32_e32 v1, v1
	v_mul_f32_e32 v1, 0x5f7ffffc, v1
	v_mul_f32_e32 v2, 0x2f800000, v1
	v_trunc_f32_e32 v2, v2
	v_fmamk_f32 v1, v2, 0xcf800000, v1
	v_cvt_u32_f32_e32 v2, v2
	v_cvt_u32_f32_e32 v1, v1
	v_readfirstlane_b32 s12, v2
	v_readfirstlane_b32 s13, v1
	s_mul_i32 s19, s14, s12
	s_mul_hi_u32 s21, s14, s13
	s_mul_i32 s20, s15, s13
	s_add_i32 s19, s21, s19
	s_mul_i32 s22, s14, s13
	s_add_i32 s19, s19, s20
	s_mul_hi_u32 s21, s13, s22
	s_mul_i32 s24, s13, s19
	s_mul_hi_u32 s23, s12, s22
	s_mul_i32 s20, s12, s22
	s_mul_hi_u32 s22, s13, s19
	s_add_u32 s21, s21, s24
	s_addc_u32 s22, 0, s22
	s_mul_hi_u32 s25, s12, s19
	s_add_u32 s20, s21, s20
	s_mul_i32 s19, s12, s19
	s_addc_u32 s20, s22, s23
	s_addc_u32 s21, s25, 0
	s_add_u32 s19, s20, s19
	s_addc_u32 s20, 0, s21
	s_add_u32 s13, s13, s19
	s_cselect_b32 s19, -1, 0
	s_mul_hi_u32 s21, s14, s13
	s_cmp_lg_u32 s19, 0
	s_mul_i32 s19, s14, s13
	s_addc_u32 s12, s12, s20
	s_mul_i32 s15, s15, s13
	s_mul_i32 s14, s14, s12
	s_mul_hi_u32 s20, s13, s19
	s_add_i32 s14, s21, s14
	s_mul_hi_u32 s21, s12, s19
	s_add_i32 s14, s14, s15
	s_mul_i32 s15, s12, s19
	s_mul_i32 s23, s13, s14
	s_mul_hi_u32 s22, s13, s14
	s_add_u32 s20, s20, s23
	s_addc_u32 s22, 0, s22
	s_mul_hi_u32 s19, s12, s14
	s_add_u32 s15, s20, s15
	s_mul_i32 s14, s12, s14
	s_addc_u32 s15, s22, s21
	s_addc_u32 s19, s19, 0
	s_add_u32 s14, s15, s14
	s_addc_u32 s15, 0, s19
	s_add_u32 s19, s13, s14
	s_cselect_b32 s13, -1, 0
	s_cmp_lg_u32 s13, 0
	s_addc_u32 s20, s12, s15
	s_ashr_i32 s12, s17, 31
	s_add_u32 s14, s18, s12
	s_mov_b32 s13, s12
	s_addc_u32 s15, s17, s12
	s_xor_b64 s[14:15], s[14:15], s[12:13]
	s_mul_i32 s21, s14, s20
	s_mul_hi_u32 s22, s14, s19
	s_mul_hi_u32 s17, s14, s20
	;; [unrolled: 1-line block ×3, first 2 shown]
	s_mul_i32 s19, s15, s19
	s_add_u32 s21, s22, s21
	s_addc_u32 s17, 0, s17
	s_mul_hi_u32 s23, s15, s20
	s_add_u32 s19, s21, s19
	s_mul_i32 s20, s15, s20
	s_addc_u32 s17, s17, s24
	s_addc_u32 s19, s23, 0
	s_add_u32 s17, s17, s20
	s_addc_u32 s19, 0, s19
	s_mul_hi_u32 s20, s10, s17
	s_mul_i32 s21, s10, s19
	s_mul_i32 s22, s11, s17
	s_add_i32 s20, s20, s21
	s_mul_i32 s21, s10, s17
	s_add_i32 s20, s20, s22
	s_sub_i32 s22, s15, s20
	s_sub_u32 s14, s14, s21
	s_cselect_b32 s21, -1, 0
	s_cmp_lg_u32 s21, 0
	s_subb_u32 s22, s22, s11
	s_sub_u32 s23, s14, s10
	s_cselect_b32 s24, -1, 0
	s_cmp_lg_u32 s24, 0
	s_subb_u32 s22, s22, 0
	s_cmp_ge_u32 s22, s11
	s_cselect_b32 s24, -1, 0
	s_cmp_ge_u32 s23, s10
	s_cselect_b32 s23, -1, 0
	s_cmp_eq_u32 s22, s11
	s_cselect_b32 s22, s23, s24
	s_add_u32 s23, s17, 1
	s_addc_u32 s24, s19, 0
	s_add_u32 s25, s17, 2
	s_addc_u32 s26, s19, 0
	s_cmp_lg_u32 s22, 0
	s_cselect_b32 s22, s25, s23
	s_cselect_b32 s23, s26, s24
	s_cmp_lg_u32 s21, 0
	s_subb_u32 s15, s15, s20
	s_cmp_ge_u32 s15, s11
	s_cselect_b32 s20, -1, 0
	s_cmp_ge_u32 s14, s10
	s_cselect_b32 s10, -1, 0
	s_cmp_eq_u32 s15, s11
	s_cselect_b32 s10, s10, s20
	s_cmp_lg_u32 s10, 0
	s_cselect_b32 s11, s23, s19
	s_cselect_b32 s10, s22, s17
	s_xor_b64 s[12:13], s[12:13], 0
	s_xor_b64 s[10:11], s[10:11], s[12:13]
	s_sub_u32 s10, s10, s12
	s_load_dwordx4 s[12:15], s[4:5], 0x44
	s_andn2_b32 vcc_lo, exec_lo, s16
	s_cbranch_vccnz .LBB61_3
.LBB61_2:
	v_cvt_f32_u32_e32 v1, s9
	s_sub_i32 s11, 0, s9
	v_rcp_iflag_f32_e32 v1, v1
	v_mul_f32_e32 v1, 0x4f7ffffe, v1
	v_cvt_u32_f32_e32 v1, v1
	v_readfirstlane_b32 s10, v1
	s_mul_i32 s11, s11, s10
	s_mul_hi_u32 s11, s10, s11
	s_add_i32 s10, s10, s11
	s_mul_hi_u32 s10, s18, s10
	s_mul_i32 s11, s10, s9
	s_waitcnt lgkmcnt(0)
	s_add_i32 s15, s10, 1
	s_sub_i32 s11, s18, s11
	s_sub_i32 s16, s11, s9
	s_cmp_ge_u32 s11, s9
	s_cselect_b32 s10, s15, s10
	s_cselect_b32 s11, s16, s11
	s_add_i32 s15, s10, 1
	s_cmp_ge_u32 s11, s9
	s_cselect_b32 s10, s15, s10
.LBB61_3:
	s_add_i32 s11, s6, 1
	s_mov_b32 s16, 0
	s_mul_hi_i32 s17, s3, s11
	s_mul_i32 s11, s3, s11
	s_cmp_lg_u64 s[16:17], 0
	s_cbranch_scc0 .LBB61_22
; %bb.4:
	s_add_u32 s18, s9, 0
	s_addc_u32 s19, 0, 0
	s_xor_b64 s[18:19], s[18:19], 0
	v_cvt_f32_u32_e32 v1, s18
	v_cvt_f32_u32_e32 v2, s19
	s_sub_u32 s21, 0, s18
	s_subb_u32 s22, 0, s19
	v_fmamk_f32 v1, v2, 0x4f800000, v1
	v_rcp_f32_e32 v1, v1
	v_mul_f32_e32 v1, 0x5f7ffffc, v1
	v_mul_f32_e32 v2, 0x2f800000, v1
	v_trunc_f32_e32 v2, v2
	v_fmamk_f32 v1, v2, 0xcf800000, v1
	v_cvt_u32_f32_e32 v2, v2
	v_cvt_u32_f32_e32 v1, v1
	s_waitcnt lgkmcnt(0)
	v_readfirstlane_b32 s15, v2
	v_readfirstlane_b32 s20, v1
	s_mul_i32 s23, s21, s15
	s_mul_hi_u32 s25, s21, s20
	s_mul_i32 s24, s22, s20
	s_add_i32 s23, s25, s23
	s_mul_i32 s26, s21, s20
	s_add_i32 s23, s23, s24
	s_mul_hi_u32 s25, s20, s26
	s_mul_i32 s28, s20, s23
	s_mul_hi_u32 s27, s15, s26
	s_mul_i32 s24, s15, s26
	s_mul_hi_u32 s26, s20, s23
	s_add_u32 s25, s25, s28
	s_addc_u32 s26, 0, s26
	s_mul_hi_u32 s29, s15, s23
	s_add_u32 s24, s25, s24
	s_mul_i32 s23, s15, s23
	s_addc_u32 s24, s26, s27
	s_addc_u32 s25, s29, 0
	s_add_u32 s23, s24, s23
	s_addc_u32 s24, 0, s25
	s_add_u32 s20, s20, s23
	s_cselect_b32 s23, -1, 0
	s_mul_hi_u32 s25, s21, s20
	s_cmp_lg_u32 s23, 0
	s_mul_i32 s23, s21, s20
	s_addc_u32 s15, s15, s24
	s_mul_i32 s22, s22, s20
	s_mul_i32 s21, s21, s15
	s_mul_hi_u32 s24, s20, s23
	s_add_i32 s21, s25, s21
	s_mul_hi_u32 s25, s15, s23
	s_add_i32 s21, s21, s22
	s_mul_i32 s22, s15, s23
	s_mul_i32 s27, s20, s21
	s_mul_hi_u32 s26, s20, s21
	s_add_u32 s24, s24, s27
	s_addc_u32 s26, 0, s26
	s_mul_hi_u32 s23, s15, s21
	s_add_u32 s22, s24, s22
	s_mul_i32 s21, s15, s21
	s_addc_u32 s22, s26, s25
	s_addc_u32 s23, s23, 0
	s_add_u32 s21, s22, s21
	s_addc_u32 s22, 0, s23
	s_add_u32 s24, s20, s21
	s_cselect_b32 s20, -1, 0
	s_cmp_lg_u32 s20, 0
	s_addc_u32 s15, s15, s22
	s_ashr_i32 s20, s17, 31
	s_add_u32 s22, s11, s20
	s_mov_b32 s21, s20
	s_addc_u32 s23, s17, s20
	s_xor_b64 s[22:23], s[22:23], s[20:21]
	s_mul_i32 s25, s22, s15
	s_mul_hi_u32 s26, s22, s24
	s_mul_hi_u32 s17, s22, s15
	;; [unrolled: 1-line block ×3, first 2 shown]
	s_mul_i32 s24, s23, s24
	s_add_u32 s25, s26, s25
	s_addc_u32 s17, 0, s17
	s_mul_hi_u32 s27, s23, s15
	s_add_u32 s24, s25, s24
	s_mul_i32 s15, s23, s15
	s_addc_u32 s17, s17, s28
	s_addc_u32 s24, s27, 0
	s_add_u32 s15, s17, s15
	s_addc_u32 s17, 0, s24
	s_mul_hi_u32 s24, s18, s15
	s_mul_i32 s25, s18, s17
	s_mul_i32 s26, s19, s15
	s_add_i32 s24, s24, s25
	s_mul_i32 s25, s18, s15
	s_add_i32 s24, s24, s26
	s_sub_i32 s26, s23, s24
	s_sub_u32 s22, s22, s25
	s_cselect_b32 s25, -1, 0
	s_cmp_lg_u32 s25, 0
	s_subb_u32 s26, s26, s19
	s_sub_u32 s27, s22, s18
	s_cselect_b32 s28, -1, 0
	s_cmp_lg_u32 s28, 0
	s_subb_u32 s26, s26, 0
	s_cmp_ge_u32 s26, s19
	s_cselect_b32 s28, -1, 0
	s_cmp_ge_u32 s27, s18
	s_cselect_b32 s27, -1, 0
	s_cmp_eq_u32 s26, s19
	s_cselect_b32 s26, s27, s28
	s_add_u32 s27, s15, 1
	s_addc_u32 s28, s17, 0
	s_add_u32 s29, s15, 2
	s_addc_u32 s30, s17, 0
	s_cmp_lg_u32 s26, 0
	s_cselect_b32 s26, s29, s27
	s_cselect_b32 s27, s30, s28
	s_cmp_lg_u32 s25, 0
	s_subb_u32 s23, s23, s24
	s_cmp_ge_u32 s23, s19
	s_cselect_b32 s24, -1, 0
	s_cmp_ge_u32 s22, s18
	s_cselect_b32 s18, -1, 0
	s_cmp_eq_u32 s23, s19
	s_cselect_b32 s18, s18, s24
	s_cmp_lg_u32 s18, 0
	s_cselect_b32 s19, s27, s17
	s_cselect_b32 s18, s26, s15
	s_xor_b64 s[20:21], s[20:21], 0
	s_xor_b64 s[18:19], s[18:19], s[20:21]
	s_sub_u32 s18, s18, s20
	s_andn2_b32 vcc_lo, exec_lo, s16
	s_cbranch_vccnz .LBB61_6
.LBB61_5:
	v_cvt_f32_u32_e32 v1, s9
	s_sub_i32 s16, 0, s9
	v_rcp_iflag_f32_e32 v1, v1
	v_mul_f32_e32 v1, 0x4f7ffffe, v1
	v_cvt_u32_f32_e32 v1, v1
	s_waitcnt lgkmcnt(0)
	v_readfirstlane_b32 s15, v1
	s_mul_i32 s16, s16, s15
	s_mul_hi_u32 s16, s15, s16
	s_add_i32 s15, s15, s16
	s_mul_hi_u32 s15, s11, s15
	s_mul_i32 s16, s15, s9
	s_sub_i32 s11, s11, s16
	s_add_i32 s16, s15, 1
	s_sub_i32 s17, s11, s9
	s_cmp_ge_u32 s11, s9
	s_cselect_b32 s15, s16, s15
	s_cselect_b32 s11, s17, s11
	s_add_i32 s16, s15, 1
	s_cmp_ge_u32 s11, s9
	s_cselect_b32 s18, s16, s15
.LBB61_6:
	s_cmp_eq_u32 s10, s18
	s_waitcnt lgkmcnt(0)
	s_mul_hi_u32 s11, s10, s12
	s_cselect_b32 s15, -1, 0
	s_add_i32 s11, s11, s10
	s_lshr_b32 s11, s11, s13
	s_mul_i32 s16, s11, s14
	s_cmp_eq_u32 s16, s10
	s_mul_hi_u32 s16, s18, s12
	s_cselect_b32 s17, -1, 0
	s_add_i32 s16, s16, s18
	s_lshr_b32 s16, s16, s13
	s_cmp_eq_u32 s11, s16
	s_mul_i32 s16, s16, s14
	s_cselect_b32 s19, -1, 0
	s_cmp_lg_u32 s16, s18
	s_cselect_b32 s16, -1, 0
	s_or_b32 s15, s15, s17
	s_and_b32 s16, s19, s16
	s_or_b32 s15, s15, s16
	s_and_b32 vcc_lo, exec_lo, s15
	s_cbranch_vccnz .LBB61_24
; %bb.7:
	s_clause 0x1
	s_load_dwordx8 s[20:27], s[4:5], 0x20
	s_load_dword s16, s[4:5], 0x40
	s_waitcnt lgkmcnt(0)
	s_mul_hi_u32 s15, s10, s20
	s_add_i32 s15, s15, s10
	s_lshr_b32 s15, s15, s21
	s_mul_i32 s17, s15, s22
	s_sub_i32 s17, s10, s17
	s_mul_hi_u32 s18, s17, s23
	s_add_i32 s18, s17, s18
	s_lshr_b32 s21, s18, s24
	s_mul_i32 s18, s21, s25
	s_sub_i32 s17, s17, s18
	;; [unrolled: 5-line block ×3, first 2 shown]
	s_mul_hi_u32 s17, s16, s12
	s_add_i32 s16, s16, s17
	s_lshr_b32 s20, s16, s13
	s_lshl_b32 s16, s20, 4
	s_add_i32 s16, s16, s7
	s_cmp_lt_i32 s16, s0
	s_cselect_b32 s16, -1, 0
	s_add_i32 s22, s22, s8
	s_cmp_lt_i32 s22, s2
	s_cselect_b32 s17, -1, 0
	s_and_b32 s16, s16, s17
	s_andn2_b32 vcc_lo, exec_lo, s16
	s_cbranch_vccnz .LBB61_24
; %bb.8:
	s_load_dwordx4 s[16:19], s[4:5], 0x0
	s_mov_b32 s4, 0
	s_lshl_b32 s24, s9, 6
	s_mov_b32 s25, s4
	s_add_i32 s8, s7, s8
	s_lshl_b64 s[24:25], s[24:25], 2
	s_mul_i32 s0, s15, s0
	s_mul_i32 s21, s21, s2
	v_cvt_f32_u32_e32 v3, s9
	v_rcp_iflag_f32_e32 v3, v3
	s_waitcnt lgkmcnt(0)
	s_add_u32 s2, s18, s24
	s_addc_u32 s15, s19, s25
	s_add_i32 s0, s0, s7
	s_add_i32 s5, s22, s21
	s_mul_i32 s0, s0, s1
	s_mul_i32 s1, s1, s20
	s_add_i32 s0, s5, s0
	s_mulk_i32 s1, 0x700
	s_mulk_i32 s0, 0x70
	v_mul_f32_e32 v7, 0x4f7ffffe, v3
	v_add3_u32 v1, s1, s0, v0
	s_lshl_b32 s0, s6, 4
	s_add_i32 s0, s0, s8
	v_ashrrev_i32_e32 v2, 31, v1
	s_ashr_i32 s1, s0, 31
	s_lshl_b64 s[0:1], s[0:1], 3
	v_lshlrev_b64 v[1:2], 2, v[1:2]
	s_add_u32 s0, s18, s0
	s_addc_u32 s1, s19, s1
	s_load_dwordx2 s[0:1], s[0:1], 0x0
	v_add_co_u32 v1, vcc_lo, s16, v1
	v_add_co_ci_u32_e64 v2, null, s17, v2, vcc_lo
	s_add_i32 s17, s6, -1
	v_mad_u64_u32 v[3:4], null, 0x70, s8, v[0:1]
	global_load_dword v5, v[1:2], off
	v_cvt_u32_f32_e32 v0, v7
	s_sub_i32 s16, 0, s9
	s_waitcnt lgkmcnt(0)
	v_mov_b32_e32 v4, s1
	v_mov_b32_e32 v6, s0
.LBB61_9:                               ; =>This Inner Loop Header: Depth=1
	s_mul_hi_i32 s5, s17, s3
	s_mul_i32 s6, s17, s3
	s_cmp_lg_u64 s[4:5], 0
	s_mov_b32 s7, -1
                                        ; implicit-def: $sgpr0_sgpr1
	s_cbranch_scc0 .LBB61_11
; %bb.10:                               ;   in Loop: Header=BB61_9 Depth=1
	s_add_u32 s0, s9, 0
	s_addc_u32 s1, 0, 0
	s_xor_b64 s[0:1], s[0:1], 0
	v_cvt_f32_u32_e32 v7, s0
	v_cvt_f32_u32_e32 v8, s1
	s_sub_u32 s21, 0, s0
	s_subb_u32 s22, 0, s1
	v_fmac_f32_e32 v7, 0x4f800000, v8
	v_rcp_f32_e32 v7, v7
	v_mul_f32_e32 v7, 0x5f7ffffc, v7
	v_mul_f32_e32 v8, 0x2f800000, v7
	v_trunc_f32_e32 v8, v8
	v_fmac_f32_e32 v7, 0xcf800000, v8
	v_cvt_u32_f32_e32 v8, v8
	v_cvt_u32_f32_e32 v7, v7
	v_readfirstlane_b32 s7, v8
	v_readfirstlane_b32 s20, v7
	s_mul_i32 s23, s21, s7
	s_mul_hi_u32 s25, s21, s20
	s_mul_i32 s24, s22, s20
	s_add_i32 s23, s25, s23
	s_mul_i32 s26, s21, s20
	s_add_i32 s23, s23, s24
	s_mul_hi_u32 s25, s20, s26
	s_mul_i32 s28, s20, s23
	s_mul_hi_u32 s27, s7, s26
	s_mul_i32 s24, s7, s26
	s_mul_hi_u32 s26, s20, s23
	s_add_u32 s25, s25, s28
	s_addc_u32 s26, 0, s26
	s_mul_hi_u32 s29, s7, s23
	s_add_u32 s24, s25, s24
	s_mul_i32 s23, s7, s23
	s_addc_u32 s24, s26, s27
	s_addc_u32 s25, s29, 0
	s_add_u32 s23, s24, s23
	s_addc_u32 s24, 0, s25
	s_add_u32 s20, s20, s23
	s_cselect_b32 s23, -1, 0
	s_mul_hi_u32 s25, s21, s20
	s_cmp_lg_u32 s23, 0
	s_mul_i32 s23, s21, s20
	s_addc_u32 s7, s7, s24
	s_mul_i32 s22, s22, s20
	s_mul_i32 s21, s21, s7
	s_mul_hi_u32 s24, s20, s23
	s_add_i32 s21, s25, s21
	s_mul_hi_u32 s25, s7, s23
	s_add_i32 s21, s21, s22
	s_mul_i32 s22, s7, s23
	s_mul_i32 s27, s20, s21
	s_mul_hi_u32 s26, s20, s21
	s_add_u32 s24, s24, s27
	s_addc_u32 s26, 0, s26
	s_mul_hi_u32 s23, s7, s21
	s_add_u32 s22, s24, s22
	s_mul_i32 s21, s7, s21
	s_addc_u32 s22, s26, s25
	s_addc_u32 s23, s23, 0
	s_add_u32 s21, s22, s21
	s_addc_u32 s22, 0, s23
	s_add_u32 s24, s20, s21
	s_cselect_b32 s20, -1, 0
	s_cmp_lg_u32 s20, 0
	s_addc_u32 s7, s7, s22
	s_ashr_i32 s20, s5, 31
	s_add_u32 s22, s6, s20
	s_mov_b32 s21, s20
	s_addc_u32 s23, s5, s20
	s_xor_b64 s[22:23], s[22:23], s[20:21]
	s_mul_i32 s25, s22, s7
	s_mul_hi_u32 s26, s22, s24
	s_mul_hi_u32 s5, s22, s7
	;; [unrolled: 1-line block ×3, first 2 shown]
	s_mul_i32 s24, s23, s24
	s_add_u32 s25, s26, s25
	s_addc_u32 s5, 0, s5
	s_mul_hi_u32 s27, s23, s7
	s_add_u32 s24, s25, s24
	s_mul_i32 s7, s23, s7
	s_addc_u32 s5, s5, s28
	s_addc_u32 s24, s27, 0
	s_add_u32 s5, s5, s7
	s_addc_u32 s7, 0, s24
	s_mul_hi_u32 s24, s0, s5
	s_mul_i32 s25, s0, s7
	s_mul_i32 s26, s1, s5
	s_add_i32 s24, s24, s25
	s_mul_i32 s25, s0, s5
	s_add_i32 s24, s24, s26
	s_sub_i32 s26, s23, s24
	s_sub_u32 s22, s22, s25
	s_cselect_b32 s25, -1, 0
	s_cmp_lg_u32 s25, 0
	s_subb_u32 s26, s26, s1
	s_sub_u32 s27, s22, s0
	s_cselect_b32 s28, -1, 0
	s_cmp_lg_u32 s28, 0
	s_subb_u32 s26, s26, 0
	s_cmp_ge_u32 s26, s1
	s_cselect_b32 s28, -1, 0
	s_cmp_ge_u32 s27, s0
	s_cselect_b32 s27, -1, 0
	s_cmp_eq_u32 s26, s1
	s_cselect_b32 s26, s27, s28
	s_add_u32 s27, s5, 1
	s_addc_u32 s28, s7, 0
	s_add_u32 s29, s5, 2
	s_addc_u32 s30, s7, 0
	s_cmp_lg_u32 s26, 0
	s_cselect_b32 s26, s29, s27
	s_cselect_b32 s27, s30, s28
	s_cmp_lg_u32 s25, 0
	s_subb_u32 s23, s23, s24
	s_cmp_ge_u32 s23, s1
	s_cselect_b32 s24, -1, 0
	s_cmp_ge_u32 s22, s0
	s_cselect_b32 s0, -1, 0
	s_cmp_eq_u32 s23, s1
	s_cselect_b32 s0, s0, s24
	s_cmp_lg_u32 s0, 0
	s_cselect_b32 s1, s27, s7
	s_cselect_b32 s0, s26, s5
	s_xor_b64 s[20:21], s[20:21], 0
	s_mov_b32 s7, 0
	s_xor_b64 s[0:1], s[0:1], s[20:21]
	s_sub_u32 s0, s0, s20
.LBB61_11:                              ;   in Loop: Header=BB61_9 Depth=1
	s_andn2_b32 vcc_lo, exec_lo, s7
	s_cbranch_vccnz .LBB61_13
; %bb.12:                               ;   in Loop: Header=BB61_9 Depth=1
	v_readfirstlane_b32 s0, v0
	s_mul_i32 s1, s16, s0
	s_mul_hi_u32 s1, s0, s1
	s_add_i32 s0, s0, s1
	s_mul_hi_u32 s0, s6, s0
	s_mul_i32 s1, s0, s9
	s_add_i32 s5, s0, 1
	s_sub_i32 s1, s6, s1
	s_sub_i32 s6, s1, s9
	s_cmp_ge_u32 s1, s9
	s_cselect_b32 s0, s5, s0
	s_cselect_b32 s1, s6, s1
	s_add_i32 s5, s0, 1
	s_cmp_ge_u32 s1, s9
	s_cselect_b32 s0, s5, s0
.LBB61_13:                              ;   in Loop: Header=BB61_9 Depth=1
	s_cmp_lg_u32 s10, s0
	s_mov_b32 s6, -1
                                        ; implicit-def: $sgpr5
                                        ; implicit-def: $vgpr8
                                        ; implicit-def: $vgpr7
                                        ; implicit-def: $vgpr9
                                        ; implicit-def: $sgpr1
                                        ; implicit-def: $sgpr20
	s_cbranch_scc0 .LBB61_18
; %bb.14:                               ;   in Loop: Header=BB61_9 Depth=1
	s_add_i32 s1, s17, s9
	s_mov_b32 s7, s4
	s_lshl_b32 s1, s1, 4
	s_mov_b32 s20, s10
	s_add_i32 s6, s1, s8
	s_mul_hi_u32 s1, s0, s12
	s_lshl_b64 s[6:7], s[6:7], 3
	s_add_u32 s6, s18, s6
	s_addc_u32 s7, s19, s7
	s_add_i32 s1, s1, s0
	s_lshr_b32 s1, s1, s13
	s_mul_i32 s5, s1, s14
	s_cmp_eq_u32 s5, s0
	s_cselect_b32 s5, -1, 0
	s_cmp_lt_u32 s1, s11
	s_cselect_b32 s1, -1, 0
	s_or_b32 s1, s1, s5
	s_mov_b32 s5, -1
	s_and_b32 vcc_lo, exec_lo, s1
	s_mov_b32 s1, s17
	s_cbranch_vccnz .LBB61_16
; %bb.15:                               ;   in Loop: Header=BB61_9 Depth=1
	s_add_i32 s1, s17, -1
	s_mov_b32 s5, 0
	s_mov_b32 s20, s0
.LBB61_16:                              ;   in Loop: Header=BB61_9 Depth=1
	v_mad_u64_u32 v[7:8], null, 0x700, s17, v[3:4]
	s_load_dwordx2 s[6:7], s[6:7], 0x0
	v_ashrrev_i32_e32 v8, 31, v7
	v_lshlrev_b64 v[7:8], 2, v[7:8]
	v_add_co_u32 v7, vcc_lo, s2, v7
	v_add_co_ci_u32_e64 v8, null, s15, v8, vcc_lo
	s_waitcnt lgkmcnt(0)
	v_max_f32_e64 v9, s6, s6
	global_load_dword v8, v[7:8], off
	v_max_f32_e32 v7, v6, v6
	v_max_f32_e32 v7, v7, v9
	v_sub_f32_e32 v9, s6, v7
	v_sub_f32_e32 v10, v6, v7
	v_mul_f32_e32 v11, 0x3fb8aa3b, v9
	v_mul_f32_e32 v12, 0x3fb8aa3b, v10
	v_cmp_ngt_f32_e32 vcc_lo, 0xc2ce8ed0, v9
	v_fma_f32 v13, 0x3fb8aa3b, v9, -v11
	v_rndne_f32_e32 v14, v11
	v_fma_f32 v15, 0x3fb8aa3b, v10, -v12
	v_rndne_f32_e32 v16, v12
	v_fmac_f32_e32 v13, 0x32a5705f, v9
	v_sub_f32_e32 v11, v11, v14
	v_fmac_f32_e32 v15, 0x32a5705f, v10
	v_sub_f32_e32 v12, v12, v16
	v_add_f32_e32 v11, v11, v13
	v_cvt_i32_f32_e32 v13, v14
	v_add_f32_e32 v12, v12, v15
	v_cvt_i32_f32_e32 v14, v16
	v_exp_f32_e32 v11, v11
	v_exp_f32_e32 v12, v12
	v_ldexp_f32 v11, v11, v13
	v_ldexp_f32 v12, v12, v14
	v_cndmask_b32_e32 v11, 0, v11, vcc_lo
	v_cmp_ngt_f32_e32 vcc_lo, 0xc2ce8ed0, v10
	v_cndmask_b32_e32 v12, 0, v12, vcc_lo
	v_cmp_nlt_f32_e32 vcc_lo, 0x42b17218, v9
	v_cndmask_b32_e32 v11, 0x7f800000, v11, vcc_lo
	v_cmp_nlt_f32_e32 vcc_lo, 0x42b17218, v10
	v_cndmask_b32_e32 v12, 0x7f800000, v12, vcc_lo
	v_cmp_le_f32_e32 vcc_lo, 0xc1a00000, v9
	v_cndmask_b32_e32 v9, 0, v11, vcc_lo
	v_cmp_le_f32_e32 vcc_lo, 0xc1a00000, v10
	v_cndmask_b32_e32 v10, 0, v12, vcc_lo
	s_waitcnt vmcnt(0)
	v_mul_f32_e32 v8, v8, v9
	v_mul_f32_e32 v9, s7, v9
	v_fmac_f32_e32 v8, v5, v10
	v_fmac_f32_e32 v9, v4, v10
	s_cbranch_execz .LBB61_19
.LBB61_17:                              ;   in Loop: Header=BB61_9 Depth=1
	s_andn2_b32 vcc_lo, exec_lo, s5
	s_cbranch_vccnz .LBB61_20
	s_branch .LBB61_23
.LBB61_18:                              ;   in Loop: Header=BB61_9 Depth=1
	s_andn2_b32 vcc_lo, exec_lo, s6
	s_cbranch_vccnz .LBB61_17
.LBB61_19:                              ;   in Loop: Header=BB61_9 Depth=1
	v_mov_b32_e32 v9, v4
	v_mov_b32_e32 v7, v6
	s_waitcnt vmcnt(0)
	v_mov_b32_e32 v8, v5
	s_add_i32 s1, s17, -1
	s_mov_b32 s20, s10
	s_cbranch_execz .LBB61_23
.LBB61_20:                              ;   in Loop: Header=BB61_9 Depth=1
	v_mov_b32_e32 v4, v9
	v_mov_b32_e32 v6, v7
	s_waitcnt vmcnt(0)
	v_mov_b32_e32 v5, v8
	s_mov_b32 s10, s20
	s_mov_b32 s17, s1
	s_branch .LBB61_9
.LBB61_21:
                                        ; implicit-def: $sgpr10_sgpr11
	s_load_dwordx4 s[12:15], s[4:5], 0x44
	s_branch .LBB61_2
.LBB61_22:
                                        ; implicit-def: $sgpr18_sgpr19
	s_branch .LBB61_5
.LBB61_23:
	v_div_scale_f32 v0, null, v9, v9, v8
	v_rcp_f32_e32 v3, v0
	v_fma_f32 v4, -v0, v3, 1.0
	v_fmac_f32_e32 v3, v4, v3
	v_div_scale_f32 v4, vcc_lo, v8, v9, v8
	s_waitcnt vmcnt(0)
	v_mul_f32_e32 v5, v4, v3
	v_fma_f32 v6, -v0, v5, v4
	v_fmac_f32_e32 v5, v6, v3
	v_fma_f32 v0, -v0, v5, v4
	v_div_fmas_f32 v0, v0, v3, v5
	v_div_fixup_f32 v0, v0, v9, v8
	global_store_dword v[1:2], v0, off
.LBB61_24:
	s_endpgm
	.section	.rodata,"a",@progbits
	.p2align	6, 0x0
	.amdhsa_kernel _ZL33flash_attn_stream_k_fixup_generalILi112ELi16ELi1EEvPfPK15HIP_vector_typeIfLj2EEiiiiS1_IjLj3EES5_S5_S5_
		.amdhsa_group_segment_fixed_size 0
		.amdhsa_private_segment_fixed_size 0
		.amdhsa_kernarg_size 336
		.amdhsa_user_sgpr_count 6
		.amdhsa_user_sgpr_private_segment_buffer 1
		.amdhsa_user_sgpr_dispatch_ptr 0
		.amdhsa_user_sgpr_queue_ptr 0
		.amdhsa_user_sgpr_kernarg_segment_ptr 1
		.amdhsa_user_sgpr_dispatch_id 0
		.amdhsa_user_sgpr_flat_scratch_init 0
		.amdhsa_user_sgpr_private_segment_size 0
		.amdhsa_wavefront_size32 1
		.amdhsa_uses_dynamic_stack 0
		.amdhsa_system_sgpr_private_segment_wavefront_offset 0
		.amdhsa_system_sgpr_workgroup_id_x 1
		.amdhsa_system_sgpr_workgroup_id_y 1
		.amdhsa_system_sgpr_workgroup_id_z 1
		.amdhsa_system_sgpr_workgroup_info 0
		.amdhsa_system_vgpr_workitem_id 0
		.amdhsa_next_free_vgpr 17
		.amdhsa_next_free_sgpr 31
		.amdhsa_reserve_vcc 1
		.amdhsa_reserve_flat_scratch 0
		.amdhsa_float_round_mode_32 0
		.amdhsa_float_round_mode_16_64 0
		.amdhsa_float_denorm_mode_32 3
		.amdhsa_float_denorm_mode_16_64 3
		.amdhsa_dx10_clamp 1
		.amdhsa_ieee_mode 1
		.amdhsa_fp16_overflow 0
		.amdhsa_workgroup_processor_mode 1
		.amdhsa_memory_ordered 1
		.amdhsa_forward_progress 1
		.amdhsa_shared_vgpr_count 0
		.amdhsa_exception_fp_ieee_invalid_op 0
		.amdhsa_exception_fp_denorm_src 0
		.amdhsa_exception_fp_ieee_div_zero 0
		.amdhsa_exception_fp_ieee_overflow 0
		.amdhsa_exception_fp_ieee_underflow 0
		.amdhsa_exception_fp_ieee_inexact 0
		.amdhsa_exception_int_div_zero 0
	.end_amdhsa_kernel
	.section	.text._ZL33flash_attn_stream_k_fixup_generalILi112ELi16ELi1EEvPfPK15HIP_vector_typeIfLj2EEiiiiS1_IjLj3EES5_S5_S5_,"axG",@progbits,_ZL33flash_attn_stream_k_fixup_generalILi112ELi16ELi1EEvPfPK15HIP_vector_typeIfLj2EEiiiiS1_IjLj3EES5_S5_S5_,comdat
.Lfunc_end61:
	.size	_ZL33flash_attn_stream_k_fixup_generalILi112ELi16ELi1EEvPfPK15HIP_vector_typeIfLj2EEiiiiS1_IjLj3EES5_S5_S5_, .Lfunc_end61-_ZL33flash_attn_stream_k_fixup_generalILi112ELi16ELi1EEvPfPK15HIP_vector_typeIfLj2EEiiiiS1_IjLj3EES5_S5_S5_
                                        ; -- End function
	.set _ZL33flash_attn_stream_k_fixup_generalILi112ELi16ELi1EEvPfPK15HIP_vector_typeIfLj2EEiiiiS1_IjLj3EES5_S5_S5_.num_vgpr, 17
	.set _ZL33flash_attn_stream_k_fixup_generalILi112ELi16ELi1EEvPfPK15HIP_vector_typeIfLj2EEiiiiS1_IjLj3EES5_S5_S5_.num_agpr, 0
	.set _ZL33flash_attn_stream_k_fixup_generalILi112ELi16ELi1EEvPfPK15HIP_vector_typeIfLj2EEiiiiS1_IjLj3EES5_S5_S5_.numbered_sgpr, 31
	.set _ZL33flash_attn_stream_k_fixup_generalILi112ELi16ELi1EEvPfPK15HIP_vector_typeIfLj2EEiiiiS1_IjLj3EES5_S5_S5_.num_named_barrier, 0
	.set _ZL33flash_attn_stream_k_fixup_generalILi112ELi16ELi1EEvPfPK15HIP_vector_typeIfLj2EEiiiiS1_IjLj3EES5_S5_S5_.private_seg_size, 0
	.set _ZL33flash_attn_stream_k_fixup_generalILi112ELi16ELi1EEvPfPK15HIP_vector_typeIfLj2EEiiiiS1_IjLj3EES5_S5_S5_.uses_vcc, 1
	.set _ZL33flash_attn_stream_k_fixup_generalILi112ELi16ELi1EEvPfPK15HIP_vector_typeIfLj2EEiiiiS1_IjLj3EES5_S5_S5_.uses_flat_scratch, 0
	.set _ZL33flash_attn_stream_k_fixup_generalILi112ELi16ELi1EEvPfPK15HIP_vector_typeIfLj2EEiiiiS1_IjLj3EES5_S5_S5_.has_dyn_sized_stack, 0
	.set _ZL33flash_attn_stream_k_fixup_generalILi112ELi16ELi1EEvPfPK15HIP_vector_typeIfLj2EEiiiiS1_IjLj3EES5_S5_S5_.has_recursion, 0
	.set _ZL33flash_attn_stream_k_fixup_generalILi112ELi16ELi1EEvPfPK15HIP_vector_typeIfLj2EEiiiiS1_IjLj3EES5_S5_S5_.has_indirect_call, 0
	.section	.AMDGPU.csdata,"",@progbits
; Kernel info:
; codeLenInByte = 2940
; TotalNumSgprs: 33
; NumVgprs: 17
; ScratchSize: 0
; MemoryBound: 0
; FloatMode: 240
; IeeeMode: 1
; LDSByteSize: 0 bytes/workgroup (compile time only)
; SGPRBlocks: 0
; VGPRBlocks: 2
; NumSGPRsForWavesPerEU: 33
; NumVGPRsForWavesPerEU: 17
; Occupancy: 16
; WaveLimiterHint : 0
; COMPUTE_PGM_RSRC2:SCRATCH_EN: 0
; COMPUTE_PGM_RSRC2:USER_SGPR: 6
; COMPUTE_PGM_RSRC2:TRAP_HANDLER: 0
; COMPUTE_PGM_RSRC2:TGID_X_EN: 1
; COMPUTE_PGM_RSRC2:TGID_Y_EN: 1
; COMPUTE_PGM_RSRC2:TGID_Z_EN: 1
; COMPUTE_PGM_RSRC2:TIDIG_COMP_CNT: 0
	.section	.text._ZL15flash_attn_tileILi112ELi112ELi8ELi1ELb0EEvPKcS1_S1_S1_S1_PKiPfP15HIP_vector_typeIfLj2EEffffjfiS5_IjLj3EEiiiiiiiiiiiliiliiiiil,"axG",@progbits,_ZL15flash_attn_tileILi112ELi112ELi8ELi1ELb0EEvPKcS1_S1_S1_S1_PKiPfP15HIP_vector_typeIfLj2EEffffjfiS5_IjLj3EEiiiiiiiiiiiliiliiiiil,comdat
	.globl	_ZL15flash_attn_tileILi112ELi112ELi8ELi1ELb0EEvPKcS1_S1_S1_S1_PKiPfP15HIP_vector_typeIfLj2EEffffjfiS5_IjLj3EEiiiiiiiiiiiliiliiiiil ; -- Begin function _ZL15flash_attn_tileILi112ELi112ELi8ELi1ELb0EEvPKcS1_S1_S1_S1_PKiPfP15HIP_vector_typeIfLj2EEffffjfiS5_IjLj3EEiiiiiiiiiiiliiliiiiil
	.p2align	8
	.type	_ZL15flash_attn_tileILi112ELi112ELi8ELi1ELb0EEvPKcS1_S1_S1_S1_PKiPfP15HIP_vector_typeIfLj2EEffffjfiS5_IjLj3EEiiiiiiiiiiiliiliiiiil,@function
_ZL15flash_attn_tileILi112ELi112ELi8ELi1ELb0EEvPKcS1_S1_S1_S1_PKiPfP15HIP_vector_typeIfLj2EEffffjfiS5_IjLj3EEiiiiiiiiiiiliiliiiiil: ; @_ZL15flash_attn_tileILi112ELi112ELi8ELi1ELb0EEvPKcS1_S1_S1_S1_PKiPfP15HIP_vector_typeIfLj2EEffffjfiS5_IjLj3EEiiiiiiiiiiiliiliiiiil
; %bb.0:
	s_add_u32 s6, s6, s11
	s_addc_u32 s7, s7, 0
	s_setreg_b32 hwreg(HW_REG_FLAT_SCR_LO), s6
	s_setreg_b32 hwreg(HW_REG_FLAT_SCR_HI), s7
	s_clause 0x1
	s_load_dwordx4 s[28:31], s[4:5], 0x5c
	s_load_dwordx2 s[44:45], s[4:5], 0x80
	s_add_u32 s0, s0, s11
	s_addc_u32 s1, s1, 0
	s_mov_b32 s34, s9
	s_mov_b64 s[42:43], 0
	s_waitcnt lgkmcnt(0)
	v_cvt_f32_u32_e32 v2, s31
	s_sub_i32 s7, 0, s31
	v_rcp_iflag_f32_e32 v2, v2
	v_mul_f32_e32 v2, 0x4f7ffffe, v2
	v_cvt_u32_f32_e32 v2, v2
	v_readfirstlane_b32 s6, v2
	s_mul_i32 s7, s7, s6
	s_mul_hi_u32 s7, s6, s7
	s_add_i32 s6, s6, s7
	s_mul_hi_u32 s6, s10, s6
	s_mul_i32 s7, s6, s31
	s_add_i32 s9, s6, 1
	s_sub_i32 s7, s10, s7
	s_sub_i32 s11, s7, s31
	s_cmp_ge_u32 s7, s31
	s_cselect_b32 s6, s9, s6
	s_cselect_b32 s7, s11, s7
	s_add_i32 s9, s6, 1
	s_cmp_ge_u32 s7, s31
	s_cselect_b32 s33, s9, s6
	s_abs_i32 s6, s45
	s_abs_i32 s12, s31
	v_cvt_f32_u32_e32 v2, s6
	s_sub_i32 s9, 0, s6
	s_xor_b32 s11, s31, s45
	s_ashr_i32 s11, s11, 31
	v_rcp_iflag_f32_e32 v2, v2
	v_mul_f32_e32 v2, 0x4f7ffffe, v2
	v_cvt_u32_f32_e32 v2, v2
	v_readfirstlane_b32 s7, v2
	s_mul_i32 s9, s9, s7
	s_mul_hi_u32 s9, s7, s9
	s_add_i32 s7, s7, s9
	s_mul_i32 s9, s33, s31
	s_mul_hi_u32 s7, s12, s7
	s_sub_i32 s40, s10, s9
	s_mul_i32 s13, s7, s6
	s_add_i32 s10, s7, 1
	s_sub_i32 s9, s12, s13
	s_sub_i32 s12, s9, s6
	s_cmp_ge_u32 s9, s6
	s_cselect_b32 s7, s10, s7
	s_cselect_b32 s9, s12, s9
	s_add_i32 s10, s7, 1
	s_cmp_ge_u32 s9, s6
	s_clause 0x1
	s_load_dwordx16 s[12:27], s[4:5], 0x0
	s_load_dwordx2 s[46:47], s[4:5], 0xb8
	s_cselect_b32 s6, s10, s7
	s_xor_b32 s6, s6, s11
	s_sub_i32 s10, s6, s11
	s_abs_i32 s45, s10
	v_cvt_f32_u32_e32 v2, s45
	s_sub_i32 s6, 0, s45
	v_rcp_iflag_f32_e32 v2, v2
	s_waitcnt lgkmcnt(0)
	s_cmp_eq_u64 s[18:19], 0
	v_mul_f32_e32 v2, 0x4f7ffffe, v2
	v_cvt_u32_f32_e32 v2, v2
	v_readfirstlane_b32 s11, v2
	s_mul_i32 s6, s6, s11
	s_mul_hi_u32 s6, s11, s6
	s_cbranch_scc1 .LBB62_2
; %bb.1:
	s_abs_i32 s7, s46
	s_abs_i32 s38, s33
	v_cvt_f32_u32_e32 v2, s7
	s_sub_i32 s35, 0, s7
	s_load_dwordx2 s[36:37], s[4:5], 0xc8
	v_rcp_iflag_f32_e32 v2, v2
	v_mul_f32_e32 v2, 0x4f7ffffe, v2
	v_cvt_u32_f32_e32 v2, v2
	v_readfirstlane_b32 s9, v2
	s_mul_i32 s35, s35, s9
	s_mul_hi_u32 s35, s9, s35
	s_add_i32 s9, s9, s35
	s_ashr_i32 s35, s33, 31
	s_mul_hi_u32 s9, s38, s9
	s_mul_i32 s9, s9, s7
	s_sub_i32 s9, s38, s9
	s_sub_i32 s38, s9, s7
	s_cmp_ge_u32 s9, s7
	s_cselect_b32 s9, s38, s9
	s_sub_i32 s38, s9, s7
	s_cmp_ge_u32 s9, s7
	s_cselect_b32 s7, s38, s9
	s_xor_b32 s7, s7, s35
	s_sub_i32 s7, s7, s35
	s_ashr_i32 s9, s7, 31
	s_waitcnt lgkmcnt(0)
	s_mul_hi_u32 s35, s36, s7
	s_mul_i32 s9, s36, s9
	s_add_i32 s9, s35, s9
	s_mul_i32 s35, s37, s7
	s_mul_i32 s7, s36, s7
	s_add_i32 s9, s9, s35
	s_add_u32 s42, s18, s7
	s_addc_u32 s43, s19, s9
.LBB62_2:
	s_clause 0x1
	s_load_dwordx4 s[36:39], s[4:5], 0x40
	s_load_dword s7, s[4:5], 0x50
	v_mov_b32_e32 v63, 1.0
	s_abs_i32 s19, s40
	s_add_i32 s11, s11, s6
	s_waitcnt lgkmcnt(0)
	v_cmp_le_f32_e64 s9, s37, 0
	s_and_b32 vcc_lo, exec_lo, s9
	s_cbranch_vccnz .LBB62_4
; %bb.3:
	v_sub_co_u32 v3, vcc_lo, s40, s7
	v_mov_b32_e32 v2, s38
	s_add_i32 s6, s40, 1
	v_lshlrev_b32_e32 v3, 1, v3
	v_cndmask_b32_e32 v2, s39, v2, vcc_lo
	v_or_b32_e32 v3, 1, v3
	v_cndmask_b32_e64 v3, v3, s6, vcc_lo
	v_cmp_neq_f32_e32 vcc_lo, 1.0, v2
	s_mov_b32 s6, 0x3e76c4e1
	v_cvt_f32_i32_e32 v3, v3
	v_cndmask_b32_e32 v4, 1.0, v3, vcc_lo
	v_cmp_neq_f32_e32 vcc_lo, 0, v4
	v_cndmask_b32_e32 v5, 1.0, v2, vcc_lo
	v_frexp_mant_f32_e64 v2, |v5|
	v_cmp_eq_f32_e64 s9, 0, v5
	v_cmp_gt_f32_e32 vcc_lo, 0x3f2aaaab, v2
	v_cndmask_b32_e64 v3, 1.0, 2.0, vcc_lo
	v_mul_f32_e32 v2, v2, v3
	v_add_f32_e32 v3, 1.0, v2
	v_add_f32_e32 v7, -1.0, v2
	v_rcp_f32_e32 v6, v3
	v_add_f32_e32 v9, -1.0, v3
	v_sub_f32_e32 v2, v2, v9
	v_mul_f32_e32 v8, v7, v6
	v_mul_f32_e32 v10, v3, v8
	v_fma_f32 v3, v8, v3, -v10
	v_fmac_f32_e32 v3, v8, v2
	v_add_f32_e32 v2, v10, v3
	v_sub_f32_e32 v9, v7, v2
	v_sub_f32_e32 v10, v2, v10
	;; [unrolled: 1-line block ×5, first 2 shown]
	v_add_f32_e32 v2, v3, v2
	v_add_f32_e32 v2, v9, v2
	v_mul_f32_e32 v2, v6, v2
	v_add_f32_e32 v6, v8, v2
	v_sub_f32_e32 v3, v6, v8
	v_mul_f32_e32 v7, v6, v6
	v_sub_f32_e32 v8, v2, v3
	v_fma_f32 v2, v6, v6, -v7
	v_add_f32_e32 v3, v8, v8
	v_fmac_f32_e32 v2, v6, v3
	v_add_f32_e32 v9, v7, v2
	v_fmaak_f32 v3, s6, v9, 0x3e91f4c4
	v_sub_f32_e32 v7, v9, v7
	v_mul_f32_e32 v14, v6, v9
	v_fmaak_f32 v3, v9, v3, 0x3ecccdef
	v_sub_f32_e32 v7, v2, v7
	v_fma_f32 v15, v9, v6, -v14
	v_mul_f32_e32 v10, v9, v3
	v_fmac_f32_e32 v15, v9, v8
	v_ldexp_f32 v8, v8, 1
	v_fma_f32 v11, v9, v3, -v10
	v_fmac_f32_e32 v15, v7, v6
	v_fmac_f32_e32 v11, v7, v3
	v_cvt_f64_f32_e64 v[2:3], |v5|
	v_add_f32_e32 v12, v10, v11
	v_sub_f32_e32 v10, v12, v10
	v_add_f32_e32 v13, 0x3f2aaaaa, v12
	v_sub_f32_e32 v10, v11, v10
	v_add_f32_e32 v11, 0xbf2aaaaa, v13
	v_add_f32_e32 v10, 0x31739010, v10
	v_sub_f32_e32 v11, v12, v11
	v_frexp_exp_i32_f64_e32 v2, v[2:3]
	v_add_f32_e32 v9, v10, v11
	v_add_f32_e32 v10, v14, v15
	;; [unrolled: 1-line block ×3, first 2 shown]
	v_sub_f32_e32 v12, v10, v14
	v_sub_f32_e32 v3, v13, v7
	v_mul_f32_e32 v11, v10, v7
	v_sub_f32_e32 v12, v15, v12
	v_add_f32_e32 v3, v9, v3
	v_fma_f32 v9, v10, v7, -v11
	v_subrev_co_ci_u32_e64 v2, null, 0, v2, vcc_lo
	v_fmac_f32_e32 v9, v10, v3
	v_ldexp_f32 v3, v6, 1
	v_cvt_f32_i32_e32 v2, v2
	v_fmac_f32_e32 v9, v12, v7
	v_add_f32_e32 v6, v11, v9
	v_add_f32_e32 v7, v3, v6
	v_sub_f32_e32 v10, v6, v11
	v_mul_f32_e32 v11, 0x3f317218, v2
	v_sub_f32_e32 v3, v7, v3
	v_sub_f32_e32 v9, v9, v10
	v_fma_f32 v10, 0x3f317218, v2, -v11
	v_sub_f32_e32 v3, v6, v3
	v_add_f32_e32 v6, v8, v9
	v_fmamk_f32 v2, v2, 0xb102e308, v10
	v_add_f32_e32 v3, v6, v3
	v_add_f32_e32 v6, v11, v2
	;; [unrolled: 1-line block ×3, first 2 shown]
	v_sub_f32_e32 v11, v6, v11
	v_add_f32_e32 v9, v6, v8
	v_sub_f32_e32 v7, v8, v7
	v_sub_f32_e32 v2, v2, v11
	;; [unrolled: 1-line block ×6, first 2 shown]
	v_add_f32_e32 v8, v2, v3
	v_sub_f32_e32 v6, v6, v12
	v_add_f32_e32 v6, v7, v6
	v_sub_f32_e32 v7, v8, v2
	;; [unrolled: 2-line block ×3, first 2 shown]
	v_sub_f32_e32 v3, v3, v7
	v_add_f32_e32 v10, v9, v6
	v_sub_f32_e32 v2, v2, v8
	v_sub_f32_e32 v7, v10, v9
	v_add_f32_e32 v2, v3, v2
	v_sub_f32_e32 v3, v6, v7
	v_add_f32_e32 v2, v2, v3
	v_add_f32_e32 v3, v10, v2
	v_sub_f32_e32 v6, v3, v10
	v_mul_f32_e32 v7, v4, v3
	v_sub_f32_e32 v2, v2, v6
	v_fma_f32 v3, v4, v3, -v7
	v_cmp_class_f32_e64 vcc_lo, v7, 0x204
	v_fmac_f32_e32 v3, v4, v2
	v_add_f32_e32 v2, v7, v3
	v_cndmask_b32_e32 v6, v2, v7, vcc_lo
	v_sub_f32_e32 v2, v2, v7
	v_cmp_eq_f32_e32 vcc_lo, 0x42b17218, v6
	v_sub_f32_e32 v2, v3, v2
	v_cndmask_b32_e64 v8, 0, 0x37000000, vcc_lo
	v_cmp_neq_f32_e64 vcc_lo, 0x7f800000, |v6|
	v_sub_f32_e32 v9, v6, v8
	v_cndmask_b32_e32 v2, 0, v2, vcc_lo
	v_trunc_f32_e32 v6, v4
	v_mul_f32_e32 v10, 0x3fb8aa3b, v9
	v_cmp_ngt_f32_e32 vcc_lo, 0xc2ce8ed0, v9
	v_add_f32_e32 v2, v8, v2
	v_fma_f32 v11, 0x3fb8aa3b, v9, -v10
	v_rndne_f32_e32 v12, v10
	v_fmamk_f32 v11, v9, 0x32a5705f, v11
	v_sub_f32_e32 v10, v10, v12
	v_cvt_i32_f32_e32 v7, v12
	v_add_f32_e32 v10, v10, v11
	v_exp_f32_e32 v10, v10
	v_ldexp_f32 v3, v10, v7
	v_mul_f32_e32 v7, 0.5, v4
	v_cndmask_b32_e32 v3, 0, v3, vcc_lo
	v_cmp_nlt_f32_e32 vcc_lo, 0x42b17218, v9
	v_trunc_f32_e32 v10, v7
	v_cndmask_b32_e32 v3, 0x7f800000, v3, vcc_lo
	v_cmp_eq_f32_e32 vcc_lo, v6, v4
	v_cmp_neq_f32_e64 s6, v10, v7
	v_fma_f32 v2, v3, v2, v3
	v_cmp_class_f32_e64 s7, v3, 0x204
	s_and_b32 s6, vcc_lo, s6
	v_cndmask_b32_e64 v6, 1.0, v5, s6
	v_cndmask_b32_e64 v2, v2, v3, s7
	v_cmp_gt_f32_e64 s7, 0, v4
	v_bfi_b32 v2, 0x7fffffff, v2, v6
	s_xor_b32 s7, s7, s9
	v_cndmask_b32_e64 v6, 0, v5, s6
	v_cndmask_b32_e64 v3, 0x7f800000, 0, s7
	v_cmp_class_f32_e64 s6, v5, 0x204
	v_cndmask_b32_e32 v4, 0x7fc00000, v2, vcc_lo
	v_cmp_gt_f32_e32 vcc_lo, 0, v5
	v_bfi_b32 v3, 0x7fffffff, v3, v6
	v_cndmask_b32_e32 v2, v2, v4, vcc_lo
	s_or_b32 vcc_lo, s9, s6
	v_cndmask_b32_e32 v2, v2, v3, vcc_lo
	v_cmp_o_f32_e32 vcc_lo, v5, v5
	v_cndmask_b32_e32 v63, 0x7fc00000, v2, vcc_lo
.LBB62_4:
	s_lshl_b32 s7, s8, 3
	s_movk_i32 s9, 0xe0
	v_cmp_gt_u32_e64 s6, 28, v0
	v_mad_u32_u24 v64, v1, s9, 0x1040
	v_lshlrev_b32_e32 v56, 3, v0
	v_add_nc_u32_e32 v42, s7, v1
	s_mul_hi_u32 s7, s19, s11
	s_and_saveexec_b32 s9, s6
	s_cbranch_execz .LBB62_6
; %bb.5:
	v_mul_hi_u32 v2, s28, v42
	s_load_dwordx4 s[48:51], s[4:5], 0x70
	v_add_nc_u32_e32 v6, v64, v56
	v_add_nc_u32_e32 v2, v42, v2
	v_lshrrev_b32_e32 v2, s29, v2
	v_mul_lo_u32 v2, v2, s30
	s_waitcnt lgkmcnt(0)
	s_mul_i32 s11, s33, s50
	s_mul_i32 s18, s40, s49
	s_ashr_i32 s35, s11, 31
	s_add_u32 s11, s12, s11
	s_addc_u32 s12, s13, s35
	s_ashr_i32 s13, s18, 31
	s_add_u32 s11, s11, s18
	v_sub_nc_u32_e32 v4, v42, v2
	s_addc_u32 s18, s12, s13
	s_ashr_i32 s49, s48, 31
	s_lshr_b64 s[12:13], s[48:49], 2
	v_mad_u64_u32 v[2:3], null, s12, v4, 0
	s_lshr_b32 s12, s49, 2
	v_mad_u64_u32 v[3:4], null, s12, v4, v[3:4]
	v_lshlrev_b32_e32 v4, 4, v0
	v_lshlrev_b64 v[2:3], 2, v[2:3]
	v_add_co_u32 v2, vcc_lo, s11, v2
	v_add_co_ci_u32_e64 v3, null, s18, v3, vcc_lo
	v_add_co_u32 v2, vcc_lo, v2, v4
	v_add_co_ci_u32_e64 v3, null, 0, v3, vcc_lo
	global_load_dwordx4 v[2:5], v[2:3], off
	s_waitcnt vmcnt(0)
	v_fma_mixlo_f16 v3, s36, v3, 0
	v_fma_mixlo_f16 v2, s36, v2, 0
	;; [unrolled: 1-line block ×4, first 2 shown]
	v_lshlrev_b32_e32 v3, 16, v3
	v_and_b32_e32 v2, 0xffff, v2
	v_and_b32_e32 v4, 0xffff, v4
	v_lshlrev_b32_e32 v5, 16, v5
	v_or_b32_e32 v2, v3, v2
	v_or3_b32 v3, v5, v4, 0
	v_or3_b32 v2, 0, 0, v2
	ds_write_b64 v6, v[2:3]
.LBB62_6:
	s_or_b32 exec_lo, exec_lo, s9
	s_ashr_i32 s41, s40, 31
	s_ashr_i32 s12, s10, 31
	s_cmp_eq_u64 s[22:23], 0
	s_waitcnt lgkmcnt(0)
	s_barrier
	buffer_gl0_inv
	s_cbranch_scc1 .LBB62_8
; %bb.7:
	s_load_dword s9, s[4:5], 0xd0
	s_waitcnt lgkmcnt(0)
	s_mul_i32 s9, s9, s33
	s_add_i32 s8, s9, s8
	s_mov_b32 s9, 0
	s_lshl_b64 s[8:9], s[8:9], 2
	s_add_u32 s8, s22, s8
	s_addc_u32 s9, s23, s9
	s_load_dword s44, s[8:9], 0x0
.LBB62_8:
	s_clause 0x2
	s_load_dwordx2 s[22:23], s[4:5], 0x8c
	s_load_dwordx4 s[8:11], s[4:5], 0x98
	s_load_dwordx2 s[38:39], s[4:5], 0xa8
	s_ashr_i32 s13, s33, 31
	s_ashr_i32 s35, s47, 1
	s_mul_i32 s37, s7, s45
	v_lshl_add_u32 v70, v1, 5, v0
	v_lshrrev_b32_e32 v69, 1, v0
	v_lshrrev_b32_e32 v68, 2, v0
	v_lshlrev_b32_e32 v66, 7, v0
	v_lshlrev_b32_e32 v61, 2, v0
	v_lshl_add_u32 v58, v1, 6, 0x1740
	v_lshrrev_b32_e32 v62, 3, v0
	v_mbcnt_lo_u32_b32 v57, -1, 0
	s_waitcnt lgkmcnt(0)
	s_ashr_i32 s36, s22, 2
	s_ashr_i32 s18, s10, 2
	s_mul_hi_u32 s10, s8, s33
	s_mul_i32 s22, s8, s13
	s_mul_i32 s9, s9, s33
	s_add_i32 s10, s10, s22
	s_mul_i32 s8, s8, s33
	s_add_i32 s10, s10, s9
	s_add_u32 s8, s14, s8
	s_addc_u32 s9, s15, s10
	s_xor_b32 s10, s41, s12
	s_sub_i32 s12, s19, s37
	s_add_i32 s14, s7, 1
	s_sub_i32 s15, s12, s45
	s_cmp_ge_u32 s12, s45
	s_mul_i32 s13, s38, s13
	s_cselect_b32 s7, s14, s7
	s_cselect_b32 s12, s15, s12
	s_add_i32 s14, s7, 1
	s_cmp_ge_u32 s12, s45
	s_mul_hi_u32 s12, s38, s33
	s_cselect_b32 s7, s14, s7
	s_mul_i32 s19, s38, s33
	s_xor_b32 s7, s7, s10
	s_sub_i32 s7, s7, s10
	s_mul_i32 s10, s39, s33
	s_mul_i32 s14, s7, s23
	;; [unrolled: 1-line block ×3, first 2 shown]
	s_ashr_i32 s22, s14, 31
	s_add_u32 s15, s8, s14
	s_addc_u32 s37, s9, s22
	s_add_i32 s8, s12, s13
	s_add_i32 s8, s8, s10
	s_add_u32 s9, s16, s19
	s_addc_u32 s8, s17, s8
	s_ashr_i32 s10, s7, 31
	s_add_u32 s19, s9, s7
	s_addc_u32 s22, s8, s10
	s_lshl_b32 s23, s34, 5
	s_sub_i32 s38, s44, 32
	s_cmp_ge_i32 s23, s38
	s_cbranch_scc1 .LBB62_39
; %bb.9:
	v_mul_hi_u32 v3, s28, v42
	v_lshl_add_u32 v8, v1, 4, v69
	v_and_b32_e32 v14, 4, v61
	v_lshl_add_u32 v9, v1, 3, v68
	v_and_b32_e32 v15, 12, v61
	v_and_b32_e32 v75, 28, v61
	v_lshlrev_b32_e32 v5, 7, v8
	v_lshlrev_b32_e32 v10, 2, v14
	v_add_nc_u32_e32 v3, v42, v3
	v_mul_u32_u24_e32 v12, 0xe0, v8
	v_mul_lo_u32 v2, s36, v70
	v_cmp_gt_u32_e64 s8, 32, v8
	v_mul_lo_u32 v4, s36, v8
	v_lshrrev_b32_e32 v3, s29, v3
	v_mul_lo_u32 v6, s36, v9
	v_cmp_gt_u32_e64 s10, 16, v8
	v_or3_b32 v73, v5, v10, 64
	v_or_b32_e32 v16, v12, v10
	v_mul_lo_u32 v7, v3, s30
	v_mul_lo_u32 v8, s18, v8
	;; [unrolled: 1-line block ×3, first 2 shown]
	v_lshlrev_b32_e32 v11, 2, v15
	v_mul_u32_u24_e32 v17, 0xe0, v9
	v_lshlrev_b32_e32 v18, 2, v75
	v_cmp_gt_u32_e64 s9, 32, v9
	v_cmp_gt_u32_e64 s11, 16, v9
	v_sub_nc_u32_e32 v13, v42, v7
	v_ashrrev_i32_e32 v3, 31, v2
	v_lshl_or_b32 v74, v9, 7, v11
	v_ashrrev_i32_e32 v5, 31, v4
	v_ashrrev_i32_e32 v7, 31, v6
	v_mad_u64_u32 v[43:44], null, v13, s35, v[0:1]
	v_lshl_add_u32 v13, v1, 2, v62
	v_ashrrev_i32_e32 v9, 31, v8
	v_add3_u32 v77, v17, v11, 0x80
	v_ashrrev_i32_e32 v11, 31, v10
	v_lshlrev_b64 v[44:45], 2, v[2:3]
	v_mul_lo_u32 v12, s18, v13
	v_cmp_gt_u32_e64 s12, 16, v13
	v_mad_u32_u24 v78, 0xe0, v13, v18
	v_lshlrev_b64 v[46:47], 2, v[4:5]
	v_lshlrev_b64 v[48:49], 2, v[6:7]
	;; [unrolled: 1-line block ×4, first 2 shown]
	v_cmp_gt_u32_e64 s7, 32, v70
	v_ashrrev_i32_e32 v13, 31, v12
	v_or_b32_e32 v71, 0x60, v66
	v_mov_b32_e32 v59, 0
	s_cmp_lg_u64 s[42:43], 0
	v_lshl_add_u32 v72, v0, 1, v58
	v_lshlrev_b64 v[54:55], 2, v[12:13]
	v_add_nc_u32_e32 v76, 0xc0, v16
	v_mov_b32_e32 v84, 0xfeffffff
	v_lshlrev_b32_e32 v79, 2, v14
	v_lshlrev_b32_e32 v80, 2, v15
	v_mbcnt_lo_u32_b32 v81, -1, 0
	v_mov_b32_e32 v82, 0x10001
	v_mov_b32_e32 v60, 0
	;; [unrolled: 1-line block ×3, first 2 shown]
	s_cselect_b32 s39, -1, 0
	s_add_u32 s16, s4, 0xd0
	s_addc_u32 s17, s5, 0
.LBB62_10:                              ; =>This Inner Loop Header: Depth=1
	s_mul_hi_i32 s47, s23, s36
	s_mul_i32 s46, s23, s36
	s_lshl_b64 s[46:47], s[46:47], 2
	s_add_u32 s13, s15, s46
	s_addc_u32 s14, s37, s47
	s_and_saveexec_b32 s45, s7
	s_cbranch_execnz .LBB62_20
; %bb.11:                               ;   in Loop: Header=BB62_10 Depth=1
	s_or_b32 exec_lo, exec_lo, s45
	s_and_saveexec_b32 s45, s8
	s_cbranch_execnz .LBB62_21
.LBB62_12:                              ;   in Loop: Header=BB62_10 Depth=1
	s_or_b32 exec_lo, exec_lo, s45
	s_and_saveexec_b32 s45, s9
	s_cbranch_execz .LBB62_14
.LBB62_13:                              ;   in Loop: Header=BB62_10 Depth=1
	v_add_co_u32 v2, vcc_lo, s13, v48
	v_add_co_ci_u32_e64 v3, null, s14, v49, vcc_lo
	v_add_co_u32 v2, vcc_lo, v2, v80
	v_add_co_ci_u32_e64 v3, null, 0, v3, vcc_lo
	global_load_dwordx4 v[2:5], v[2:3], off
	s_waitcnt vmcnt(0)
	ds_write_b128 v74, v[2:5]
.LBB62_14:                              ;   in Loop: Header=BB62_10 Depth=1
	s_or_b32 exec_lo, exec_lo, s45
	s_waitcnt lgkmcnt(0)
	s_barrier
	buffer_gl0_inv
	ds_read_b128 v[3:6], v66
	ds_read_b128 v[7:10], v64
	v_mov_b32_e32 v2, 0
	s_waitcnt lgkmcnt(0)
	;;#ASMSTART
	v_dot2_f32_f16 v2, v3, v7, v2
	;;#ASMEND
	;;#ASMSTART
	v_dot2_f32_f16 v2, v4, v8, v2
	;;#ASMEND
	;;#ASMSTART
	v_dot2_f32_f16 v2, v5, v9, v2
	;;#ASMEND
	;;#ASMSTART
	v_dot2_f32_f16 v2, v6, v10, v2
	;;#ASMEND
	ds_read_b128 v[3:6], v66 offset:16
	ds_read_b128 v[7:10], v64 offset:16
	s_waitcnt lgkmcnt(0)
	;;#ASMSTART
	v_dot2_f32_f16 v2, v3, v7, v2
	;;#ASMEND
	;;#ASMSTART
	v_dot2_f32_f16 v2, v4, v8, v2
	;;#ASMEND
	;;#ASMSTART
	v_dot2_f32_f16 v2, v5, v9, v2
	;;#ASMEND
	;;#ASMSTART
	v_dot2_f32_f16 v2, v6, v10, v2
	;;#ASMEND
	ds_read_b128 v[3:6], v66 offset:32
	ds_read_b128 v[7:10], v64 offset:32
	;; [unrolled: 15-line block ×6, first 2 shown]
	s_waitcnt lgkmcnt(0)
	;;#ASMSTART
	v_dot2_f32_f16 v2, v3, v7, v2
	;;#ASMEND
	;;#ASMSTART
	v_dot2_f32_f16 v2, v4, v8, v2
	;;#ASMEND
	;;#ASMSTART
	v_dot2_f32_f16 v2, v5, v9, v2
	;;#ASMEND
	;;#ASMSTART
	v_dot2_f32_f16 v2, v6, v10, v2
	;;#ASMEND
	s_barrier
	buffer_gl0_inv
	s_and_saveexec_b32 s45, s7
	s_cbranch_execnz .LBB62_22
; %bb.15:                               ;   in Loop: Header=BB62_10 Depth=1
	s_or_b32 exec_lo, exec_lo, s45
	s_and_saveexec_b32 s45, s8
	s_cbranch_execnz .LBB62_23
.LBB62_16:                              ;   in Loop: Header=BB62_10 Depth=1
	s_or_b32 exec_lo, exec_lo, s45
	s_and_saveexec_b32 s45, s9
	s_cbranch_execz .LBB62_18
.LBB62_17:                              ;   in Loop: Header=BB62_10 Depth=1
	v_add_co_u32 v3, vcc_lo, s13, v48
	v_add_co_ci_u32_e64 v4, null, s14, v49, vcc_lo
	v_add_co_u32 v3, vcc_lo, v3, v80
	v_add_co_ci_u32_e64 v4, null, 0, v4, vcc_lo
	global_load_dwordx4 v[3:6], v[3:4], off offset:112
	s_waitcnt vmcnt(0)
	ds_write_b128 v74, v[3:6]
.LBB62_18:                              ;   in Loop: Header=BB62_10 Depth=1
	s_or_b32 exec_lo, exec_lo, s45
	s_waitcnt lgkmcnt(0)
	s_barrier
	buffer_gl0_inv
	ds_read_b128 v[3:6], v66
	ds_read_b128 v[7:10], v64 offset:112
	s_andn2_b32 vcc_lo, exec_lo, s39
	s_waitcnt lgkmcnt(0)
	;;#ASMSTART
	v_dot2_f32_f16 v2, v3, v7, v2
	;;#ASMEND
	;;#ASMSTART
	v_dot2_f32_f16 v2, v4, v8, v2
	;;#ASMEND
	;;#ASMSTART
	v_dot2_f32_f16 v2, v5, v9, v2
	;;#ASMEND
	;;#ASMSTART
	v_dot2_f32_f16 v2, v6, v10, v2
	;;#ASMEND
	ds_read_b128 v[3:6], v66 offset:16
	ds_read_b128 v[7:10], v64 offset:128
	s_waitcnt lgkmcnt(0)
	;;#ASMSTART
	v_dot2_f32_f16 v2, v3, v7, v2
	;;#ASMEND
	;;#ASMSTART
	v_dot2_f32_f16 v2, v4, v8, v2
	;;#ASMEND
	;;#ASMSTART
	v_dot2_f32_f16 v2, v5, v9, v2
	;;#ASMEND
	;;#ASMSTART
	v_dot2_f32_f16 v2, v6, v10, v2
	;;#ASMEND
	ds_read_b128 v[3:6], v66 offset:32
	ds_read_b128 v[7:10], v64 offset:144
	;; [unrolled: 15-line block ×6, first 2 shown]
	s_waitcnt lgkmcnt(0)
	;;#ASMSTART
	v_dot2_f32_f16 v2, v3, v7, v2
	;;#ASMEND
	;;#ASMSTART
	v_dot2_f32_f16 v2, v4, v8, v2
	;;#ASMEND
	;; [unrolled: 3-line block ×4, first 2 shown]
	s_cbranch_vccnz .LBB62_24
; %bb.19:                               ;   in Loop: Header=BB62_10 Depth=1
	v_add_nc_u32_e32 v3, s23, v43
	v_ashrrev_i32_e32 v4, 31, v3
	v_lshlrev_b64 v[3:4], 1, v[3:4]
	v_add_co_u32 v3, vcc_lo, s42, v3
	v_add_co_ci_u32_e64 v4, null, s43, v4, vcc_lo
	global_load_ushort v3, v[3:4], off
	s_waitcnt vmcnt(0)
	v_cvt_f32_f16_e32 v3, v3
	v_mul_f32_e32 v3, v63, v3
	s_branch .LBB62_25
.LBB62_20:                              ;   in Loop: Header=BB62_10 Depth=1
	v_add_co_u32 v2, vcc_lo, s13, v44
	v_add_co_ci_u32_e64 v3, null, s14, v45, vcc_lo
	global_load_dwordx4 v[2:5], v[2:3], off offset:96
	s_waitcnt vmcnt(0)
	ds_write_b128 v71, v[2:5]
	s_or_b32 exec_lo, exec_lo, s45
	s_and_saveexec_b32 s45, s8
	s_cbranch_execz .LBB62_12
.LBB62_21:                              ;   in Loop: Header=BB62_10 Depth=1
	v_add_co_u32 v2, vcc_lo, s13, v46
	v_add_co_ci_u32_e64 v3, null, s14, v47, vcc_lo
	v_add_co_u32 v2, vcc_lo, v2, v79
	v_add_co_ci_u32_e64 v3, null, 0, v3, vcc_lo
	global_load_dwordx4 v[2:5], v[2:3], off offset:64
	s_waitcnt vmcnt(0)
	ds_write_b128 v73, v[2:5]
	s_or_b32 exec_lo, exec_lo, s45
	s_and_saveexec_b32 s45, s9
	s_cbranch_execnz .LBB62_13
	s_branch .LBB62_14
.LBB62_22:                              ;   in Loop: Header=BB62_10 Depth=1
	v_add_co_u32 v3, vcc_lo, s13, v44
	v_add_co_ci_u32_e64 v4, null, s14, v45, vcc_lo
	global_load_dwordx4 v[3:6], v[3:4], off offset:208
	s_waitcnt vmcnt(0)
	ds_write_b128 v71, v[3:6]
	s_or_b32 exec_lo, exec_lo, s45
	s_and_saveexec_b32 s45, s8
	s_cbranch_execz .LBB62_16
.LBB62_23:                              ;   in Loop: Header=BB62_10 Depth=1
	v_add_co_u32 v3, vcc_lo, s13, v46
	v_add_co_ci_u32_e64 v4, null, s14, v47, vcc_lo
	v_add_co_u32 v3, vcc_lo, v3, v79
	v_add_co_ci_u32_e64 v4, null, 0, v4, vcc_lo
	global_load_dwordx4 v[3:6], v[3:4], off offset:176
	s_waitcnt vmcnt(0)
	ds_write_b128 v73, v[3:6]
	s_or_b32 exec_lo, exec_lo, s45
	s_and_saveexec_b32 s45, s9
	s_cbranch_execnz .LBB62_17
	s_branch .LBB62_18
.LBB62_24:                              ;   in Loop: Header=BB62_10 Depth=1
	v_mov_b32_e32 v3, 0
.LBB62_25:                              ;   in Loop: Header=BB62_10 Depth=1
	v_xor_b32_e32 v4, 16, v81
	v_add_f32_e32 v2, v2, v3
	v_max_f32_e32 v3, v84, v84
	s_mul_hi_i32 s47, s23, s18
	s_mul_i32 s46, s23, s18
	v_cmp_gt_i32_e32 vcc_lo, 32, v4
	v_add_f32_e32 v5, 0x40051340, v2
	s_lshl_b64 s[46:47], s[46:47], 2
	s_add_u32 s13, s19, s46
	v_cndmask_b32_e32 v4, v81, v4, vcc_lo
	v_max_f32_e32 v3, v3, v5
	v_xor_b32_e32 v5, 8, v81
	s_addc_u32 s14, s22, s47
	s_barrier
	v_lshlrev_b32_e32 v4, 2, v4
	buffer_gl0_inv
	v_cmp_gt_i32_e32 vcc_lo, 32, v5
	ds_bpermute_b32 v4, v4, v3
	v_cndmask_b32_e32 v5, v81, v5, vcc_lo
	v_lshlrev_b32_e32 v5, 2, v5
	s_waitcnt lgkmcnt(0)
	v_max_f32_e32 v4, v4, v4
	v_max_f32_e32 v3, v3, v4
	ds_bpermute_b32 v4, v5, v3
	v_xor_b32_e32 v5, 4, v81
	v_cmp_gt_i32_e32 vcc_lo, 32, v5
	v_cndmask_b32_e32 v5, v81, v5, vcc_lo
	v_lshlrev_b32_e32 v5, 2, v5
	s_waitcnt lgkmcnt(0)
	v_max_f32_e32 v4, v4, v4
	v_max_f32_e32 v3, v3, v4
	ds_bpermute_b32 v4, v5, v3
	v_xor_b32_e32 v5, 2, v81
	v_cmp_gt_i32_e32 vcc_lo, 32, v5
	;; [unrolled: 8-line block ×3, first 2 shown]
	v_cndmask_b32_e32 v5, v81, v5, vcc_lo
	v_lshlrev_b32_e32 v5, 2, v5
	s_waitcnt lgkmcnt(0)
	v_max_f32_e32 v4, v4, v4
	v_max_f32_e32 v3, v3, v4
	ds_bpermute_b32 v4, v5, v3
	s_waitcnt lgkmcnt(0)
	v_max_f32_e32 v4, v4, v4
	v_max_f32_e32 v67, v3, v4
	v_sub_f32_e32 v2, v2, v67
	v_mul_f32_e32 v3, 0x3fb8aa3b, v2
	v_cmp_ngt_f32_e32 vcc_lo, 0xc2ce8ed0, v2
	v_fma_f32 v4, 0x3fb8aa3b, v2, -v3
	v_rndne_f32_e32 v5, v3
	v_fmac_f32_e32 v4, 0x32a5705f, v2
	v_sub_f32_e32 v3, v3, v5
	v_add_f32_e32 v3, v3, v4
	v_cvt_i32_f32_e32 v4, v5
	v_exp_f32_e32 v3, v3
	v_ldexp_f32 v3, v3, v4
	v_cndmask_b32_e32 v3, 0, v3, vcc_lo
	v_cmp_nlt_f32_e32 vcc_lo, 0x42b17218, v2
	v_cndmask_b32_e32 v65, 0x7f800000, v3, vcc_lo
	v_cvt_f16_f32_e32 v2, v65
	ds_write_b16 v72, v2
	s_and_saveexec_b32 s45, s10
	s_cbranch_execnz .LBB62_35
; %bb.26:                               ;   in Loop: Header=BB62_10 Depth=1
	s_or_b32 exec_lo, exec_lo, s45
	s_and_saveexec_b32 s45, s11
	s_cbranch_execnz .LBB62_36
.LBB62_27:                              ;   in Loop: Header=BB62_10 Depth=1
	s_or_b32 exec_lo, exec_lo, s45
	v_lshlrev_b32_e32 v86, 2, v75
	s_and_saveexec_b32 s45, s12
	s_cbranch_execz .LBB62_29
.LBB62_28:                              ;   in Loop: Header=BB62_10 Depth=1
	v_add_co_u32 v2, vcc_lo, s13, v54
	v_add_co_ci_u32_e64 v3, null, s14, v55, vcc_lo
	v_add_co_u32 v2, vcc_lo, v2, v86
	v_add_co_ci_u32_e64 v3, null, 0, v3, vcc_lo
	global_load_dwordx4 v[2:5], v[2:3], off
	s_waitcnt vmcnt(0)
	ds_write_b128 v78, v[2:5]
.LBB62_29:                              ;   in Loop: Header=BB62_10 Depth=1
	s_or_b32 exec_lo, exec_lo, s45
	v_add_nc_u32_e32 v85, 0x800, v56
	s_waitcnt lgkmcnt(0)
	s_barrier
	buffer_gl0_inv
	ds_read2_b64 v[26:29], v56 offset1:28
	ds_read_b128 v[18:21], v58
	ds_read_b128 v[2:5], v58 offset:16
	ds_read2_b64 v[38:41], v56 offset0:56 offset1:84
	ds_read2_b64 v[34:37], v56 offset0:112 offset1:140
	;; [unrolled: 1-line block ×7, first 2 shown]
	v_sub_f32_e32 v84, v84, v67
	s_or_b32 s14, s23, 16
	s_waitcnt lgkmcnt(0)
	s_mul_hi_i32 s47, s14, s18
	s_mul_i32 s46, s14, s18
	v_cmp_nlt_f32_e64 s13, 0x42b17218, v84
	s_lshl_b64 s[46:47], s[46:47], 2
	v_cmp_ngt_f32_e32 vcc_lo, 0xc2ce8ed0, v84
	s_add_u32 s45, s19, s46
	s_addc_u32 s46, s22, s47
	s_barrier
	buffer_gl0_inv
	s_and_saveexec_b32 s47, s10
	s_cbranch_execnz .LBB62_37
; %bb.30:                               ;   in Loop: Header=BB62_10 Depth=1
	s_or_b32 exec_lo, exec_lo, s47
	s_and_saveexec_b32 s47, s11
	s_cbranch_execnz .LBB62_38
.LBB62_31:                              ;   in Loop: Header=BB62_10 Depth=1
	s_or_b32 exec_lo, exec_lo, s47
	s_and_saveexec_b32 s47, s12
	s_cbranch_execz .LBB62_33
.LBB62_32:                              ;   in Loop: Header=BB62_10 Depth=1
	v_add_co_u32 v87, s14, s45, v54
	v_add_co_ci_u32_e64 v88, null, s46, v55, s14
	v_add_co_u32 v86, s14, v87, v86
	v_add_co_ci_u32_e64 v87, null, 0, v88, s14
	global_load_dwordx4 v[86:89], v[86:87], off
	s_waitcnt vmcnt(0)
	ds_write_b128 v78, v[86:89]
.LBB62_33:                              ;   in Loop: Header=BB62_10 Depth=1
	s_or_b32 exec_lo, exec_lo, s47
	v_mul_f32_e32 v86, 0x3fb8aa3b, v84
	s_waitcnt lgkmcnt(0)
	s_barrier
	buffer_gl0_inv
	v_fma_f32 v87, 0x3fb8aa3b, v84, -v86
	v_rndne_f32_e32 v88, v86
	v_fmac_f32_e32 v87, 0x32a5705f, v84
	v_sub_f32_e32 v84, v86, v88
	v_cvt_i32_f32_e32 v86, v88
	v_add_f32_e32 v84, v84, v87
	v_exp_f32_e32 v84, v84
	v_ldexp_f32 v84, v84, v86
	v_mul_u32_u24_sdwa v86, v18, v82 dst_sel:DWORD dst_unused:UNUSED_PAD src0_sel:WORD_0 src1_sel:DWORD
	v_mul_u32_u24_sdwa v18, v18, v82 dst_sel:DWORD dst_unused:UNUSED_PAD src0_sel:WORD_1 src1_sel:DWORD
	v_cndmask_b32_e32 v84, 0, v84, vcc_lo
	v_pk_mul_f16 v26, v26, v86
	v_pk_mul_f16 v27, v27, v86
	v_cndmask_b32_e64 v84, 0x7f800000, v84, s13
	v_cvt_f16_f32_e32 v87, v84
	v_fmac_f32_e32 v65, v83, v84
	v_mul_u32_u24_sdwa v87, v87, v82 dst_sel:DWORD dst_unused:UNUSED_PAD src0_sel:WORD_0 src1_sel:DWORD
	v_pk_fma_f16 v26, v59, v87, v26
	v_pk_fma_f16 v27, v60, v87, v27
	v_mul_u32_u24_sdwa v59, v19, v82 dst_sel:DWORD dst_unused:UNUSED_PAD src0_sel:WORD_0 src1_sel:DWORD
	v_mul_u32_u24_sdwa v19, v19, v82 dst_sel:DWORD dst_unused:UNUSED_PAD src0_sel:WORD_1 src1_sel:DWORD
	v_pk_fma_f16 v26, v28, v18, v26
	v_pk_fma_f16 v18, v29, v18, v27
	v_mul_u32_u24_sdwa v27, v20, v82 dst_sel:DWORD dst_unused:UNUSED_PAD src0_sel:WORD_0 src1_sel:DWORD
	v_pk_fma_f16 v26, v38, v59, v26
	v_pk_fma_f16 v18, v39, v59, v18
	;; [unrolled: 1-line block ×4, first 2 shown]
	v_mul_u32_u24_sdwa v19, v20, v82 dst_sel:DWORD dst_unused:UNUSED_PAD src0_sel:WORD_1 src1_sel:DWORD
	v_pk_fma_f16 v20, v34, v27, v26
	v_pk_fma_f16 v18, v35, v27, v18
	v_mul_u32_u24_sdwa v26, v21, v82 dst_sel:DWORD dst_unused:UNUSED_PAD src0_sel:WORD_0 src1_sel:DWORD
	v_pk_fma_f16 v20, v36, v19, v20
	v_pk_fma_f16 v18, v37, v19, v18
	v_mul_u32_u24_sdwa v19, v21, v82 dst_sel:DWORD dst_unused:UNUSED_PAD src0_sel:WORD_1 src1_sel:DWORD
	v_mul_u32_u24_sdwa v21, v2, v82 dst_sel:DWORD dst_unused:UNUSED_PAD src0_sel:WORD_0 src1_sel:DWORD
	v_mul_u32_u24_sdwa v2, v2, v82 dst_sel:DWORD dst_unused:UNUSED_PAD src0_sel:WORD_1 src1_sel:DWORD
	v_pk_fma_f16 v20, v30, v26, v20
	v_pk_fma_f16 v18, v31, v26, v18
	;; [unrolled: 1-line block ×6, first 2 shown]
	v_mul_u32_u24_sdwa v20, v3, v82 dst_sel:DWORD dst_unused:UNUSED_PAD src0_sel:WORD_0 src1_sel:DWORD
	v_mul_u32_u24_sdwa v3, v3, v82 dst_sel:DWORD dst_unused:UNUSED_PAD src0_sel:WORD_1 src1_sel:DWORD
	v_mul_u32_u24_sdwa v22, v4, v82 dst_sel:DWORD dst_unused:UNUSED_PAD src0_sel:WORD_0 src1_sel:DWORD
	v_pk_fma_f16 v19, v24, v2, v19
	v_pk_fma_f16 v2, v25, v2, v18
	;; [unrolled: 1-line block ×4, first 2 shown]
	ds_read_b128 v[18:21], v58 offset:32
	v_pk_fma_f16 v23, v16, v3, v14
	v_pk_fma_f16 v2, v17, v3, v2
	v_mul_u32_u24_sdwa v3, v4, v82 dst_sel:DWORD dst_unused:UNUSED_PAD src0_sel:WORD_1 src1_sel:DWORD
	ds_read2_b64 v[14:17], v56 offset1:28
	v_pk_fma_f16 v4, v10, v22, v23
	v_pk_fma_f16 v2, v11, v22, v2
	v_mul_u32_u24_sdwa v10, v5, v82 dst_sel:DWORD dst_unused:UNUSED_PAD src0_sel:WORD_0 src1_sel:DWORD
	v_mul_u32_u24_sdwa v22, v5, v82 dst_sel:DWORD dst_unused:UNUSED_PAD src0_sel:WORD_1 src1_sel:DWORD
	v_pk_fma_f16 v11, v12, v3, v4
	v_pk_fma_f16 v12, v13, v3, v2
	ds_read2_b64 v[2:5], v56 offset0:56 offset1:84
	v_pk_fma_f16 v6, v6, v10, v11
	v_pk_fma_f16 v7, v7, v10, v12
	ds_read_b128 v[10:13], v58 offset:48
	s_waitcnt lgkmcnt(3)
	v_mul_u32_u24_sdwa v23, v18, v82 dst_sel:DWORD dst_unused:UNUSED_PAD src0_sel:WORD_0 src1_sel:DWORD
	v_mul_u32_u24_sdwa v18, v18, v82 dst_sel:DWORD dst_unused:UNUSED_PAD src0_sel:WORD_1 src1_sel:DWORD
	v_pk_fma_f16 v24, v8, v22, v6
	v_pk_fma_f16 v22, v9, v22, v7
	ds_read2_b64 v[6:9], v56 offset0:112 offset1:140
	s_waitcnt lgkmcnt(3)
	v_pk_fma_f16 v14, v14, v23, v24
	v_pk_fma_f16 v15, v15, v23, v22
	v_mul_u32_u24_sdwa v22, v19, v82 dst_sel:DWORD dst_unused:UNUSED_PAD src0_sel:WORD_0 src1_sel:DWORD
	v_mul_u32_u24_sdwa v19, v19, v82 dst_sel:DWORD dst_unused:UNUSED_PAD src0_sel:WORD_1 src1_sel:DWORD
	v_pk_fma_f16 v23, v16, v18, v14
	v_pk_fma_f16 v18, v17, v18, v15
	ds_read2_b64 v[14:17], v56 offset0:168 offset1:196
	s_waitcnt lgkmcnt(3)
	v_pk_fma_f16 v2, v2, v22, v23
	v_pk_fma_f16 v3, v3, v22, v18
	;; [unrolled: 8-line block ×3, first 2 shown]
	v_mul_u32_u24_sdwa v18, v21, v82 dst_sel:DWORD dst_unused:UNUSED_PAD src0_sel:WORD_0 src1_sel:DWORD
	v_mul_u32_u24_sdwa v21, v21, v82 dst_sel:DWORD dst_unused:UNUSED_PAD src0_sel:WORD_1 src1_sel:DWORD
	v_mul_u32_u24_sdwa v22, v11, v82 dst_sel:DWORD dst_unused:UNUSED_PAD src0_sel:WORD_0 src1_sel:DWORD
	v_pk_fma_f16 v19, v8, v20, v6
	v_pk_fma_f16 v20, v9, v20, v7
	ds_read2_b64 v[6:9], v85 offset0:24 offset1:52
	s_waitcnt lgkmcnt(2)
	v_pk_fma_f16 v14, v14, v18, v19
	v_pk_fma_f16 v15, v15, v18, v20
	v_mul_u32_u24_sdwa v18, v10, v82 dst_sel:DWORD dst_unused:UNUSED_PAD src0_sel:WORD_0 src1_sel:DWORD
	v_mul_u32_u24_sdwa v10, v10, v82 dst_sel:DWORD dst_unused:UNUSED_PAD src0_sel:WORD_1 src1_sel:DWORD
	v_pk_fma_f16 v19, v16, v21, v14
	v_pk_fma_f16 v20, v17, v21, v15
	ds_read2_b64 v[14:17], v85 offset0:80 offset1:108
	s_waitcnt lgkmcnt(2)
	v_pk_fma_f16 v2, v2, v18, v19
	v_pk_fma_f16 v3, v3, v18, v20
	ds_read2_b64 v[18:21], v85 offset0:136 offset1:164
	s_waitcnt lgkmcnt(0)
	s_barrier
	v_pk_fma_f16 v2, v4, v10, v2
	v_pk_fma_f16 v3, v5, v10, v3
	v_mul_u32_u24_sdwa v4, v11, v82 dst_sel:DWORD dst_unused:UNUSED_PAD src0_sel:WORD_1 src1_sel:DWORD
	buffer_gl0_inv
	s_load_dword s13, s[16:17], 0x4
	v_pk_fma_f16 v2, v6, v22, v2
	v_pk_fma_f16 v3, v7, v22, v3
	v_mul_u32_u24_sdwa v5, v12, v82 dst_sel:DWORD dst_unused:UNUSED_PAD src0_sel:WORD_0 src1_sel:DWORD
	v_pk_fma_f16 v2, v8, v4, v2
	v_pk_fma_f16 v3, v9, v4, v3
	v_mul_u32_u24_sdwa v4, v12, v82 dst_sel:DWORD dst_unused:UNUSED_PAD src0_sel:WORD_1 src1_sel:DWORD
	v_pk_fma_f16 v2, v14, v5, v2
	v_pk_fma_f16 v3, v15, v5, v3
	v_mul_u32_u24_sdwa v5, v13, v82 dst_sel:DWORD dst_unused:UNUSED_PAD src0_sel:WORD_0 src1_sel:DWORD
	v_pk_fma_f16 v2, v16, v4, v2
	v_pk_fma_f16 v3, v17, v4, v3
	v_mul_u32_u24_sdwa v4, v13, v82 dst_sel:DWORD dst_unused:UNUSED_PAD src0_sel:WORD_1 src1_sel:DWORD
	s_waitcnt lgkmcnt(0)
	s_lshl_b32 s13, s13, 5
	v_pk_fma_f16 v2, v18, v5, v2
	v_pk_fma_f16 v3, v19, v5, v3
	s_add_i32 s23, s13, s23
	s_cmp_lt_i32 s23, s38
	v_pk_fma_f16 v59, v20, v4, v2
	v_pk_fma_f16 v60, v21, v4, v3
	s_cbranch_scc0 .LBB62_40
; %bb.34:                               ;   in Loop: Header=BB62_10 Depth=1
	v_mov_b32_e32 v84, v67
	v_mov_b32_e32 v83, v65
	s_branch .LBB62_10
.LBB62_35:                              ;   in Loop: Header=BB62_10 Depth=1
	v_add_co_u32 v2, vcc_lo, s13, v50
	v_add_co_ci_u32_e64 v3, null, s14, v51, vcc_lo
	v_add_co_u32 v2, vcc_lo, v2, v79
	v_add_co_ci_u32_e64 v3, null, 0, v3, vcc_lo
	global_load_dwordx4 v[2:5], v[2:3], off offset:192
	s_waitcnt vmcnt(0)
	ds_write_b128 v76, v[2:5]
	s_or_b32 exec_lo, exec_lo, s45
	s_and_saveexec_b32 s45, s11
	s_cbranch_execz .LBB62_27
.LBB62_36:                              ;   in Loop: Header=BB62_10 Depth=1
	v_add_co_u32 v2, vcc_lo, s13, v52
	v_add_co_ci_u32_e64 v3, null, s14, v53, vcc_lo
	v_add_co_u32 v2, vcc_lo, v2, v80
	v_add_co_ci_u32_e64 v3, null, 0, v3, vcc_lo
	global_load_dwordx4 v[2:5], v[2:3], off offset:128
	s_waitcnt vmcnt(0)
	ds_write_b128 v77, v[2:5]
	s_or_b32 exec_lo, exec_lo, s45
	v_lshlrev_b32_e32 v86, 2, v75
	s_and_saveexec_b32 s45, s12
	s_cbranch_execnz .LBB62_28
	s_branch .LBB62_29
.LBB62_37:                              ;   in Loop: Header=BB62_10 Depth=1
	v_add_co_u32 v87, s14, s45, v50
	v_add_co_ci_u32_e64 v88, null, s46, v51, s14
	v_add_co_u32 v87, s14, v87, v79
	v_add_co_ci_u32_e64 v88, null, 0, v88, s14
	global_load_dwordx4 v[87:90], v[87:88], off offset:192
	s_waitcnt vmcnt(0)
	ds_write_b128 v76, v[87:90]
	s_or_b32 exec_lo, exec_lo, s47
	s_and_saveexec_b32 s47, s11
	s_cbranch_execz .LBB62_31
.LBB62_38:                              ;   in Loop: Header=BB62_10 Depth=1
	v_add_co_u32 v87, s14, s45, v52
	v_add_co_ci_u32_e64 v88, null, s46, v53, s14
	v_add_co_u32 v87, s14, v87, v80
	v_add_co_ci_u32_e64 v88, null, 0, v88, s14
	global_load_dwordx4 v[87:90], v[87:88], off offset:128
	s_waitcnt vmcnt(0)
	ds_write_b128 v77, v[87:90]
	s_or_b32 exec_lo, exec_lo, s47
	s_and_saveexec_b32 s47, s12
	s_cbranch_execnz .LBB62_32
	s_branch .LBB62_33
.LBB62_39:
	v_mov_b32_e32 v60, 0
	v_mov_b32_e32 v65, 0
	;; [unrolled: 1-line block ×4, first 2 shown]
.LBB62_40:
	s_cmp_gt_i32 s44, s23
	s_cbranch_scc1 .LBB62_43
; %bb.41:
	v_mbcnt_lo_u32_b32 v2, -1, 0
	v_mov_b32_e32 v73, 32
	v_xor_b32_e32 v53, 16, v2
	v_xor_b32_e32 v54, 8, v2
	;; [unrolled: 1-line block ×5, first 2 shown]
	s_cbranch_execz .LBB62_44
; %bb.42:
	v_mov_b32_e32 v43, v67
	v_mov_b32_e32 v57, v2
	s_branch .LBB62_74
.LBB62_43:
                                        ; implicit-def: $vgpr2
                                        ; implicit-def: $vgpr73
                                        ; implicit-def: $vgpr53
                                        ; implicit-def: $vgpr54
                                        ; implicit-def: $vgpr55
                                        ; implicit-def: $vgpr71
                                        ; implicit-def: $vgpr72
.LBB62_44:
	v_mul_lo_u32 v2, s36, v70
	s_mul_hi_i32 s9, s23, s36
	s_mul_i32 s8, s23, s36
	s_sub_i32 s38, s44, s23
	s_lshl_b64 s[10:11], s[8:9], 2
	v_cmp_gt_u32_e64 s9, 32, v70
	v_or_b32_e32 v10, 0x60, v66
	v_cmp_gt_i32_e64 s8, s38, v70
	v_ashrrev_i32_e32 v3, 31, v2
	s_add_u32 s39, s15, s10
	s_mov_b64 s[12:13], src_private_base
	s_addc_u32 s37, s37, s11
	v_lshlrev_b64 v[2:3], 2, v[2:3]
	s_and_saveexec_b32 s7, s9
	s_cbranch_execz .LBB62_46
; %bb.45:
	v_add_co_u32 v4, vcc_lo, s39, v2
	v_add_co_ci_u32_e64 v5, null, s37, v3, vcc_lo
	v_mov_b32_e32 v6, 0
	v_add_co_u32 v4, vcc_lo, 0x60, v4
	v_add_co_ci_u32_e64 v5, null, 0, v5, vcc_lo
	buffer_store_dword v6, off, s[0:3], 0
	buffer_store_dword v6, off, s[0:3], 0 offset:4
	buffer_store_dword v6, off, s[0:3], 0 offset:8
	buffer_store_dword v6, off, s[0:3], 0 offset:12
	v_cndmask_b32_e64 v4, 0, v4, s8
	v_cndmask_b32_e64 v5, s13, v5, s8
	flat_load_dwordx4 v[4:7], v[4:5]
	s_waitcnt vmcnt(0) lgkmcnt(0)
	ds_write_b128 v10, v[4:7]
.LBB62_46:
	s_or_b32 exec_lo, exec_lo, s7
	v_lshl_add_u32 v41, v1, 4, v69
	v_and_b32_e32 v8, 4, v61
	s_mov_b64 s[14:15], src_private_base
	v_mul_lo_u32 v4, s36, v41
	v_lshlrev_b32_e32 v6, 7, v41
	v_lshlrev_b32_e32 v50, 2, v8
	v_cmp_gt_u32_e64 s10, 32, v41
	v_cmp_gt_i32_e32 vcc_lo, s38, v41
	v_or3_b32 v11, v6, v50, 64
	v_ashrrev_i32_e32 v5, 31, v4
	v_lshlrev_b64 v[4:5], 2, v[4:5]
	s_and_saveexec_b32 s11, s10
	s_cbranch_execz .LBB62_48
; %bb.47:
	v_add_co_u32 v6, s7, s39, v4
	v_add_co_ci_u32_e64 v7, null, s37, v5, s7
	v_mov_b32_e32 v9, 0
	v_add_co_u32 v6, s7, v6, v50
	v_add_co_ci_u32_e64 v7, null, 0, v7, s7
	buffer_store_dword v9, off, s[0:3], 0
	buffer_store_dword v9, off, s[0:3], 0 offset:4
	buffer_store_dword v9, off, s[0:3], 0 offset:8
	;; [unrolled: 1-line block ×3, first 2 shown]
	v_add_co_u32 v6, s7, v6, 64
	v_add_co_ci_u32_e64 v7, null, 0, v7, s7
	v_cndmask_b32_e32 v6, 0, v6, vcc_lo
	v_cndmask_b32_e32 v7, s15, v7, vcc_lo
	flat_load_dwordx4 v[12:15], v[6:7]
	s_waitcnt vmcnt(0) lgkmcnt(0)
	ds_write_b128 v11, v[12:15]
.LBB62_48:
	s_or_b32 exec_lo, exec_lo, s11
	v_lshl_add_u32 v51, v1, 3, v68
	v_and_b32_e32 v7, 12, v61
	v_mov_b32_e32 v9, 0
	s_mov_b64 s[16:17], src_private_base
	v_mul_lo_u32 v6, s36, v51
	v_lshlrev_b32_e32 v52, 2, v7
	v_cmp_gt_u32_e64 s11, 32, v51
	v_cmp_gt_i32_e64 s7, s38, v51
	v_lshl_or_b32 v12, v51, 7, v52
	v_ashrrev_i32_e32 v7, 31, v6
	v_lshlrev_b64 v[6:7], 2, v[6:7]
	s_and_saveexec_b32 s14, s11
	s_cbranch_execz .LBB62_50
; %bb.49:
	v_add_co_u32 v13, s12, s39, v6
	v_add_co_ci_u32_e64 v14, null, s37, v7, s12
	buffer_store_dword v9, off, s[0:3], 0
	buffer_store_dword v9, off, s[0:3], 0 offset:4
	buffer_store_dword v9, off, s[0:3], 0 offset:8
	;; [unrolled: 1-line block ×3, first 2 shown]
	v_add_co_u32 v13, s12, v13, v52
	v_add_co_ci_u32_e64 v14, null, 0, v14, s12
	v_cndmask_b32_e64 v13, 0, v13, s7
	v_cndmask_b32_e64 v14, s17, v14, s7
	flat_load_dwordx4 v[13:16], v[13:14]
	s_waitcnt vmcnt(0) lgkmcnt(0)
	ds_write_b128 v12, v[13:16]
.LBB62_50:
	s_or_b32 exec_lo, exec_lo, s14
	s_waitcnt lgkmcnt(0)
	s_waitcnt_vscnt null, 0x0
	s_barrier
	buffer_gl0_inv
	ds_read_b128 v[13:16], v66
	ds_read_b128 v[17:20], v64
	s_waitcnt lgkmcnt(0)
	;;#ASMSTART
	v_dot2_f32_f16 v9, v13, v17, v9
	;;#ASMEND
	;;#ASMSTART
	v_dot2_f32_f16 v9, v14, v18, v9
	;;#ASMEND
	;;#ASMSTART
	v_dot2_f32_f16 v9, v15, v19, v9
	;;#ASMEND
	;;#ASMSTART
	v_dot2_f32_f16 v9, v16, v20, v9
	;;#ASMEND
	ds_read_b128 v[13:16], v66 offset:16
	ds_read_b128 v[17:20], v64 offset:16
	s_waitcnt lgkmcnt(0)
	;;#ASMSTART
	v_dot2_f32_f16 v9, v13, v17, v9
	;;#ASMEND
	;;#ASMSTART
	v_dot2_f32_f16 v9, v14, v18, v9
	;;#ASMEND
	;;#ASMSTART
	v_dot2_f32_f16 v9, v15, v19, v9
	;;#ASMEND
	;;#ASMSTART
	v_dot2_f32_f16 v9, v16, v20, v9
	;;#ASMEND
	ds_read_b128 v[13:16], v66 offset:32
	ds_read_b128 v[17:20], v64 offset:32
	;; [unrolled: 15-line block ×6, first 2 shown]
	s_waitcnt lgkmcnt(0)
	;;#ASMSTART
	v_dot2_f32_f16 v9, v13, v17, v9
	;;#ASMEND
	;;#ASMSTART
	v_dot2_f32_f16 v9, v14, v18, v9
	;;#ASMEND
	;; [unrolled: 3-line block ×4, first 2 shown]
	s_barrier
	buffer_gl0_inv
	s_and_saveexec_b32 s12, s9
	s_cbranch_execnz .LBB62_57
; %bb.51:
	s_or_b32 exec_lo, exec_lo, s12
	s_and_saveexec_b32 s9, s10
	s_cbranch_execnz .LBB62_58
.LBB62_52:
	s_or_b32 exec_lo, exec_lo, s9
	s_and_saveexec_b32 s9, s11
	s_cbranch_execz .LBB62_54
.LBB62_53:
	v_add_co_u32 v2, s8, s39, v6
	v_add_co_ci_u32_e64 v3, null, s37, v7, s8
	v_mov_b32_e32 v4, 0
	v_add_co_u32 v2, s8, v2, v52
	v_add_co_ci_u32_e64 v3, null, 0, v3, s8
	buffer_store_dword v4, off, s[0:3], 0
	buffer_store_dword v4, off, s[0:3], 0 offset:4
	buffer_store_dword v4, off, s[0:3], 0 offset:8
	;; [unrolled: 1-line block ×3, first 2 shown]
	v_add_co_u32 v2, s8, 0x70, v2
	v_add_co_ci_u32_e64 v3, null, 0, v3, s8
	v_cndmask_b32_e64 v2, 0, v2, s7
	v_cndmask_b32_e64 v3, s17, v3, s7
	flat_load_dwordx4 v[2:5], v[2:3]
	s_waitcnt vmcnt(0) lgkmcnt(0)
	ds_write_b128 v12, v[2:5]
.LBB62_54:
	s_or_b32 exec_lo, exec_lo, s9
	s_waitcnt lgkmcnt(0)
	s_waitcnt_vscnt null, 0x0
	s_barrier
	buffer_gl0_inv
	ds_read_b128 v[2:5], v66
	ds_read_b128 v[10:13], v64 offset:112
	s_mov_b32 s9, exec_lo
	s_waitcnt lgkmcnt(0)
	;;#ASMSTART
	v_dot2_f32_f16 v9, v2, v10, v9
	;;#ASMEND
	;;#ASMSTART
	v_dot2_f32_f16 v9, v3, v11, v9
	;;#ASMEND
	;;#ASMSTART
	v_dot2_f32_f16 v9, v4, v12, v9
	;;#ASMEND
	;;#ASMSTART
	v_dot2_f32_f16 v9, v5, v13, v9
	;;#ASMEND
	ds_read_b128 v[2:5], v66 offset:16
	ds_read_b128 v[10:13], v64 offset:128
	s_waitcnt lgkmcnt(0)
	;;#ASMSTART
	v_dot2_f32_f16 v9, v2, v10, v9
	;;#ASMEND
	;;#ASMSTART
	v_dot2_f32_f16 v9, v3, v11, v9
	;;#ASMEND
	;;#ASMSTART
	v_dot2_f32_f16 v9, v4, v12, v9
	;;#ASMEND
	;;#ASMSTART
	v_dot2_f32_f16 v9, v5, v13, v9
	;;#ASMEND
	ds_read_b128 v[2:5], v66 offset:32
	ds_read_b128 v[10:13], v64 offset:144
	;; [unrolled: 15-line block ×6, first 2 shown]
	v_mov_b32_e32 v2, v67
	s_waitcnt lgkmcnt(0)
	;;#ASMSTART
	v_dot2_f32_f16 v9, v3, v10, v9
	;;#ASMEND
	;;#ASMSTART
	v_dot2_f32_f16 v9, v4, v11, v9
	;;#ASMEND
	;; [unrolled: 3-line block ×4, first 2 shown]
	v_cmpx_gt_i32_e64 s38, v0
	s_cbranch_execz .LBB62_61
; %bb.55:
	s_cmp_eq_u64 s[42:43], 0
	s_cbranch_scc1 .LBB62_59
; %bb.56:
	v_mul_hi_u32 v2, s28, v42
	v_add_nc_u32_e32 v2, v42, v2
	v_lshrrev_b32_e32 v2, s29, v2
	v_mul_lo_u32 v2, v2, s30
	v_sub_nc_u32_e32 v2, v42, v2
	v_mul_lo_u32 v2, v2, s35
	v_add3_u32 v2, v2, v0, s23
	v_ashrrev_i32_e32 v3, 31, v2
	v_lshlrev_b64 v[2:3], 1, v[2:3]
	v_add_co_u32 v2, s8, s42, v2
	v_add_co_ci_u32_e64 v3, null, s43, v3, s8
	global_load_ushort v2, v[2:3], off
	s_waitcnt vmcnt(0)
	v_cvt_f32_f16_e32 v2, v2
	v_mul_f32_e32 v2, v63, v2
	s_branch .LBB62_60
.LBB62_57:
	v_add_co_u32 v2, s9, s39, v2
	v_add_co_ci_u32_e64 v3, null, s37, v3, s9
	v_mov_b32_e32 v13, 0
	v_add_co_u32 v2, s9, 0xd0, v2
	v_add_co_ci_u32_e64 v3, null, 0, v3, s9
	buffer_store_dword v13, off, s[0:3], 0
	buffer_store_dword v13, off, s[0:3], 0 offset:4
	buffer_store_dword v13, off, s[0:3], 0 offset:8
	;; [unrolled: 1-line block ×3, first 2 shown]
	v_cndmask_b32_e64 v2, 0, v2, s8
	v_cndmask_b32_e64 v3, s13, v3, s8
	flat_load_dwordx4 v[13:16], v[2:3]
	s_waitcnt vmcnt(0) lgkmcnt(0)
	ds_write_b128 v10, v[13:16]
	s_or_b32 exec_lo, exec_lo, s12
	s_and_saveexec_b32 s9, s10
	s_cbranch_execz .LBB62_52
.LBB62_58:
	v_add_co_u32 v2, s8, s39, v4
	v_add_co_ci_u32_e64 v3, null, s37, v5, s8
	v_mov_b32_e32 v4, 0
	v_add_co_u32 v2, s8, v2, v50
	v_add_co_ci_u32_e64 v3, null, 0, v3, s8
	buffer_store_dword v4, off, s[0:3], 0
	buffer_store_dword v4, off, s[0:3], 0 offset:4
	buffer_store_dword v4, off, s[0:3], 0 offset:8
	;; [unrolled: 1-line block ×3, first 2 shown]
	v_add_co_u32 v2, s8, 0xb0, v2
	v_add_co_ci_u32_e64 v3, null, 0, v3, s8
	v_cndmask_b32_e32 v2, 0, v2, vcc_lo
	v_cndmask_b32_e32 v3, s15, v3, vcc_lo
	flat_load_dwordx4 v[2:5], v[2:3]
	s_waitcnt vmcnt(0) lgkmcnt(0)
	ds_write_b128 v11, v[2:5]
	s_or_b32 exec_lo, exec_lo, s9
	s_and_saveexec_b32 s9, s11
	s_cbranch_execnz .LBB62_53
	s_branch .LBB62_54
.LBB62_59:
	v_mov_b32_e32 v2, 0
.LBB62_60:
	v_add_f32_e32 v9, v9, v2
	v_max_f32_e32 v3, v67, v67
	v_add_f32_e32 v2, 0x40051340, v9
	v_max_f32_e32 v2, v3, v2
.LBB62_61:
	s_or_b32 exec_lo, exec_lo, s9
	v_xor_b32_e32 v53, 16, v57
	v_xor_b32_e32 v54, 8, v57
	;; [unrolled: 1-line block ×5, first 2 shown]
	v_cmp_gt_i32_e64 s8, 32, v53
	v_cmp_gt_u32_e64 s9, s38, v0
	s_mul_hi_i32 s13, s23, s18
	s_mul_i32 s12, s23, s18
	v_mov_b32_e32 v73, 32
	v_cndmask_b32_e64 v3, v57, v53, s8
	v_cmp_gt_i32_e64 s8, 32, v54
	s_lshl_b64 s[12:13], s[12:13], 2
	s_mov_b64 s[10:11], src_private_base
	s_add_u32 s10, s19, s12
	v_lshlrev_b32_e32 v3, 2, v3
	v_cndmask_b32_e64 v4, v57, v54, s8
	v_cmp_gt_i32_e64 s8, 32, v55
	s_addc_u32 s16, s22, s13
	ds_bpermute_b32 v3, v3, v2
	v_max_f32_e32 v2, v2, v2
	v_lshlrev_b32_e32 v4, 2, v4
	s_barrier
	s_waitcnt lgkmcnt(0)
	buffer_gl0_inv
	v_max_f32_e32 v3, v3, v3
	v_max_f32_e32 v2, v2, v3
	ds_bpermute_b32 v3, v4, v2
	v_cndmask_b32_e64 v4, v57, v55, s8
	v_cmp_gt_i32_e64 s8, 32, v71
	v_lshlrev_b32_e32 v4, 2, v4
	s_waitcnt lgkmcnt(0)
	v_max_f32_e32 v3, v3, v3
	v_max_f32_e32 v2, v2, v3
	ds_bpermute_b32 v3, v4, v2
	v_cndmask_b32_e64 v4, v57, v71, s8
	v_cmp_gt_i32_e64 s8, 32, v72
	v_lshlrev_b32_e32 v4, 2, v4
	s_waitcnt lgkmcnt(0)
	v_max_f32_e32 v3, v3, v3
	v_max_f32_e32 v2, v2, v3
	ds_bpermute_b32 v3, v4, v2
	v_cndmask_b32_e64 v4, v57, v72, s8
	v_lshlrev_b32_e32 v4, 2, v4
	s_waitcnt lgkmcnt(0)
	v_max_f32_e32 v3, v3, v3
	v_max_f32_e32 v2, v2, v3
	ds_bpermute_b32 v3, v4, v2
	s_waitcnt lgkmcnt(0)
	v_max_f32_e32 v3, v3, v3
	v_max_f32_e32 v43, v2, v3
	v_sub_f32_e32 v3, v9, v43
	v_mul_f32_e32 v2, 0x3fb8aa3b, v3
	v_cmp_ngt_f32_e64 s8, 0xc2ce8ed0, v3
	v_fma_f32 v4, 0x3fb8aa3b, v3, -v2
	v_rndne_f32_e32 v5, v2
	v_fmamk_f32 v4, v3, 0x32a5705f, v4
	v_sub_f32_e32 v2, v2, v5
	v_add_f32_e32 v2, v2, v4
	v_cvt_i32_f32_e32 v4, v5
	v_mul_u32_u24_e32 v5, 0xe0, v41
	v_exp_f32_e32 v2, v2
	v_lshl_or_b32 v5, v8, 2, v5
	v_add_nc_u32_e32 v64, 0xc0, v5
	v_ldexp_f32 v2, v2, v4
	v_cndmask_b32_e64 v4, 0, v2, s8
	v_cmp_nlt_f32_e64 s8, 0x42b17218, v3
	v_mul_lo_u32 v2, s18, v41
	v_cndmask_b32_e64 v3, 0x7f800000, v4, s8
	v_lshl_add_u32 v4, v0, 1, v58
	v_cmp_gt_u32_e64 s8, 16, v41
	v_cndmask_b32_e64 v63, 0, v3, s9
	v_ashrrev_i32_e32 v3, 31, v2
	v_cvt_f16_f32_e32 v5, v63
	v_lshlrev_b64 v[44:45], 2, v[2:3]
	ds_write_b16 v4, v5
	s_and_saveexec_b32 s12, s8
	s_cbranch_execz .LBB62_63
; %bb.62:
	v_add_co_u32 v2, s9, s10, v44
	v_add_co_ci_u32_e64 v3, null, s16, v45, s9
	v_mov_b32_e32 v4, 0
	v_add_co_u32 v2, s9, v2, v50
	v_add_co_ci_u32_e64 v3, null, 0, v3, s9
	buffer_store_dword v4, off, s[0:3], 0
	buffer_store_dword v4, off, s[0:3], 0 offset:4
	buffer_store_dword v4, off, s[0:3], 0 offset:8
	;; [unrolled: 1-line block ×3, first 2 shown]
	v_add_co_u32 v2, s9, 0xc0, v2
	v_add_co_ci_u32_e64 v3, null, 0, v3, s9
	v_cndmask_b32_e32 v2, 0, v2, vcc_lo
	v_cndmask_b32_e32 v3, s11, v3, vcc_lo
	flat_load_dwordx4 v[2:5], v[2:3]
	s_waitcnt vmcnt(0) lgkmcnt(0)
	ds_write_b128 v64, v[2:5]
.LBB62_63:
	s_or_b32 exec_lo, exec_lo, s12
	v_mul_lo_u32 v2, s18, v51
	v_mul_u32_u24_e32 v4, 0xe0, v51
	v_cmp_gt_u32_e64 s9, 16, v51
	s_mov_b64 s[14:15], src_private_base
	v_add3_u32 v66, v4, v52, 0x80
	v_ashrrev_i32_e32 v3, 31, v2
	v_lshlrev_b64 v[48:49], 2, v[2:3]
	s_and_saveexec_b32 s12, s9
	s_cbranch_execz .LBB62_65
; %bb.64:
	v_add_co_u32 v2, vcc_lo, s10, v48
	v_add_co_ci_u32_e64 v3, null, s16, v49, vcc_lo
	v_mov_b32_e32 v4, 0
	v_add_co_u32 v2, vcc_lo, v2, v52
	v_add_co_ci_u32_e64 v3, null, 0, v3, vcc_lo
	buffer_store_dword v4, off, s[0:3], 0
	buffer_store_dword v4, off, s[0:3], 0 offset:4
	buffer_store_dword v4, off, s[0:3], 0 offset:8
	;; [unrolled: 1-line block ×3, first 2 shown]
	v_add_co_u32 v2, vcc_lo, 0x80, v2
	v_add_co_ci_u32_e64 v3, null, 0, v3, vcc_lo
	v_cndmask_b32_e64 v2, 0, v2, s7
	v_cndmask_b32_e64 v3, s15, v3, s7
	flat_load_dwordx4 v[2:5], v[2:3]
	s_waitcnt vmcnt(0) lgkmcnt(0)
	ds_write_b128 v66, v[2:5]
.LBB62_65:
	s_or_b32 exec_lo, exec_lo, s12
	v_lshl_add_u32 v62, v1, 2, v62
	v_and_b32_e32 v1, 28, v61
	s_mov_b64 s[12:13], src_private_base
	v_mul_lo_u32 v2, s18, v62
	v_lshlrev_b32_e32 v69, 2, v1
	v_cmp_gt_u32_e32 vcc_lo, 16, v62
	v_mov_b32_e32 v1, 0
	v_mad_u32_u24 v68, 0xe0, v62, v69
	v_ashrrev_i32_e32 v3, 31, v2
	v_lshlrev_b64 v[46:47], 2, v[2:3]
	s_and_saveexec_b32 s12, vcc_lo
	s_cbranch_execz .LBB62_67
; %bb.66:
	v_add_co_u32 v2, s7, s10, v46
	v_add_co_ci_u32_e64 v3, null, s16, v47, s7
	buffer_store_dword v1, off, s[0:3], 0
	buffer_store_dword v1, off, s[0:3], 0 offset:4
	buffer_store_dword v1, off, s[0:3], 0 offset:8
	;; [unrolled: 1-line block ×3, first 2 shown]
	v_add_co_u32 v2, s7, v2, v69
	v_add_co_ci_u32_e64 v3, null, 0, v3, s7
	v_cmp_gt_i32_e64 s7, s38, v62
	v_cndmask_b32_e64 v3, s13, v3, s7
	v_cndmask_b32_e64 v2, 0, v2, s7
	flat_load_dwordx4 v[1:4], v[2:3]
	s_waitcnt vmcnt(0) lgkmcnt(0)
	ds_write_b128 v68, v[1:4]
.LBB62_67:
	s_or_b32 exec_lo, exec_lo, s12
	v_sub_f32_e32 v61, v67, v43
	s_waitcnt lgkmcnt(0)
	s_waitcnt_vscnt null, 0x0
	s_barrier
	buffer_gl0_inv
	ds_read2_b64 v[13:16], v56 offset1:28
	v_mul_f32_e32 v1, 0x3fb8aa3b, v61
	ds_read_b128 v[37:40], v58
	ds_read_b128 v[33:36], v58 offset:16
	ds_read2_b64 v[17:20], v56 offset0:56 offset1:84
	ds_read2_b64 v[29:32], v56 offset0:112 offset1:140
	v_cmp_ngt_f32_e64 s7, 0xc2ce8ed0, v61
	s_or_b32 s10, s23, 16
	v_fma_f32 v2, 0x3fb8aa3b, v61, -v1
	v_rndne_f32_e32 v3, v1
	s_mul_hi_i32 s17, s10, s18
	s_mul_i32 s16, s10, s18
	s_lshl_b64 s[16:17], s[16:17], 2
	v_fmamk_f32 v2, v61, 0x32a5705f, v2
	v_sub_f32_e32 v1, v1, v3
	v_cvt_i32_f32_e32 v3, v3
	s_add_u32 s10, s19, s16
	s_addc_u32 s12, s22, s17
	s_add_i32 s38, s38, -16
	v_add_f32_e32 v1, v1, v2
	v_add_nc_u32_e32 v2, 0x800, v56
	ds_read2_b64 v[25:28], v56 offset0:168 offset1:196
	ds_read2_b64 v[21:24], v56 offset0:224 offset1:252
	;; [unrolled: 1-line block ×4, first 2 shown]
	v_exp_f32_e32 v1, v1
	v_ldexp_f32 v67, v1, v3
	ds_read2_b64 v[1:4], v2 offset0:136 offset1:164
	s_waitcnt lgkmcnt(0)
	s_barrier
	buffer_gl0_inv
	v_cndmask_b32_e64 v67, 0, v67, s7
	v_cmp_nlt_f32_e64 s7, 0x42b17218, v61
	v_cndmask_b32_e64 v61, 0x7f800000, v67, s7
	v_cvt_f16_f32_e32 v67, v61
	s_and_saveexec_b32 s14, s8
	s_cbranch_execz .LBB62_69
; %bb.68:
	v_add_co_u32 v44, s7, s10, v44
	v_add_co_ci_u32_e64 v45, null, s12, v45, s7
	v_add_co_u32 v44, s7, v44, v50
	v_add_co_ci_u32_e64 v45, null, 0, v45, s7
	;; [unrolled: 2-line block ×3, first 2 shown]
	v_cmp_gt_i32_e64 s7, s38, v41
	v_mov_b32_e32 v41, 0
	buffer_store_dword v41, off, s[0:3], 0
	buffer_store_dword v41, off, s[0:3], 0 offset:4
	buffer_store_dword v41, off, s[0:3], 0 offset:8
	;; [unrolled: 1-line block ×3, first 2 shown]
	v_cndmask_b32_e64 v45, s11, v45, s7
	v_cndmask_b32_e64 v44, 0, v44, s7
	flat_load_dwordx4 v[74:77], v[44:45]
	s_waitcnt vmcnt(0) lgkmcnt(0)
	ds_write_b128 v64, v[74:77]
.LBB62_69:
	s_or_b32 exec_lo, exec_lo, s14
	s_and_saveexec_b32 s8, s9
	s_cbranch_execz .LBB62_71
; %bb.70:
	v_add_co_u32 v41, s7, s10, v48
	v_add_co_ci_u32_e64 v44, null, s12, v49, s7
	v_mov_b32_e32 v48, 0
	v_add_co_u32 v41, s7, v41, v52
	v_add_co_ci_u32_e64 v44, null, 0, v44, s7
	buffer_store_dword v48, off, s[0:3], 0
	buffer_store_dword v48, off, s[0:3], 0 offset:4
	buffer_store_dword v48, off, s[0:3], 0 offset:8
	;; [unrolled: 1-line block ×3, first 2 shown]
	v_add_co_u32 v41, s7, 0x80, v41
	v_add_co_ci_u32_e64 v44, null, 0, v44, s7
	v_cmp_gt_i32_e64 s7, s38, v51
	v_cndmask_b32_e64 v45, s15, v44, s7
	v_cndmask_b32_e64 v44, 0, v41, s7
	flat_load_dwordx4 v[48:51], v[44:45]
	s_waitcnt vmcnt(0) lgkmcnt(0)
	ds_write_b128 v66, v[48:51]
.LBB62_71:
	s_or_b32 exec_lo, exec_lo, s8
	v_mov_b32_e32 v41, 0x10001
	v_mul_u32_u24_sdwa v64, v67, v41 dst_sel:DWORD dst_unused:UNUSED_PAD src0_sel:WORD_0 src1_sel:DWORD
	v_mul_u32_u24_sdwa v67, v37, v41 dst_sel:DWORD dst_unused:UNUSED_PAD src0_sel:WORD_0 src1_sel:DWORD
	v_mul_u32_u24_sdwa v66, v37, v41 dst_sel:DWORD dst_unused:UNUSED_PAD src0_sel:WORD_1 src1_sel:DWORD
	v_mul_u32_u24_sdwa v52, v38, v41 dst_sel:DWORD dst_unused:UNUSED_PAD src0_sel:WORD_0 src1_sel:DWORD
	v_mul_u32_u24_sdwa v51, v38, v41 dst_sel:DWORD dst_unused:UNUSED_PAD src0_sel:WORD_1 src1_sel:DWORD
	;; [unrolled: 2-line block ×8, first 2 shown]
	s_and_saveexec_b32 s7, vcc_lo
	s_cbranch_execz .LBB62_73
; %bb.72:
	v_add_co_u32 v36, vcc_lo, s10, v46
	v_add_co_ci_u32_e64 v46, null, s12, v47, vcc_lo
	v_add_co_u32 v36, vcc_lo, v36, v69
	v_add_co_ci_u32_e64 v46, null, 0, v46, vcc_lo
	v_cmp_gt_i32_e32 vcc_lo, s38, v62
	v_mov_b32_e32 v62, 0
	buffer_store_dword v62, off, s[0:3], 0
	buffer_store_dword v62, off, s[0:3], 0 offset:4
	buffer_store_dword v62, off, s[0:3], 0 offset:8
	;; [unrolled: 1-line block ×3, first 2 shown]
	v_cndmask_b32_e32 v47, s13, v46, vcc_lo
	v_cndmask_b32_e32 v46, 0, v36, vcc_lo
	flat_load_dwordx4 v[74:77], v[46:47]
	s_waitcnt vmcnt(0) lgkmcnt(0)
	ds_write_b128 v68, v[74:77]
.LBB62_73:
	s_or_b32 exec_lo, exec_lo, s7
	v_pk_mul_f16 v13, v13, v67
	v_pk_mul_f16 v14, v14, v67
	s_waitcnt lgkmcnt(0)
	s_waitcnt_vscnt null, 0x0
	s_barrier
	buffer_gl0_inv
	v_pk_fma_f16 v13, v59, v64, v13
	v_pk_fma_f16 v14, v60, v64, v14
	v_fmac_f32_e32 v63, v65, v61
	v_pk_fma_f16 v13, v15, v66, v13
	v_pk_fma_f16 v14, v16, v66, v14
	v_mov_b32_e32 v65, v63
	v_pk_fma_f16 v13, v17, v52, v13
	v_pk_fma_f16 v14, v18, v52, v14
	v_pk_fma_f16 v13, v19, v51, v13
	v_pk_fma_f16 v14, v20, v51, v14
	v_pk_fma_f16 v13, v29, v50, v13
	v_pk_fma_f16 v14, v30, v50, v14
	v_pk_fma_f16 v13, v31, v49, v13
	v_pk_fma_f16 v14, v32, v49, v14
	v_pk_fma_f16 v13, v25, v48, v13
	v_pk_fma_f16 v14, v26, v48, v14
	v_pk_fma_f16 v13, v27, v45, v13
	v_pk_fma_f16 v14, v28, v45, v14
	v_pk_fma_f16 v13, v21, v44, v13
	v_pk_fma_f16 v14, v22, v44, v14
	v_pk_fma_f16 v13, v23, v40, v13
	v_pk_fma_f16 v14, v24, v40, v14
	v_pk_fma_f16 v9, v9, v39, v13
	v_pk_fma_f16 v10, v10, v39, v14
	ds_read_b128 v[13:16], v58 offset:32
	v_pk_fma_f16 v17, v11, v38, v9
	v_pk_fma_f16 v18, v12, v38, v10
	ds_read2_b64 v[9:12], v56 offset1:28
	v_pk_fma_f16 v5, v5, v37, v17
	v_pk_fma_f16 v6, v6, v37, v18
	v_pk_fma_f16 v17, v7, v35, v5
	v_pk_fma_f16 v18, v8, v35, v6
	ds_read2_b64 v[5:8], v56 offset0:56 offset1:84
	v_pk_fma_f16 v1, v1, v34, v17
	v_pk_fma_f16 v2, v2, v34, v18
	ds_read_b128 v[17:20], v58 offset:48
	s_waitcnt lgkmcnt(3)
	v_mul_u32_u24_sdwa v21, v13, v41 dst_sel:DWORD dst_unused:UNUSED_PAD src0_sel:WORD_0 src1_sel:DWORD
	v_mul_u32_u24_sdwa v13, v13, v41 dst_sel:DWORD dst_unused:UNUSED_PAD src0_sel:WORD_1 src1_sel:DWORD
	v_pk_fma_f16 v22, v3, v33, v1
	v_pk_fma_f16 v23, v4, v33, v2
	ds_read2_b64 v[1:4], v56 offset0:112 offset1:140
	s_waitcnt lgkmcnt(3)
	v_pk_fma_f16 v9, v9, v21, v22
	v_pk_fma_f16 v10, v10, v21, v23
	v_mul_u32_u24_sdwa v21, v14, v41 dst_sel:DWORD dst_unused:UNUSED_PAD src0_sel:WORD_0 src1_sel:DWORD
	v_mul_u32_u24_sdwa v14, v14, v41 dst_sel:DWORD dst_unused:UNUSED_PAD src0_sel:WORD_1 src1_sel:DWORD
	v_pk_fma_f16 v22, v11, v13, v9
	v_pk_fma_f16 v13, v12, v13, v10
	ds_read2_b64 v[9:12], v56 offset0:168 offset1:196
	s_waitcnt lgkmcnt(3)
	v_pk_fma_f16 v5, v5, v21, v22
	v_pk_fma_f16 v6, v6, v21, v13
	;; [unrolled: 8-line block ×3, first 2 shown]
	v_add_nc_u32_e32 v13, 0x800, v56
	v_mul_u32_u24_sdwa v14, v16, v41 dst_sel:DWORD dst_unused:UNUSED_PAD src0_sel:WORD_0 src1_sel:DWORD
	v_mul_u32_u24_sdwa v16, v16, v41 dst_sel:DWORD dst_unused:UNUSED_PAD src0_sel:WORD_1 src1_sel:DWORD
	v_pk_fma_f16 v21, v3, v15, v1
	v_pk_fma_f16 v15, v4, v15, v2
	ds_read2_b64 v[1:4], v13 offset0:24 offset1:52
	s_waitcnt lgkmcnt(2)
	v_pk_fma_f16 v9, v9, v14, v21
	v_pk_fma_f16 v10, v10, v14, v15
	v_mul_u32_u24_sdwa v14, v17, v41 dst_sel:DWORD dst_unused:UNUSED_PAD src0_sel:WORD_0 src1_sel:DWORD
	v_mul_u32_u24_sdwa v17, v17, v41 dst_sel:DWORD dst_unused:UNUSED_PAD src0_sel:WORD_1 src1_sel:DWORD
	v_pk_fma_f16 v15, v11, v16, v9
	v_pk_fma_f16 v16, v12, v16, v10
	ds_read2_b64 v[9:12], v13 offset0:80 offset1:108
	s_waitcnt lgkmcnt(2)
	v_pk_fma_f16 v5, v5, v14, v15
	v_pk_fma_f16 v6, v6, v14, v16
	v_mul_u32_u24_sdwa v14, v18, v41 dst_sel:DWORD dst_unused:UNUSED_PAD src0_sel:WORD_0 src1_sel:DWORD
	v_pk_fma_f16 v15, v7, v17, v5
	v_pk_fma_f16 v16, v8, v17, v6
	ds_read2_b64 v[5:8], v13 offset0:136 offset1:164
	v_mul_u32_u24_sdwa v13, v18, v41 dst_sel:DWORD dst_unused:UNUSED_PAD src0_sel:WORD_1 src1_sel:DWORD
	s_waitcnt lgkmcnt(0)
	v_pk_fma_f16 v1, v1, v14, v15
	v_pk_fma_f16 v2, v2, v14, v16
	v_mul_u32_u24_sdwa v14, v19, v41 dst_sel:DWORD dst_unused:UNUSED_PAD src0_sel:WORD_0 src1_sel:DWORD
	s_barrier
	buffer_gl0_inv
	v_pk_fma_f16 v1, v3, v13, v1
	v_pk_fma_f16 v2, v4, v13, v2
	v_mul_u32_u24_sdwa v3, v19, v41 dst_sel:DWORD dst_unused:UNUSED_PAD src0_sel:WORD_1 src1_sel:DWORD
	v_mul_u32_u24_sdwa v4, v20, v41 dst_sel:DWORD dst_unused:UNUSED_PAD src0_sel:WORD_0 src1_sel:DWORD
	v_pk_fma_f16 v1, v9, v14, v1
	v_pk_fma_f16 v2, v10, v14, v2
	;; [unrolled: 1-line block ×4, first 2 shown]
	v_mul_u32_u24_sdwa v3, v20, v41 dst_sel:DWORD dst_unused:UNUSED_PAD src0_sel:WORD_1 src1_sel:DWORD
	v_pk_fma_f16 v1, v5, v4, v1
	v_pk_fma_f16 v2, v6, v4, v2
	;; [unrolled: 1-line block ×4, first 2 shown]
.LBB62_74:
	v_cmp_lt_i32_e32 vcc_lo, v53, v73
	s_cmp_eq_u64 s[20:21], 0
	s_cselect_b32 s7, -1, 0
	s_cmp_lg_u32 s34, 0
	v_cndmask_b32_e32 v1, v57, v53, vcc_lo
	v_cmp_lt_i32_e32 vcc_lo, v54, v73
	s_cselect_b32 s8, -1, 0
	s_or_b32 s7, s8, s7
	v_lshlrev_b32_e32 v1, 2, v1
	v_cndmask_b32_e32 v2, v57, v54, vcc_lo
	v_cmp_lt_i32_e32 vcc_lo, v55, v73
	ds_bpermute_b32 v1, v1, v65
	v_lshlrev_b32_e32 v2, 2, v2
	v_cndmask_b32_e32 v3, v57, v55, vcc_lo
	v_cmp_lt_i32_e32 vcc_lo, v71, v73
	v_lshlrev_b32_e32 v3, 2, v3
	s_waitcnt lgkmcnt(0)
	v_add_f32_e32 v1, v65, v1
	ds_bpermute_b32 v2, v2, v1
	s_waitcnt lgkmcnt(0)
	v_add_f32_e32 v1, v1, v2
	ds_bpermute_b32 v2, v3, v1
	v_cndmask_b32_e32 v3, v57, v71, vcc_lo
	v_cmp_lt_i32_e32 vcc_lo, v72, v73
	v_lshlrev_b32_e32 v3, 2, v3
	s_waitcnt lgkmcnt(0)
	v_add_f32_e32 v1, v1, v2
	ds_bpermute_b32 v2, v3, v1
	v_cndmask_b32_e32 v3, v57, v72, vcc_lo
	s_and_b32 vcc_lo, exec_lo, s7
	v_lshlrev_b32_e32 v3, 2, v3
	s_waitcnt lgkmcnt(0)
	v_add_f32_e32 v1, v1, v2
	ds_bpermute_b32 v2, v3, v1
	s_waitcnt lgkmcnt(0)
	v_add_f32_e32 v44, v1, v2
	s_cbranch_vccnz .LBB62_76
; %bb.75:
	s_lshl_b64 s[8:9], s[40:41], 2
	v_mov_b32_e32 v1, 0
	s_add_u32 s8, s20, s8
	s_addc_u32 s9, s21, s9
	v_max_f32_e32 v2, v43, v43
	global_load_dword v1, v1, s[8:9]
	s_waitcnt vmcnt(0)
	v_max_f32_e32 v3, v1, v1
	v_max_f32_e32 v2, v2, v3
	v_sub_f32_e32 v3, v43, v2
	v_sub_f32_e32 v1, v1, v2
	v_mov_b32_e32 v43, v2
	v_mul_f32_e32 v4, 0x3fb8aa3b, v3
	v_mul_f32_e32 v5, 0x3fb8aa3b, v1
	v_cmp_ngt_f32_e32 vcc_lo, 0xc2ce8ed0, v3
	v_fma_f32 v6, 0x3fb8aa3b, v3, -v4
	v_rndne_f32_e32 v7, v4
	v_fma_f32 v8, 0x3fb8aa3b, v1, -v5
	v_rndne_f32_e32 v9, v5
	v_fmac_f32_e32 v6, 0x32a5705f, v3
	v_sub_f32_e32 v4, v4, v7
	v_fmac_f32_e32 v8, 0x32a5705f, v1
	v_sub_f32_e32 v5, v5, v9
	v_add_f32_e32 v4, v4, v6
	v_cvt_i32_f32_e32 v6, v7
	v_add_f32_e32 v5, v5, v8
	v_cvt_i32_f32_e32 v7, v9
	v_exp_f32_e32 v4, v4
	v_exp_f32_e32 v5, v5
	v_ldexp_f32 v4, v4, v6
	v_ldexp_f32 v5, v5, v7
	v_cndmask_b32_e32 v4, 0, v4, vcc_lo
	v_cmp_ngt_f32_e32 vcc_lo, 0xc2ce8ed0, v1
	v_cndmask_b32_e32 v5, 0, v5, vcc_lo
	v_cmp_nlt_f32_e32 vcc_lo, 0x42b17218, v3
	v_cndmask_b32_e32 v3, 0x7f800000, v4, vcc_lo
	v_cmp_nlt_f32_e32 vcc_lo, 0x42b17218, v1
	v_mov_b32_e32 v4, 0x10001
	v_cndmask_b32_e32 v1, 0x7f800000, v5, vcc_lo
	v_cvt_f16_f32_e32 v5, v3
	v_fmac_f32_e32 v1, v44, v3
	v_mul_u32_u24_sdwa v3, v5, v4 dst_sel:DWORD dst_unused:UNUSED_PAD src0_sel:WORD_0 src1_sel:DWORD
	v_mov_b32_e32 v44, v1
	v_pk_mul_f16 v59, v59, v3
	v_pk_mul_f16 v60, v60, v3
.LBB62_76:
	s_mov_b32 s7, exec_lo
	v_cmpx_gt_i32_e64 s30, v42
	s_cbranch_execz .LBB62_81
; %bb.77:
	s_load_dword s4, s[4:5], 0xd4
	v_mad_u64_u32 v[1:2], null, s33, s30, v[42:43]
	v_mad_u64_u32 v[1:2], null, v1, s31, s[40:41]
	s_waitcnt lgkmcnt(0)
	v_mad_u64_u32 v[1:2], null, s4, v1, s[34:35]
	s_cmp_lg_u32 s4, 1
	s_cselect_b32 s4, -1, 0
	s_and_saveexec_b32 s5, s6
	s_cbranch_execz .LBB62_79
; %bb.78:
	v_div_scale_f32 v2, null, v44, v44, 1.0
	v_div_scale_f32 v5, vcc_lo, 1.0, v44, 1.0
	v_cvt_f32_f16_sdwa v8, v60 dst_sel:DWORD dst_unused:UNUSED_PAD src0_sel:WORD_1
	v_rcp_f32_e32 v3, v2
	v_cvt_f32_f16_sdwa v10, v59 dst_sel:DWORD dst_unused:UNUSED_PAD src0_sel:WORD_1
	v_cvt_f32_f16_e32 v11, v59
	v_fma_f32 v4, -v2, v3, 1.0
	v_fmac_f32_e32 v3, v4, v3
	v_mul_f32_e32 v4, v5, v3
	v_fma_f32 v6, -v2, v4, v5
	v_fmac_f32_e32 v4, v6, v3
	v_fma_f32 v2, -v2, v4, v5
	v_div_fmas_f32 v2, v2, v3, v4
	v_mul_lo_u32 v4, 0x70, v1
	v_mov_b32_e32 v3, 0
	v_div_fixup_f32 v5, v2, v44, 1.0
	v_lshl_add_u32 v2, v0, 2, v4
	v_cndmask_b32_e64 v9, v5, 1.0, s4
	v_cvt_f32_f16_e32 v4, v60
	v_lshlrev_b64 v[6:7], 2, v[2:3]
	v_mul_f32_e32 v5, v9, v8
	v_mul_f32_e32 v4, v9, v4
	;; [unrolled: 1-line block ×4, first 2 shown]
	v_add_co_u32 v6, vcc_lo, s24, v6
	v_add_co_ci_u32_e64 v7, null, s25, v7, vcc_lo
	global_store_dwordx4 v[6:7], v[2:5], off
.LBB62_79:
	s_or_b32 exec_lo, exec_lo, s5
	v_cmp_eq_u32_e32 vcc_lo, 0, v0
	s_and_b32 s4, vcc_lo, s4
	s_and_b32 exec_lo, exec_lo, s4
	s_cbranch_execz .LBB62_81
; %bb.80:
	v_ashrrev_i32_e32 v2, 31, v1
	v_lshlrev_b64 v[0:1], 3, v[1:2]
	v_add_co_u32 v0, vcc_lo, s26, v0
	v_add_co_ci_u32_e64 v1, null, s27, v1, vcc_lo
	global_store_dwordx2 v[0:1], v[43:44], off
.LBB62_81:
	s_endpgm
	.section	.rodata,"a",@progbits
	.p2align	6, 0x0
	.amdhsa_kernel _ZL15flash_attn_tileILi112ELi112ELi8ELi1ELb0EEvPKcS1_S1_S1_S1_PKiPfP15HIP_vector_typeIfLj2EEffffjfiS5_IjLj3EEiiiiiiiiiiiliiliiiiil
		.amdhsa_group_segment_fixed_size 6464
		.amdhsa_private_segment_fixed_size 32
		.amdhsa_kernarg_size 464
		.amdhsa_user_sgpr_count 8
		.amdhsa_user_sgpr_private_segment_buffer 1
		.amdhsa_user_sgpr_dispatch_ptr 0
		.amdhsa_user_sgpr_queue_ptr 0
		.amdhsa_user_sgpr_kernarg_segment_ptr 1
		.amdhsa_user_sgpr_dispatch_id 0
		.amdhsa_user_sgpr_flat_scratch_init 1
		.amdhsa_user_sgpr_private_segment_size 0
		.amdhsa_wavefront_size32 1
		.amdhsa_uses_dynamic_stack 0
		.amdhsa_system_sgpr_private_segment_wavefront_offset 1
		.amdhsa_system_sgpr_workgroup_id_x 1
		.amdhsa_system_sgpr_workgroup_id_y 1
		.amdhsa_system_sgpr_workgroup_id_z 1
		.amdhsa_system_sgpr_workgroup_info 0
		.amdhsa_system_vgpr_workitem_id 1
		.amdhsa_next_free_vgpr 91
		.amdhsa_next_free_sgpr 52
		.amdhsa_reserve_vcc 1
		.amdhsa_reserve_flat_scratch 1
		.amdhsa_float_round_mode_32 0
		.amdhsa_float_round_mode_16_64 0
		.amdhsa_float_denorm_mode_32 3
		.amdhsa_float_denorm_mode_16_64 3
		.amdhsa_dx10_clamp 1
		.amdhsa_ieee_mode 1
		.amdhsa_fp16_overflow 0
		.amdhsa_workgroup_processor_mode 1
		.amdhsa_memory_ordered 1
		.amdhsa_forward_progress 1
		.amdhsa_shared_vgpr_count 0
		.amdhsa_exception_fp_ieee_invalid_op 0
		.amdhsa_exception_fp_denorm_src 0
		.amdhsa_exception_fp_ieee_div_zero 0
		.amdhsa_exception_fp_ieee_overflow 0
		.amdhsa_exception_fp_ieee_underflow 0
		.amdhsa_exception_fp_ieee_inexact 0
		.amdhsa_exception_int_div_zero 0
	.end_amdhsa_kernel
	.section	.text._ZL15flash_attn_tileILi112ELi112ELi8ELi1ELb0EEvPKcS1_S1_S1_S1_PKiPfP15HIP_vector_typeIfLj2EEffffjfiS5_IjLj3EEiiiiiiiiiiiliiliiiiil,"axG",@progbits,_ZL15flash_attn_tileILi112ELi112ELi8ELi1ELb0EEvPKcS1_S1_S1_S1_PKiPfP15HIP_vector_typeIfLj2EEffffjfiS5_IjLj3EEiiiiiiiiiiiliiliiiiil,comdat
.Lfunc_end62:
	.size	_ZL15flash_attn_tileILi112ELi112ELi8ELi1ELb0EEvPKcS1_S1_S1_S1_PKiPfP15HIP_vector_typeIfLj2EEffffjfiS5_IjLj3EEiiiiiiiiiiiliiliiiiil, .Lfunc_end62-_ZL15flash_attn_tileILi112ELi112ELi8ELi1ELb0EEvPKcS1_S1_S1_S1_PKiPfP15HIP_vector_typeIfLj2EEffffjfiS5_IjLj3EEiiiiiiiiiiiliiliiiiil
                                        ; -- End function
	.set _ZL15flash_attn_tileILi112ELi112ELi8ELi1ELb0EEvPKcS1_S1_S1_S1_PKiPfP15HIP_vector_typeIfLj2EEffffjfiS5_IjLj3EEiiiiiiiiiiiliiliiiiil.num_vgpr, 91
	.set _ZL15flash_attn_tileILi112ELi112ELi8ELi1ELb0EEvPKcS1_S1_S1_S1_PKiPfP15HIP_vector_typeIfLj2EEffffjfiS5_IjLj3EEiiiiiiiiiiiliiliiiiil.num_agpr, 0
	.set _ZL15flash_attn_tileILi112ELi112ELi8ELi1ELb0EEvPKcS1_S1_S1_S1_PKiPfP15HIP_vector_typeIfLj2EEffffjfiS5_IjLj3EEiiiiiiiiiiiliiliiiiil.numbered_sgpr, 52
	.set _ZL15flash_attn_tileILi112ELi112ELi8ELi1ELb0EEvPKcS1_S1_S1_S1_PKiPfP15HIP_vector_typeIfLj2EEffffjfiS5_IjLj3EEiiiiiiiiiiiliiliiiiil.num_named_barrier, 0
	.set _ZL15flash_attn_tileILi112ELi112ELi8ELi1ELb0EEvPKcS1_S1_S1_S1_PKiPfP15HIP_vector_typeIfLj2EEffffjfiS5_IjLj3EEiiiiiiiiiiiliiliiiiil.private_seg_size, 32
	.set _ZL15flash_attn_tileILi112ELi112ELi8ELi1ELb0EEvPKcS1_S1_S1_S1_PKiPfP15HIP_vector_typeIfLj2EEffffjfiS5_IjLj3EEiiiiiiiiiiiliiliiiiil.uses_vcc, 1
	.set _ZL15flash_attn_tileILi112ELi112ELi8ELi1ELb0EEvPKcS1_S1_S1_S1_PKiPfP15HIP_vector_typeIfLj2EEffffjfiS5_IjLj3EEiiiiiiiiiiiliiliiiiil.uses_flat_scratch, 1
	.set _ZL15flash_attn_tileILi112ELi112ELi8ELi1ELb0EEvPKcS1_S1_S1_S1_PKiPfP15HIP_vector_typeIfLj2EEffffjfiS5_IjLj3EEiiiiiiiiiiiliiliiiiil.has_dyn_sized_stack, 0
	.set _ZL15flash_attn_tileILi112ELi112ELi8ELi1ELb0EEvPKcS1_S1_S1_S1_PKiPfP15HIP_vector_typeIfLj2EEffffjfiS5_IjLj3EEiiiiiiiiiiiliiliiiiil.has_recursion, 0
	.set _ZL15flash_attn_tileILi112ELi112ELi8ELi1ELb0EEvPKcS1_S1_S1_S1_PKiPfP15HIP_vector_typeIfLj2EEffffjfiS5_IjLj3EEiiiiiiiiiiiliiliiiiil.has_indirect_call, 0
	.section	.AMDGPU.csdata,"",@progbits
; Kernel info:
; codeLenInByte = 12360
; TotalNumSgprs: 54
; NumVgprs: 91
; ScratchSize: 32
; MemoryBound: 0
; FloatMode: 240
; IeeeMode: 1
; LDSByteSize: 6464 bytes/workgroup (compile time only)
; SGPRBlocks: 0
; VGPRBlocks: 11
; NumSGPRsForWavesPerEU: 54
; NumVGPRsForWavesPerEU: 91
; Occupancy: 10
; WaveLimiterHint : 1
; COMPUTE_PGM_RSRC2:SCRATCH_EN: 1
; COMPUTE_PGM_RSRC2:USER_SGPR: 8
; COMPUTE_PGM_RSRC2:TRAP_HANDLER: 0
; COMPUTE_PGM_RSRC2:TGID_X_EN: 1
; COMPUTE_PGM_RSRC2:TGID_Y_EN: 1
; COMPUTE_PGM_RSRC2:TGID_Z_EN: 1
; COMPUTE_PGM_RSRC2:TIDIG_COMP_CNT: 1
	.section	.text._ZL33flash_attn_stream_k_fixup_uniformILi112ELi8ELi1EEvPfPK15HIP_vector_typeIfLj2EEiiiiiiS1_IjLj3EES5_S5_,"axG",@progbits,_ZL33flash_attn_stream_k_fixup_uniformILi112ELi8ELi1EEvPfPK15HIP_vector_typeIfLj2EEiiiiiiS1_IjLj3EES5_S5_,comdat
	.globl	_ZL33flash_attn_stream_k_fixup_uniformILi112ELi8ELi1EEvPfPK15HIP_vector_typeIfLj2EEiiiiiiS1_IjLj3EES5_S5_ ; -- Begin function _ZL33flash_attn_stream_k_fixup_uniformILi112ELi8ELi1EEvPfPK15HIP_vector_typeIfLj2EEiiiiiiS1_IjLj3EES5_S5_
	.p2align	8
	.type	_ZL33flash_attn_stream_k_fixup_uniformILi112ELi8ELi1EEvPfPK15HIP_vector_typeIfLj2EEiiiiiiS1_IjLj3EES5_S5_,@function
_ZL33flash_attn_stream_k_fixup_uniformILi112ELi8ELi1EEvPfPK15HIP_vector_typeIfLj2EEiiiiiiS1_IjLj3EES5_S5_: ; @_ZL33flash_attn_stream_k_fixup_uniformILi112ELi8ELi1EEvPfPK15HIP_vector_typeIfLj2EEiiiiiiS1_IjLj3EES5_S5_
; %bb.0:
	s_clause 0x2
	s_load_dwordx8 s[12:19], s[4:5], 0x1c
	s_load_dwordx4 s[20:23], s[4:5], 0x3c
	s_load_dwordx2 s[10:11], s[4:5], 0x10
	s_waitcnt lgkmcnt(0)
	s_mul_hi_u32 s0, s15, s6
	s_add_i32 s0, s6, s0
	s_lshr_b32 s0, s0, s16
	s_mul_i32 s1, s0, s17
	s_sub_i32 s1, s6, s1
	s_mul_hi_u32 s2, s1, s18
	s_add_i32 s2, s1, s2
	s_lshr_b32 s9, s2, s19
	s_mul_i32 s2, s9, s20
	s_sub_i32 s1, s1, s2
	;; [unrolled: 5-line block ×3, first 2 shown]
	s_lshl_b32 s1, s15, 3
	s_add_i32 s1, s1, s7
	s_cmp_lt_i32 s1, s10
	s_cselect_b32 s1, -1, 0
	s_add_i32 s16, s16, s8
	s_cmp_lt_i32 s16, s13
	s_cselect_b32 s2, -1, 0
	s_and_b32 s1, s1, s2
	s_andn2_b32 vcc_lo, exec_lo, s1
	s_cbranch_vccnz .LBB63_6
; %bb.1:
	s_mul_i32 s10, s0, s10
	s_load_dwordx4 s[0:3], s[4:5], 0x0
	s_add_i32 s4, s10, s7
	s_mul_i32 s9, s9, s13
	s_mul_i32 s4, s4, s11
	s_add_i32 s5, s16, s9
	s_mul_i32 s9, s11, s15
	s_add_i32 s4, s5, s4
	s_mulk_i32 s9, 0x380
	s_mulk_i32 s4, 0x70
	s_add_i32 s8, s7, s8
	v_add3_u32 v1, s4, s9, v0
	s_mul_i32 s4, s14, s6
	s_add_i32 s9, s4, s14
	v_ashrrev_i32_e32 v2, 31, v1
	v_lshlrev_b64 v[1:2], 2, v[1:2]
	s_waitcnt lgkmcnt(0)
	v_add_co_u32 v1, vcc_lo, s0, v1
	v_add_co_ci_u32_e64 v2, null, s1, v2, vcc_lo
	s_lshl_b32 s0, s9, 3
	s_add_i32 s0, s8, s0
	global_load_dword v5, v[1:2], off
	s_add_i32 s0, s0, -8
	s_ashr_i32 s1, s0, 31
	s_lshl_b64 s[0:1], s[0:1], 3
	s_add_u32 s0, s2, s0
	s_addc_u32 s1, s3, s1
	s_add_i32 s5, s9, -2
	s_load_dword s10, s[0:1], 0x4
	s_cmp_lt_i32 s5, s4
	s_cbranch_scc1 .LBB63_4
; %bb.2:
	s_load_dword s11, s[0:1], 0x0
	s_lshl_b32 s0, s12, 5
	s_waitcnt lgkmcnt(0)
	v_mov_b32_e32 v6, s10
	s_ashr_i32 s1, s0, 31
	s_lshl_b64 s[0:1], s[0:1], 2
	s_add_u32 s5, s2, s0
	s_addc_u32 s7, s3, s1
	s_add_i32 s6, s6, 1
	s_mul_i32 s1, s8, 0x70
	s_mul_i32 s0, s14, s6
	s_lshl_b32 s6, s0, 3
	s_mulk_i32 s0, 0x380
	s_add_i32 s6, s8, s6
	s_add_i32 s1, s1, s0
	s_lshl_b32 s0, s12, 3
	v_add3_u32 v3, s1, v0, 0xfffff900
	s_add_i32 s0, s6, s0
	v_mov_b32_e32 v0, s11
	s_add_i32 s6, s9, -1
	s_add_i32 s0, s0, -16
.LBB63_3:                               ; =>This Inner Loop Header: Depth=1
	v_ashrrev_i32_e32 v4, 31, v3
	s_ashr_i32 s1, s0, 31
	s_lshl_b64 s[8:9], s[0:1], 3
	s_add_u32 s8, s2, s8
	v_lshlrev_b64 v[7:8], 2, v[3:4]
	s_addc_u32 s9, s3, s9
	v_add_nc_u32_e32 v3, 0xfffffc80, v3
	s_add_i32 s6, s6, -1
	s_add_i32 s0, s0, -8
	s_cmp_le_i32 s6, s4
	v_add_co_u32 v7, vcc_lo, s5, v7
	v_add_co_ci_u32_e64 v8, null, s7, v8, vcc_lo
	s_load_dwordx2 s[8:9], s[8:9], 0x0
	global_load_dword v4, v[7:8], off
	v_max_f32_e32 v7, v0, v0
	s_waitcnt lgkmcnt(0)
	v_max_f32_e64 v8, s8, s8
	v_max_f32_e32 v7, v7, v8
	v_sub_f32_e32 v8, s8, v7
	v_sub_f32_e32 v0, v0, v7
	v_mul_f32_e32 v9, 0x3fb8aa3b, v8
	v_mul_f32_e32 v12, 0x3fb8aa3b, v0
	v_cmp_ngt_f32_e32 vcc_lo, 0xc2ce8ed0, v8
	v_fma_f32 v10, 0x3fb8aa3b, v8, -v9
	v_rndne_f32_e32 v11, v9
	v_fma_f32 v13, 0x3fb8aa3b, v0, -v12
	v_rndne_f32_e32 v14, v12
	v_fmac_f32_e32 v10, 0x32a5705f, v8
	v_sub_f32_e32 v9, v9, v11
	v_fmac_f32_e32 v13, 0x32a5705f, v0
	v_cvt_i32_f32_e32 v11, v11
	v_add_f32_e32 v9, v9, v10
	v_sub_f32_e32 v10, v12, v14
	v_exp_f32_e32 v9, v9
	v_add_f32_e32 v10, v10, v13
	v_exp_f32_e32 v10, v10
	v_ldexp_f32 v9, v9, v11
	v_cvt_i32_f32_e32 v11, v14
	v_cndmask_b32_e32 v9, 0, v9, vcc_lo
	v_cmp_nlt_f32_e32 vcc_lo, 0x42b17218, v8
	v_ldexp_f32 v10, v10, v11
	v_mov_b32_e32 v11, v6
	v_cndmask_b32_e32 v9, 0x7f800000, v9, vcc_lo
	v_cmp_ngt_f32_e32 vcc_lo, 0xc2ce8ed0, v0
	v_cndmask_b32_e32 v10, 0, v10, vcc_lo
	v_cmp_le_f32_e32 vcc_lo, 0xc1a00000, v8
	v_cndmask_b32_e32 v8, 0, v9, vcc_lo
	v_cmp_nlt_f32_e32 vcc_lo, 0x42b17218, v0
	s_waitcnt vmcnt(1)
	v_mov_b32_e32 v9, v5
	v_cndmask_b32_e32 v5, 0x7f800000, v10, vcc_lo
	v_mul_f32_e32 v10, s9, v8
	v_cmp_le_f32_e32 vcc_lo, 0xc1a00000, v0
	v_mov_b32_e32 v0, v7
	v_mov_b32_e32 v6, v10
	v_cndmask_b32_e32 v12, 0, v5, vcc_lo
	v_fmac_f32_e32 v6, v11, v12
	s_waitcnt vmcnt(0)
	v_mul_f32_e32 v5, v4, v8
	v_fmac_f32_e32 v5, v9, v12
	s_cbranch_scc0 .LBB63_3
	s_branch .LBB63_5
.LBB63_4:
	s_waitcnt lgkmcnt(0)
	v_mov_b32_e32 v6, s10
.LBB63_5:
	s_waitcnt vmcnt(0)
	v_div_scale_f32 v0, null, v6, v6, v5
	v_rcp_f32_e32 v3, v0
	v_fma_f32 v4, -v0, v3, 1.0
	v_fmac_f32_e32 v3, v4, v3
	v_div_scale_f32 v4, vcc_lo, v5, v6, v5
	v_mul_f32_e32 v7, v4, v3
	v_fma_f32 v8, -v0, v7, v4
	v_fmac_f32_e32 v7, v8, v3
	v_fma_f32 v0, -v0, v7, v4
	v_div_fmas_f32 v0, v0, v3, v7
	v_div_fixup_f32 v0, v0, v6, v5
	global_store_dword v[1:2], v0, off
.LBB63_6:
	s_endpgm
	.section	.rodata,"a",@progbits
	.p2align	6, 0x0
	.amdhsa_kernel _ZL33flash_attn_stream_k_fixup_uniformILi112ELi8ELi1EEvPfPK15HIP_vector_typeIfLj2EEiiiiiiS1_IjLj3EES5_S5_
		.amdhsa_group_segment_fixed_size 0
		.amdhsa_private_segment_fixed_size 0
		.amdhsa_kernarg_size 76
		.amdhsa_user_sgpr_count 6
		.amdhsa_user_sgpr_private_segment_buffer 1
		.amdhsa_user_sgpr_dispatch_ptr 0
		.amdhsa_user_sgpr_queue_ptr 0
		.amdhsa_user_sgpr_kernarg_segment_ptr 1
		.amdhsa_user_sgpr_dispatch_id 0
		.amdhsa_user_sgpr_flat_scratch_init 0
		.amdhsa_user_sgpr_private_segment_size 0
		.amdhsa_wavefront_size32 1
		.amdhsa_uses_dynamic_stack 0
		.amdhsa_system_sgpr_private_segment_wavefront_offset 0
		.amdhsa_system_sgpr_workgroup_id_x 1
		.amdhsa_system_sgpr_workgroup_id_y 1
		.amdhsa_system_sgpr_workgroup_id_z 1
		.amdhsa_system_sgpr_workgroup_info 0
		.amdhsa_system_vgpr_workitem_id 0
		.amdhsa_next_free_vgpr 15
		.amdhsa_next_free_sgpr 24
		.amdhsa_reserve_vcc 1
		.amdhsa_reserve_flat_scratch 0
		.amdhsa_float_round_mode_32 0
		.amdhsa_float_round_mode_16_64 0
		.amdhsa_float_denorm_mode_32 3
		.amdhsa_float_denorm_mode_16_64 3
		.amdhsa_dx10_clamp 1
		.amdhsa_ieee_mode 1
		.amdhsa_fp16_overflow 0
		.amdhsa_workgroup_processor_mode 1
		.amdhsa_memory_ordered 1
		.amdhsa_forward_progress 1
		.amdhsa_shared_vgpr_count 0
		.amdhsa_exception_fp_ieee_invalid_op 0
		.amdhsa_exception_fp_denorm_src 0
		.amdhsa_exception_fp_ieee_div_zero 0
		.amdhsa_exception_fp_ieee_overflow 0
		.amdhsa_exception_fp_ieee_underflow 0
		.amdhsa_exception_fp_ieee_inexact 0
		.amdhsa_exception_int_div_zero 0
	.end_amdhsa_kernel
	.section	.text._ZL33flash_attn_stream_k_fixup_uniformILi112ELi8ELi1EEvPfPK15HIP_vector_typeIfLj2EEiiiiiiS1_IjLj3EES5_S5_,"axG",@progbits,_ZL33flash_attn_stream_k_fixup_uniformILi112ELi8ELi1EEvPfPK15HIP_vector_typeIfLj2EEiiiiiiS1_IjLj3EES5_S5_,comdat
.Lfunc_end63:
	.size	_ZL33flash_attn_stream_k_fixup_uniformILi112ELi8ELi1EEvPfPK15HIP_vector_typeIfLj2EEiiiiiiS1_IjLj3EES5_S5_, .Lfunc_end63-_ZL33flash_attn_stream_k_fixup_uniformILi112ELi8ELi1EEvPfPK15HIP_vector_typeIfLj2EEiiiiiiS1_IjLj3EES5_S5_
                                        ; -- End function
	.set _ZL33flash_attn_stream_k_fixup_uniformILi112ELi8ELi1EEvPfPK15HIP_vector_typeIfLj2EEiiiiiiS1_IjLj3EES5_S5_.num_vgpr, 15
	.set _ZL33flash_attn_stream_k_fixup_uniformILi112ELi8ELi1EEvPfPK15HIP_vector_typeIfLj2EEiiiiiiS1_IjLj3EES5_S5_.num_agpr, 0
	.set _ZL33flash_attn_stream_k_fixup_uniformILi112ELi8ELi1EEvPfPK15HIP_vector_typeIfLj2EEiiiiiiS1_IjLj3EES5_S5_.numbered_sgpr, 24
	.set _ZL33flash_attn_stream_k_fixup_uniformILi112ELi8ELi1EEvPfPK15HIP_vector_typeIfLj2EEiiiiiiS1_IjLj3EES5_S5_.num_named_barrier, 0
	.set _ZL33flash_attn_stream_k_fixup_uniformILi112ELi8ELi1EEvPfPK15HIP_vector_typeIfLj2EEiiiiiiS1_IjLj3EES5_S5_.private_seg_size, 0
	.set _ZL33flash_attn_stream_k_fixup_uniformILi112ELi8ELi1EEvPfPK15HIP_vector_typeIfLj2EEiiiiiiS1_IjLj3EES5_S5_.uses_vcc, 1
	.set _ZL33flash_attn_stream_k_fixup_uniformILi112ELi8ELi1EEvPfPK15HIP_vector_typeIfLj2EEiiiiiiS1_IjLj3EES5_S5_.uses_flat_scratch, 0
	.set _ZL33flash_attn_stream_k_fixup_uniformILi112ELi8ELi1EEvPfPK15HIP_vector_typeIfLj2EEiiiiiiS1_IjLj3EES5_S5_.has_dyn_sized_stack, 0
	.set _ZL33flash_attn_stream_k_fixup_uniformILi112ELi8ELi1EEvPfPK15HIP_vector_typeIfLj2EEiiiiiiS1_IjLj3EES5_S5_.has_recursion, 0
	.set _ZL33flash_attn_stream_k_fixup_uniformILi112ELi8ELi1EEvPfPK15HIP_vector_typeIfLj2EEiiiiiiS1_IjLj3EES5_S5_.has_indirect_call, 0
	.section	.AMDGPU.csdata,"",@progbits
; Kernel info:
; codeLenInByte = 828
; TotalNumSgprs: 26
; NumVgprs: 15
; ScratchSize: 0
; MemoryBound: 0
; FloatMode: 240
; IeeeMode: 1
; LDSByteSize: 0 bytes/workgroup (compile time only)
; SGPRBlocks: 0
; VGPRBlocks: 1
; NumSGPRsForWavesPerEU: 26
; NumVGPRsForWavesPerEU: 15
; Occupancy: 16
; WaveLimiterHint : 0
; COMPUTE_PGM_RSRC2:SCRATCH_EN: 0
; COMPUTE_PGM_RSRC2:USER_SGPR: 6
; COMPUTE_PGM_RSRC2:TRAP_HANDLER: 0
; COMPUTE_PGM_RSRC2:TGID_X_EN: 1
; COMPUTE_PGM_RSRC2:TGID_Y_EN: 1
; COMPUTE_PGM_RSRC2:TGID_Z_EN: 1
; COMPUTE_PGM_RSRC2:TIDIG_COMP_CNT: 0
	.section	.text._ZL33flash_attn_stream_k_fixup_generalILi112ELi8ELi1EEvPfPK15HIP_vector_typeIfLj2EEiiiiS1_IjLj3EES5_S5_S5_,"axG",@progbits,_ZL33flash_attn_stream_k_fixup_generalILi112ELi8ELi1EEvPfPK15HIP_vector_typeIfLj2EEiiiiS1_IjLj3EES5_S5_S5_,comdat
	.globl	_ZL33flash_attn_stream_k_fixup_generalILi112ELi8ELi1EEvPfPK15HIP_vector_typeIfLj2EEiiiiS1_IjLj3EES5_S5_S5_ ; -- Begin function _ZL33flash_attn_stream_k_fixup_generalILi112ELi8ELi1EEvPfPK15HIP_vector_typeIfLj2EEiiiiS1_IjLj3EES5_S5_S5_
	.p2align	8
	.type	_ZL33flash_attn_stream_k_fixup_generalILi112ELi8ELi1EEvPfPK15HIP_vector_typeIfLj2EEiiiiS1_IjLj3EES5_S5_S5_,@function
_ZL33flash_attn_stream_k_fixup_generalILi112ELi8ELi1EEvPfPK15HIP_vector_typeIfLj2EEiiiiS1_IjLj3EES5_S5_S5_: ; @_ZL33flash_attn_stream_k_fixup_generalILi112ELi8ELi1EEvPfPK15HIP_vector_typeIfLj2EEiiiiS1_IjLj3EES5_S5_S5_
; %bb.0:
	s_clause 0x1
	s_load_dwordx4 s[0:3], s[4:5], 0x10
	s_load_dword s9, s[4:5], 0x50
	s_mov_b32 s16, 0
	s_waitcnt lgkmcnt(0)
	s_mul_hi_i32 s17, s3, s6
	s_mul_i32 s18, s3, s6
	s_cmp_lg_u64 s[16:17], 0
	s_cbranch_scc0 .LBB64_21
; %bb.1:
	s_add_u32 s10, s9, 0
	s_addc_u32 s11, 0, 0
	s_xor_b64 s[10:11], s[10:11], 0
	v_cvt_f32_u32_e32 v1, s10
	v_cvt_f32_u32_e32 v2, s11
	s_sub_u32 s14, 0, s10
	s_subb_u32 s15, 0, s11
	v_fmamk_f32 v1, v2, 0x4f800000, v1
	v_rcp_f32_e32 v1, v1
	v_mul_f32_e32 v1, 0x5f7ffffc, v1
	v_mul_f32_e32 v2, 0x2f800000, v1
	v_trunc_f32_e32 v2, v2
	v_fmamk_f32 v1, v2, 0xcf800000, v1
	v_cvt_u32_f32_e32 v2, v2
	v_cvt_u32_f32_e32 v1, v1
	v_readfirstlane_b32 s12, v2
	v_readfirstlane_b32 s13, v1
	s_mul_i32 s19, s14, s12
	s_mul_hi_u32 s21, s14, s13
	s_mul_i32 s20, s15, s13
	s_add_i32 s19, s21, s19
	s_mul_i32 s22, s14, s13
	s_add_i32 s19, s19, s20
	s_mul_hi_u32 s21, s13, s22
	s_mul_i32 s24, s13, s19
	s_mul_hi_u32 s23, s12, s22
	s_mul_i32 s20, s12, s22
	s_mul_hi_u32 s22, s13, s19
	s_add_u32 s21, s21, s24
	s_addc_u32 s22, 0, s22
	s_mul_hi_u32 s25, s12, s19
	s_add_u32 s20, s21, s20
	s_mul_i32 s19, s12, s19
	s_addc_u32 s20, s22, s23
	s_addc_u32 s21, s25, 0
	s_add_u32 s19, s20, s19
	s_addc_u32 s20, 0, s21
	s_add_u32 s13, s13, s19
	s_cselect_b32 s19, -1, 0
	s_mul_hi_u32 s21, s14, s13
	s_cmp_lg_u32 s19, 0
	s_mul_i32 s19, s14, s13
	s_addc_u32 s12, s12, s20
	s_mul_i32 s15, s15, s13
	s_mul_i32 s14, s14, s12
	s_mul_hi_u32 s20, s13, s19
	s_add_i32 s14, s21, s14
	s_mul_hi_u32 s21, s12, s19
	s_add_i32 s14, s14, s15
	s_mul_i32 s15, s12, s19
	s_mul_i32 s23, s13, s14
	s_mul_hi_u32 s22, s13, s14
	s_add_u32 s20, s20, s23
	s_addc_u32 s22, 0, s22
	s_mul_hi_u32 s19, s12, s14
	s_add_u32 s15, s20, s15
	s_mul_i32 s14, s12, s14
	s_addc_u32 s15, s22, s21
	s_addc_u32 s19, s19, 0
	s_add_u32 s14, s15, s14
	s_addc_u32 s15, 0, s19
	s_add_u32 s19, s13, s14
	s_cselect_b32 s13, -1, 0
	s_cmp_lg_u32 s13, 0
	s_addc_u32 s20, s12, s15
	s_ashr_i32 s12, s17, 31
	s_add_u32 s14, s18, s12
	s_mov_b32 s13, s12
	s_addc_u32 s15, s17, s12
	s_xor_b64 s[14:15], s[14:15], s[12:13]
	s_mul_i32 s21, s14, s20
	s_mul_hi_u32 s22, s14, s19
	s_mul_hi_u32 s17, s14, s20
	;; [unrolled: 1-line block ×3, first 2 shown]
	s_mul_i32 s19, s15, s19
	s_add_u32 s21, s22, s21
	s_addc_u32 s17, 0, s17
	s_mul_hi_u32 s23, s15, s20
	s_add_u32 s19, s21, s19
	s_mul_i32 s20, s15, s20
	s_addc_u32 s17, s17, s24
	s_addc_u32 s19, s23, 0
	s_add_u32 s17, s17, s20
	s_addc_u32 s19, 0, s19
	s_mul_hi_u32 s20, s10, s17
	s_mul_i32 s21, s10, s19
	s_mul_i32 s22, s11, s17
	s_add_i32 s20, s20, s21
	s_mul_i32 s21, s10, s17
	s_add_i32 s20, s20, s22
	s_sub_i32 s22, s15, s20
	s_sub_u32 s14, s14, s21
	s_cselect_b32 s21, -1, 0
	s_cmp_lg_u32 s21, 0
	s_subb_u32 s22, s22, s11
	s_sub_u32 s23, s14, s10
	s_cselect_b32 s24, -1, 0
	s_cmp_lg_u32 s24, 0
	s_subb_u32 s22, s22, 0
	s_cmp_ge_u32 s22, s11
	s_cselect_b32 s24, -1, 0
	s_cmp_ge_u32 s23, s10
	s_cselect_b32 s23, -1, 0
	s_cmp_eq_u32 s22, s11
	s_cselect_b32 s22, s23, s24
	s_add_u32 s23, s17, 1
	s_addc_u32 s24, s19, 0
	s_add_u32 s25, s17, 2
	s_addc_u32 s26, s19, 0
	s_cmp_lg_u32 s22, 0
	s_cselect_b32 s22, s25, s23
	s_cselect_b32 s23, s26, s24
	s_cmp_lg_u32 s21, 0
	s_subb_u32 s15, s15, s20
	s_cmp_ge_u32 s15, s11
	s_cselect_b32 s20, -1, 0
	s_cmp_ge_u32 s14, s10
	s_cselect_b32 s10, -1, 0
	s_cmp_eq_u32 s15, s11
	s_cselect_b32 s10, s10, s20
	s_cmp_lg_u32 s10, 0
	s_cselect_b32 s11, s23, s19
	s_cselect_b32 s10, s22, s17
	s_xor_b64 s[12:13], s[12:13], 0
	s_xor_b64 s[10:11], s[10:11], s[12:13]
	s_sub_u32 s10, s10, s12
	s_load_dwordx4 s[12:15], s[4:5], 0x44
	s_andn2_b32 vcc_lo, exec_lo, s16
	s_cbranch_vccnz .LBB64_3
.LBB64_2:
	v_cvt_f32_u32_e32 v1, s9
	s_sub_i32 s11, 0, s9
	v_rcp_iflag_f32_e32 v1, v1
	v_mul_f32_e32 v1, 0x4f7ffffe, v1
	v_cvt_u32_f32_e32 v1, v1
	v_readfirstlane_b32 s10, v1
	s_mul_i32 s11, s11, s10
	s_mul_hi_u32 s11, s10, s11
	s_add_i32 s10, s10, s11
	s_mul_hi_u32 s10, s18, s10
	s_mul_i32 s11, s10, s9
	s_waitcnt lgkmcnt(0)
	s_add_i32 s15, s10, 1
	s_sub_i32 s11, s18, s11
	s_sub_i32 s16, s11, s9
	s_cmp_ge_u32 s11, s9
	s_cselect_b32 s10, s15, s10
	s_cselect_b32 s11, s16, s11
	s_add_i32 s15, s10, 1
	s_cmp_ge_u32 s11, s9
	s_cselect_b32 s10, s15, s10
.LBB64_3:
	s_add_i32 s11, s6, 1
	s_mov_b32 s16, 0
	s_mul_hi_i32 s17, s3, s11
	s_mul_i32 s11, s3, s11
	s_cmp_lg_u64 s[16:17], 0
	s_cbranch_scc0 .LBB64_22
; %bb.4:
	s_add_u32 s18, s9, 0
	s_addc_u32 s19, 0, 0
	s_xor_b64 s[18:19], s[18:19], 0
	v_cvt_f32_u32_e32 v1, s18
	v_cvt_f32_u32_e32 v2, s19
	s_sub_u32 s21, 0, s18
	s_subb_u32 s22, 0, s19
	v_fmamk_f32 v1, v2, 0x4f800000, v1
	v_rcp_f32_e32 v1, v1
	v_mul_f32_e32 v1, 0x5f7ffffc, v1
	v_mul_f32_e32 v2, 0x2f800000, v1
	v_trunc_f32_e32 v2, v2
	v_fmamk_f32 v1, v2, 0xcf800000, v1
	v_cvt_u32_f32_e32 v2, v2
	v_cvt_u32_f32_e32 v1, v1
	s_waitcnt lgkmcnt(0)
	v_readfirstlane_b32 s15, v2
	v_readfirstlane_b32 s20, v1
	s_mul_i32 s23, s21, s15
	s_mul_hi_u32 s25, s21, s20
	s_mul_i32 s24, s22, s20
	s_add_i32 s23, s25, s23
	s_mul_i32 s26, s21, s20
	s_add_i32 s23, s23, s24
	s_mul_hi_u32 s25, s20, s26
	s_mul_i32 s28, s20, s23
	s_mul_hi_u32 s27, s15, s26
	s_mul_i32 s24, s15, s26
	s_mul_hi_u32 s26, s20, s23
	s_add_u32 s25, s25, s28
	s_addc_u32 s26, 0, s26
	s_mul_hi_u32 s29, s15, s23
	s_add_u32 s24, s25, s24
	s_mul_i32 s23, s15, s23
	s_addc_u32 s24, s26, s27
	s_addc_u32 s25, s29, 0
	s_add_u32 s23, s24, s23
	s_addc_u32 s24, 0, s25
	s_add_u32 s20, s20, s23
	s_cselect_b32 s23, -1, 0
	s_mul_hi_u32 s25, s21, s20
	s_cmp_lg_u32 s23, 0
	s_mul_i32 s23, s21, s20
	s_addc_u32 s15, s15, s24
	s_mul_i32 s22, s22, s20
	s_mul_i32 s21, s21, s15
	s_mul_hi_u32 s24, s20, s23
	s_add_i32 s21, s25, s21
	s_mul_hi_u32 s25, s15, s23
	s_add_i32 s21, s21, s22
	s_mul_i32 s22, s15, s23
	s_mul_i32 s27, s20, s21
	s_mul_hi_u32 s26, s20, s21
	s_add_u32 s24, s24, s27
	s_addc_u32 s26, 0, s26
	s_mul_hi_u32 s23, s15, s21
	s_add_u32 s22, s24, s22
	s_mul_i32 s21, s15, s21
	s_addc_u32 s22, s26, s25
	s_addc_u32 s23, s23, 0
	s_add_u32 s21, s22, s21
	s_addc_u32 s22, 0, s23
	s_add_u32 s24, s20, s21
	s_cselect_b32 s20, -1, 0
	s_cmp_lg_u32 s20, 0
	s_addc_u32 s15, s15, s22
	s_ashr_i32 s20, s17, 31
	s_add_u32 s22, s11, s20
	s_mov_b32 s21, s20
	s_addc_u32 s23, s17, s20
	s_xor_b64 s[22:23], s[22:23], s[20:21]
	s_mul_i32 s25, s22, s15
	s_mul_hi_u32 s26, s22, s24
	s_mul_hi_u32 s17, s22, s15
	;; [unrolled: 1-line block ×3, first 2 shown]
	s_mul_i32 s24, s23, s24
	s_add_u32 s25, s26, s25
	s_addc_u32 s17, 0, s17
	s_mul_hi_u32 s27, s23, s15
	s_add_u32 s24, s25, s24
	s_mul_i32 s15, s23, s15
	s_addc_u32 s17, s17, s28
	s_addc_u32 s24, s27, 0
	s_add_u32 s15, s17, s15
	s_addc_u32 s17, 0, s24
	s_mul_hi_u32 s24, s18, s15
	s_mul_i32 s25, s18, s17
	s_mul_i32 s26, s19, s15
	s_add_i32 s24, s24, s25
	s_mul_i32 s25, s18, s15
	s_add_i32 s24, s24, s26
	s_sub_i32 s26, s23, s24
	s_sub_u32 s22, s22, s25
	s_cselect_b32 s25, -1, 0
	s_cmp_lg_u32 s25, 0
	s_subb_u32 s26, s26, s19
	s_sub_u32 s27, s22, s18
	s_cselect_b32 s28, -1, 0
	s_cmp_lg_u32 s28, 0
	s_subb_u32 s26, s26, 0
	s_cmp_ge_u32 s26, s19
	s_cselect_b32 s28, -1, 0
	s_cmp_ge_u32 s27, s18
	s_cselect_b32 s27, -1, 0
	s_cmp_eq_u32 s26, s19
	s_cselect_b32 s26, s27, s28
	s_add_u32 s27, s15, 1
	s_addc_u32 s28, s17, 0
	s_add_u32 s29, s15, 2
	s_addc_u32 s30, s17, 0
	s_cmp_lg_u32 s26, 0
	s_cselect_b32 s26, s29, s27
	s_cselect_b32 s27, s30, s28
	s_cmp_lg_u32 s25, 0
	s_subb_u32 s23, s23, s24
	s_cmp_ge_u32 s23, s19
	s_cselect_b32 s24, -1, 0
	s_cmp_ge_u32 s22, s18
	s_cselect_b32 s18, -1, 0
	s_cmp_eq_u32 s23, s19
	s_cselect_b32 s18, s18, s24
	s_cmp_lg_u32 s18, 0
	s_cselect_b32 s19, s27, s17
	s_cselect_b32 s18, s26, s15
	s_xor_b64 s[20:21], s[20:21], 0
	s_xor_b64 s[18:19], s[18:19], s[20:21]
	s_sub_u32 s18, s18, s20
	s_andn2_b32 vcc_lo, exec_lo, s16
	s_cbranch_vccnz .LBB64_6
.LBB64_5:
	v_cvt_f32_u32_e32 v1, s9
	s_sub_i32 s16, 0, s9
	v_rcp_iflag_f32_e32 v1, v1
	v_mul_f32_e32 v1, 0x4f7ffffe, v1
	v_cvt_u32_f32_e32 v1, v1
	s_waitcnt lgkmcnt(0)
	v_readfirstlane_b32 s15, v1
	s_mul_i32 s16, s16, s15
	s_mul_hi_u32 s16, s15, s16
	s_add_i32 s15, s15, s16
	s_mul_hi_u32 s15, s11, s15
	s_mul_i32 s16, s15, s9
	s_sub_i32 s11, s11, s16
	s_add_i32 s16, s15, 1
	s_sub_i32 s17, s11, s9
	s_cmp_ge_u32 s11, s9
	s_cselect_b32 s15, s16, s15
	s_cselect_b32 s11, s17, s11
	s_add_i32 s16, s15, 1
	s_cmp_ge_u32 s11, s9
	s_cselect_b32 s18, s16, s15
.LBB64_6:
	s_cmp_eq_u32 s10, s18
	s_waitcnt lgkmcnt(0)
	s_mul_hi_u32 s11, s10, s12
	s_cselect_b32 s15, -1, 0
	s_add_i32 s11, s11, s10
	s_lshr_b32 s11, s11, s13
	s_mul_i32 s16, s11, s14
	s_cmp_eq_u32 s16, s10
	s_mul_hi_u32 s16, s18, s12
	s_cselect_b32 s17, -1, 0
	s_add_i32 s16, s16, s18
	s_lshr_b32 s16, s16, s13
	s_cmp_eq_u32 s11, s16
	s_mul_i32 s16, s16, s14
	s_cselect_b32 s19, -1, 0
	s_cmp_lg_u32 s16, s18
	s_cselect_b32 s16, -1, 0
	s_or_b32 s15, s15, s17
	s_and_b32 s16, s19, s16
	s_or_b32 s15, s15, s16
	s_and_b32 vcc_lo, exec_lo, s15
	s_cbranch_vccnz .LBB64_24
; %bb.7:
	s_clause 0x1
	s_load_dwordx8 s[20:27], s[4:5], 0x20
	s_load_dword s16, s[4:5], 0x40
	s_waitcnt lgkmcnt(0)
	s_mul_hi_u32 s15, s10, s20
	s_add_i32 s15, s15, s10
	s_lshr_b32 s15, s15, s21
	s_mul_i32 s17, s15, s22
	s_sub_i32 s17, s10, s17
	s_mul_hi_u32 s18, s17, s23
	s_add_i32 s18, s17, s18
	s_lshr_b32 s21, s18, s24
	s_mul_i32 s18, s21, s25
	s_sub_i32 s17, s17, s18
	;; [unrolled: 5-line block ×3, first 2 shown]
	s_mul_hi_u32 s17, s16, s12
	s_add_i32 s16, s16, s17
	s_lshr_b32 s20, s16, s13
	s_lshl_b32 s16, s20, 3
	s_add_i32 s16, s16, s7
	s_cmp_lt_i32 s16, s0
	s_cselect_b32 s16, -1, 0
	s_add_i32 s22, s22, s8
	s_cmp_lt_i32 s22, s2
	s_cselect_b32 s17, -1, 0
	s_and_b32 s16, s16, s17
	s_andn2_b32 vcc_lo, exec_lo, s16
	s_cbranch_vccnz .LBB64_24
; %bb.8:
	s_load_dwordx4 s[16:19], s[4:5], 0x0
	s_mov_b32 s4, 0
	s_lshl_b32 s24, s9, 5
	s_mov_b32 s25, s4
	s_add_i32 s8, s7, s8
	s_lshl_b64 s[24:25], s[24:25], 2
	s_mul_i32 s0, s15, s0
	s_mul_i32 s21, s21, s2
	v_cvt_f32_u32_e32 v3, s9
	v_rcp_iflag_f32_e32 v3, v3
	s_waitcnt lgkmcnt(0)
	s_add_u32 s2, s18, s24
	s_addc_u32 s15, s19, s25
	s_add_i32 s0, s0, s7
	s_add_i32 s5, s22, s21
	s_mul_i32 s0, s0, s1
	s_mul_i32 s1, s1, s20
	s_add_i32 s0, s5, s0
	s_mulk_i32 s1, 0x380
	s_mulk_i32 s0, 0x70
	v_mul_f32_e32 v7, 0x4f7ffffe, v3
	v_add3_u32 v1, s1, s0, v0
	s_lshl_b32 s0, s6, 3
	s_add_i32 s0, s0, s8
	v_ashrrev_i32_e32 v2, 31, v1
	s_ashr_i32 s1, s0, 31
	s_lshl_b64 s[0:1], s[0:1], 3
	v_lshlrev_b64 v[1:2], 2, v[1:2]
	s_add_u32 s0, s18, s0
	s_addc_u32 s1, s19, s1
	s_load_dwordx2 s[0:1], s[0:1], 0x0
	v_add_co_u32 v1, vcc_lo, s16, v1
	v_add_co_ci_u32_e64 v2, null, s17, v2, vcc_lo
	s_add_i32 s17, s6, -1
	v_mad_u64_u32 v[3:4], null, 0x70, s8, v[0:1]
	global_load_dword v5, v[1:2], off
	v_cvt_u32_f32_e32 v0, v7
	s_sub_i32 s16, 0, s9
	s_waitcnt lgkmcnt(0)
	v_mov_b32_e32 v4, s1
	v_mov_b32_e32 v6, s0
.LBB64_9:                               ; =>This Inner Loop Header: Depth=1
	s_mul_hi_i32 s5, s17, s3
	s_mul_i32 s6, s17, s3
	s_cmp_lg_u64 s[4:5], 0
	s_mov_b32 s7, -1
                                        ; implicit-def: $sgpr0_sgpr1
	s_cbranch_scc0 .LBB64_11
; %bb.10:                               ;   in Loop: Header=BB64_9 Depth=1
	s_add_u32 s0, s9, 0
	s_addc_u32 s1, 0, 0
	s_xor_b64 s[0:1], s[0:1], 0
	v_cvt_f32_u32_e32 v7, s0
	v_cvt_f32_u32_e32 v8, s1
	s_sub_u32 s21, 0, s0
	s_subb_u32 s22, 0, s1
	v_fmac_f32_e32 v7, 0x4f800000, v8
	v_rcp_f32_e32 v7, v7
	v_mul_f32_e32 v7, 0x5f7ffffc, v7
	v_mul_f32_e32 v8, 0x2f800000, v7
	v_trunc_f32_e32 v8, v8
	v_fmac_f32_e32 v7, 0xcf800000, v8
	v_cvt_u32_f32_e32 v8, v8
	v_cvt_u32_f32_e32 v7, v7
	v_readfirstlane_b32 s7, v8
	v_readfirstlane_b32 s20, v7
	s_mul_i32 s23, s21, s7
	s_mul_hi_u32 s25, s21, s20
	s_mul_i32 s24, s22, s20
	s_add_i32 s23, s25, s23
	s_mul_i32 s26, s21, s20
	s_add_i32 s23, s23, s24
	s_mul_hi_u32 s25, s20, s26
	s_mul_i32 s28, s20, s23
	s_mul_hi_u32 s27, s7, s26
	s_mul_i32 s24, s7, s26
	s_mul_hi_u32 s26, s20, s23
	s_add_u32 s25, s25, s28
	s_addc_u32 s26, 0, s26
	s_mul_hi_u32 s29, s7, s23
	s_add_u32 s24, s25, s24
	s_mul_i32 s23, s7, s23
	s_addc_u32 s24, s26, s27
	s_addc_u32 s25, s29, 0
	s_add_u32 s23, s24, s23
	s_addc_u32 s24, 0, s25
	s_add_u32 s20, s20, s23
	s_cselect_b32 s23, -1, 0
	s_mul_hi_u32 s25, s21, s20
	s_cmp_lg_u32 s23, 0
	s_mul_i32 s23, s21, s20
	s_addc_u32 s7, s7, s24
	s_mul_i32 s22, s22, s20
	s_mul_i32 s21, s21, s7
	s_mul_hi_u32 s24, s20, s23
	s_add_i32 s21, s25, s21
	s_mul_hi_u32 s25, s7, s23
	s_add_i32 s21, s21, s22
	s_mul_i32 s22, s7, s23
	s_mul_i32 s27, s20, s21
	s_mul_hi_u32 s26, s20, s21
	s_add_u32 s24, s24, s27
	s_addc_u32 s26, 0, s26
	s_mul_hi_u32 s23, s7, s21
	s_add_u32 s22, s24, s22
	s_mul_i32 s21, s7, s21
	s_addc_u32 s22, s26, s25
	s_addc_u32 s23, s23, 0
	s_add_u32 s21, s22, s21
	s_addc_u32 s22, 0, s23
	s_add_u32 s24, s20, s21
	s_cselect_b32 s20, -1, 0
	s_cmp_lg_u32 s20, 0
	s_addc_u32 s7, s7, s22
	s_ashr_i32 s20, s5, 31
	s_add_u32 s22, s6, s20
	s_mov_b32 s21, s20
	s_addc_u32 s23, s5, s20
	s_xor_b64 s[22:23], s[22:23], s[20:21]
	s_mul_i32 s25, s22, s7
	s_mul_hi_u32 s26, s22, s24
	s_mul_hi_u32 s5, s22, s7
	;; [unrolled: 1-line block ×3, first 2 shown]
	s_mul_i32 s24, s23, s24
	s_add_u32 s25, s26, s25
	s_addc_u32 s5, 0, s5
	s_mul_hi_u32 s27, s23, s7
	s_add_u32 s24, s25, s24
	s_mul_i32 s7, s23, s7
	s_addc_u32 s5, s5, s28
	s_addc_u32 s24, s27, 0
	s_add_u32 s5, s5, s7
	s_addc_u32 s7, 0, s24
	s_mul_hi_u32 s24, s0, s5
	s_mul_i32 s25, s0, s7
	s_mul_i32 s26, s1, s5
	s_add_i32 s24, s24, s25
	s_mul_i32 s25, s0, s5
	s_add_i32 s24, s24, s26
	s_sub_i32 s26, s23, s24
	s_sub_u32 s22, s22, s25
	s_cselect_b32 s25, -1, 0
	s_cmp_lg_u32 s25, 0
	s_subb_u32 s26, s26, s1
	s_sub_u32 s27, s22, s0
	s_cselect_b32 s28, -1, 0
	s_cmp_lg_u32 s28, 0
	s_subb_u32 s26, s26, 0
	s_cmp_ge_u32 s26, s1
	s_cselect_b32 s28, -1, 0
	s_cmp_ge_u32 s27, s0
	s_cselect_b32 s27, -1, 0
	s_cmp_eq_u32 s26, s1
	s_cselect_b32 s26, s27, s28
	s_add_u32 s27, s5, 1
	s_addc_u32 s28, s7, 0
	s_add_u32 s29, s5, 2
	s_addc_u32 s30, s7, 0
	s_cmp_lg_u32 s26, 0
	s_cselect_b32 s26, s29, s27
	s_cselect_b32 s27, s30, s28
	s_cmp_lg_u32 s25, 0
	s_subb_u32 s23, s23, s24
	s_cmp_ge_u32 s23, s1
	s_cselect_b32 s24, -1, 0
	s_cmp_ge_u32 s22, s0
	s_cselect_b32 s0, -1, 0
	s_cmp_eq_u32 s23, s1
	s_cselect_b32 s0, s0, s24
	s_cmp_lg_u32 s0, 0
	s_cselect_b32 s1, s27, s7
	s_cselect_b32 s0, s26, s5
	s_xor_b64 s[20:21], s[20:21], 0
	s_mov_b32 s7, 0
	s_xor_b64 s[0:1], s[0:1], s[20:21]
	s_sub_u32 s0, s0, s20
.LBB64_11:                              ;   in Loop: Header=BB64_9 Depth=1
	s_andn2_b32 vcc_lo, exec_lo, s7
	s_cbranch_vccnz .LBB64_13
; %bb.12:                               ;   in Loop: Header=BB64_9 Depth=1
	v_readfirstlane_b32 s0, v0
	s_mul_i32 s1, s16, s0
	s_mul_hi_u32 s1, s0, s1
	s_add_i32 s0, s0, s1
	s_mul_hi_u32 s0, s6, s0
	s_mul_i32 s1, s0, s9
	s_add_i32 s5, s0, 1
	s_sub_i32 s1, s6, s1
	s_sub_i32 s6, s1, s9
	s_cmp_ge_u32 s1, s9
	s_cselect_b32 s0, s5, s0
	s_cselect_b32 s1, s6, s1
	s_add_i32 s5, s0, 1
	s_cmp_ge_u32 s1, s9
	s_cselect_b32 s0, s5, s0
.LBB64_13:                              ;   in Loop: Header=BB64_9 Depth=1
	s_cmp_lg_u32 s10, s0
	s_mov_b32 s6, -1
                                        ; implicit-def: $sgpr5
                                        ; implicit-def: $vgpr8
                                        ; implicit-def: $vgpr7
                                        ; implicit-def: $vgpr9
                                        ; implicit-def: $sgpr1
                                        ; implicit-def: $sgpr20
	s_cbranch_scc0 .LBB64_18
; %bb.14:                               ;   in Loop: Header=BB64_9 Depth=1
	s_add_i32 s1, s17, s9
	s_mov_b32 s7, s4
	s_lshl_b32 s1, s1, 3
	s_mov_b32 s20, s10
	s_add_i32 s6, s1, s8
	s_mul_hi_u32 s1, s0, s12
	s_lshl_b64 s[6:7], s[6:7], 3
	s_add_u32 s6, s18, s6
	s_addc_u32 s7, s19, s7
	s_add_i32 s1, s1, s0
	s_lshr_b32 s1, s1, s13
	s_mul_i32 s5, s1, s14
	s_cmp_eq_u32 s5, s0
	s_cselect_b32 s5, -1, 0
	s_cmp_lt_u32 s1, s11
	s_cselect_b32 s1, -1, 0
	s_or_b32 s1, s1, s5
	s_mov_b32 s5, -1
	s_and_b32 vcc_lo, exec_lo, s1
	s_mov_b32 s1, s17
	s_cbranch_vccnz .LBB64_16
; %bb.15:                               ;   in Loop: Header=BB64_9 Depth=1
	s_add_i32 s1, s17, -1
	s_mov_b32 s5, 0
	s_mov_b32 s20, s0
.LBB64_16:                              ;   in Loop: Header=BB64_9 Depth=1
	v_mad_u64_u32 v[7:8], null, 0x380, s17, v[3:4]
	s_load_dwordx2 s[6:7], s[6:7], 0x0
	v_ashrrev_i32_e32 v8, 31, v7
	v_lshlrev_b64 v[7:8], 2, v[7:8]
	v_add_co_u32 v7, vcc_lo, s2, v7
	v_add_co_ci_u32_e64 v8, null, s15, v8, vcc_lo
	s_waitcnt lgkmcnt(0)
	v_max_f32_e64 v9, s6, s6
	global_load_dword v8, v[7:8], off
	v_max_f32_e32 v7, v6, v6
	v_max_f32_e32 v7, v7, v9
	v_sub_f32_e32 v9, s6, v7
	v_sub_f32_e32 v10, v6, v7
	v_mul_f32_e32 v11, 0x3fb8aa3b, v9
	v_mul_f32_e32 v12, 0x3fb8aa3b, v10
	v_cmp_ngt_f32_e32 vcc_lo, 0xc2ce8ed0, v9
	v_fma_f32 v13, 0x3fb8aa3b, v9, -v11
	v_rndne_f32_e32 v14, v11
	v_fma_f32 v15, 0x3fb8aa3b, v10, -v12
	v_rndne_f32_e32 v16, v12
	v_fmac_f32_e32 v13, 0x32a5705f, v9
	v_sub_f32_e32 v11, v11, v14
	v_fmac_f32_e32 v15, 0x32a5705f, v10
	v_sub_f32_e32 v12, v12, v16
	v_add_f32_e32 v11, v11, v13
	v_cvt_i32_f32_e32 v13, v14
	v_add_f32_e32 v12, v12, v15
	v_cvt_i32_f32_e32 v14, v16
	v_exp_f32_e32 v11, v11
	v_exp_f32_e32 v12, v12
	v_ldexp_f32 v11, v11, v13
	v_ldexp_f32 v12, v12, v14
	v_cndmask_b32_e32 v11, 0, v11, vcc_lo
	v_cmp_ngt_f32_e32 vcc_lo, 0xc2ce8ed0, v10
	v_cndmask_b32_e32 v12, 0, v12, vcc_lo
	v_cmp_nlt_f32_e32 vcc_lo, 0x42b17218, v9
	v_cndmask_b32_e32 v11, 0x7f800000, v11, vcc_lo
	v_cmp_nlt_f32_e32 vcc_lo, 0x42b17218, v10
	v_cndmask_b32_e32 v12, 0x7f800000, v12, vcc_lo
	v_cmp_le_f32_e32 vcc_lo, 0xc1a00000, v9
	v_cndmask_b32_e32 v9, 0, v11, vcc_lo
	v_cmp_le_f32_e32 vcc_lo, 0xc1a00000, v10
	v_cndmask_b32_e32 v10, 0, v12, vcc_lo
	s_waitcnt vmcnt(0)
	v_mul_f32_e32 v8, v8, v9
	v_mul_f32_e32 v9, s7, v9
	v_fmac_f32_e32 v8, v5, v10
	v_fmac_f32_e32 v9, v4, v10
	s_cbranch_execz .LBB64_19
.LBB64_17:                              ;   in Loop: Header=BB64_9 Depth=1
	s_andn2_b32 vcc_lo, exec_lo, s5
	s_cbranch_vccnz .LBB64_20
	s_branch .LBB64_23
.LBB64_18:                              ;   in Loop: Header=BB64_9 Depth=1
	s_andn2_b32 vcc_lo, exec_lo, s6
	s_cbranch_vccnz .LBB64_17
.LBB64_19:                              ;   in Loop: Header=BB64_9 Depth=1
	v_mov_b32_e32 v9, v4
	v_mov_b32_e32 v7, v6
	s_waitcnt vmcnt(0)
	v_mov_b32_e32 v8, v5
	s_add_i32 s1, s17, -1
	s_mov_b32 s20, s10
	s_cbranch_execz .LBB64_23
.LBB64_20:                              ;   in Loop: Header=BB64_9 Depth=1
	v_mov_b32_e32 v4, v9
	v_mov_b32_e32 v6, v7
	s_waitcnt vmcnt(0)
	v_mov_b32_e32 v5, v8
	s_mov_b32 s10, s20
	s_mov_b32 s17, s1
	s_branch .LBB64_9
.LBB64_21:
                                        ; implicit-def: $sgpr10_sgpr11
	s_load_dwordx4 s[12:15], s[4:5], 0x44
	s_branch .LBB64_2
.LBB64_22:
                                        ; implicit-def: $sgpr18_sgpr19
	s_branch .LBB64_5
.LBB64_23:
	v_div_scale_f32 v0, null, v9, v9, v8
	v_rcp_f32_e32 v3, v0
	v_fma_f32 v4, -v0, v3, 1.0
	v_fmac_f32_e32 v3, v4, v3
	v_div_scale_f32 v4, vcc_lo, v8, v9, v8
	s_waitcnt vmcnt(0)
	v_mul_f32_e32 v5, v4, v3
	v_fma_f32 v6, -v0, v5, v4
	v_fmac_f32_e32 v5, v6, v3
	v_fma_f32 v0, -v0, v5, v4
	v_div_fmas_f32 v0, v0, v3, v5
	v_div_fixup_f32 v0, v0, v9, v8
	global_store_dword v[1:2], v0, off
.LBB64_24:
	s_endpgm
	.section	.rodata,"a",@progbits
	.p2align	6, 0x0
	.amdhsa_kernel _ZL33flash_attn_stream_k_fixup_generalILi112ELi8ELi1EEvPfPK15HIP_vector_typeIfLj2EEiiiiS1_IjLj3EES5_S5_S5_
		.amdhsa_group_segment_fixed_size 0
		.amdhsa_private_segment_fixed_size 0
		.amdhsa_kernarg_size 336
		.amdhsa_user_sgpr_count 6
		.amdhsa_user_sgpr_private_segment_buffer 1
		.amdhsa_user_sgpr_dispatch_ptr 0
		.amdhsa_user_sgpr_queue_ptr 0
		.amdhsa_user_sgpr_kernarg_segment_ptr 1
		.amdhsa_user_sgpr_dispatch_id 0
		.amdhsa_user_sgpr_flat_scratch_init 0
		.amdhsa_user_sgpr_private_segment_size 0
		.amdhsa_wavefront_size32 1
		.amdhsa_uses_dynamic_stack 0
		.amdhsa_system_sgpr_private_segment_wavefront_offset 0
		.amdhsa_system_sgpr_workgroup_id_x 1
		.amdhsa_system_sgpr_workgroup_id_y 1
		.amdhsa_system_sgpr_workgroup_id_z 1
		.amdhsa_system_sgpr_workgroup_info 0
		.amdhsa_system_vgpr_workitem_id 0
		.amdhsa_next_free_vgpr 17
		.amdhsa_next_free_sgpr 31
		.amdhsa_reserve_vcc 1
		.amdhsa_reserve_flat_scratch 0
		.amdhsa_float_round_mode_32 0
		.amdhsa_float_round_mode_16_64 0
		.amdhsa_float_denorm_mode_32 3
		.amdhsa_float_denorm_mode_16_64 3
		.amdhsa_dx10_clamp 1
		.amdhsa_ieee_mode 1
		.amdhsa_fp16_overflow 0
		.amdhsa_workgroup_processor_mode 1
		.amdhsa_memory_ordered 1
		.amdhsa_forward_progress 1
		.amdhsa_shared_vgpr_count 0
		.amdhsa_exception_fp_ieee_invalid_op 0
		.amdhsa_exception_fp_denorm_src 0
		.amdhsa_exception_fp_ieee_div_zero 0
		.amdhsa_exception_fp_ieee_overflow 0
		.amdhsa_exception_fp_ieee_underflow 0
		.amdhsa_exception_fp_ieee_inexact 0
		.amdhsa_exception_int_div_zero 0
	.end_amdhsa_kernel
	.section	.text._ZL33flash_attn_stream_k_fixup_generalILi112ELi8ELi1EEvPfPK15HIP_vector_typeIfLj2EEiiiiS1_IjLj3EES5_S5_S5_,"axG",@progbits,_ZL33flash_attn_stream_k_fixup_generalILi112ELi8ELi1EEvPfPK15HIP_vector_typeIfLj2EEiiiiS1_IjLj3EES5_S5_S5_,comdat
.Lfunc_end64:
	.size	_ZL33flash_attn_stream_k_fixup_generalILi112ELi8ELi1EEvPfPK15HIP_vector_typeIfLj2EEiiiiS1_IjLj3EES5_S5_S5_, .Lfunc_end64-_ZL33flash_attn_stream_k_fixup_generalILi112ELi8ELi1EEvPfPK15HIP_vector_typeIfLj2EEiiiiS1_IjLj3EES5_S5_S5_
                                        ; -- End function
	.set _ZL33flash_attn_stream_k_fixup_generalILi112ELi8ELi1EEvPfPK15HIP_vector_typeIfLj2EEiiiiS1_IjLj3EES5_S5_S5_.num_vgpr, 17
	.set _ZL33flash_attn_stream_k_fixup_generalILi112ELi8ELi1EEvPfPK15HIP_vector_typeIfLj2EEiiiiS1_IjLj3EES5_S5_S5_.num_agpr, 0
	.set _ZL33flash_attn_stream_k_fixup_generalILi112ELi8ELi1EEvPfPK15HIP_vector_typeIfLj2EEiiiiS1_IjLj3EES5_S5_S5_.numbered_sgpr, 31
	.set _ZL33flash_attn_stream_k_fixup_generalILi112ELi8ELi1EEvPfPK15HIP_vector_typeIfLj2EEiiiiS1_IjLj3EES5_S5_S5_.num_named_barrier, 0
	.set _ZL33flash_attn_stream_k_fixup_generalILi112ELi8ELi1EEvPfPK15HIP_vector_typeIfLj2EEiiiiS1_IjLj3EES5_S5_S5_.private_seg_size, 0
	.set _ZL33flash_attn_stream_k_fixup_generalILi112ELi8ELi1EEvPfPK15HIP_vector_typeIfLj2EEiiiiS1_IjLj3EES5_S5_S5_.uses_vcc, 1
	.set _ZL33flash_attn_stream_k_fixup_generalILi112ELi8ELi1EEvPfPK15HIP_vector_typeIfLj2EEiiiiS1_IjLj3EES5_S5_S5_.uses_flat_scratch, 0
	.set _ZL33flash_attn_stream_k_fixup_generalILi112ELi8ELi1EEvPfPK15HIP_vector_typeIfLj2EEiiiiS1_IjLj3EES5_S5_S5_.has_dyn_sized_stack, 0
	.set _ZL33flash_attn_stream_k_fixup_generalILi112ELi8ELi1EEvPfPK15HIP_vector_typeIfLj2EEiiiiS1_IjLj3EES5_S5_S5_.has_recursion, 0
	.set _ZL33flash_attn_stream_k_fixup_generalILi112ELi8ELi1EEvPfPK15HIP_vector_typeIfLj2EEiiiiS1_IjLj3EES5_S5_S5_.has_indirect_call, 0
	.section	.AMDGPU.csdata,"",@progbits
; Kernel info:
; codeLenInByte = 2940
; TotalNumSgprs: 33
; NumVgprs: 17
; ScratchSize: 0
; MemoryBound: 0
; FloatMode: 240
; IeeeMode: 1
; LDSByteSize: 0 bytes/workgroup (compile time only)
; SGPRBlocks: 0
; VGPRBlocks: 2
; NumSGPRsForWavesPerEU: 33
; NumVGPRsForWavesPerEU: 17
; Occupancy: 16
; WaveLimiterHint : 0
; COMPUTE_PGM_RSRC2:SCRATCH_EN: 0
; COMPUTE_PGM_RSRC2:USER_SGPR: 6
; COMPUTE_PGM_RSRC2:TRAP_HANDLER: 0
; COMPUTE_PGM_RSRC2:TGID_X_EN: 1
; COMPUTE_PGM_RSRC2:TGID_Y_EN: 1
; COMPUTE_PGM_RSRC2:TGID_Z_EN: 1
; COMPUTE_PGM_RSRC2:TIDIG_COMP_CNT: 0
	.section	.text._ZL15flash_attn_tileILi112ELi112ELi4ELi1ELb0EEvPKcS1_S1_S1_S1_PKiPfP15HIP_vector_typeIfLj2EEffffjfiS5_IjLj3EEiiiiiiiiiiiliiliiiiil,"axG",@progbits,_ZL15flash_attn_tileILi112ELi112ELi4ELi1ELb0EEvPKcS1_S1_S1_S1_PKiPfP15HIP_vector_typeIfLj2EEffffjfiS5_IjLj3EEiiiiiiiiiiiliiliiiiil,comdat
	.globl	_ZL15flash_attn_tileILi112ELi112ELi4ELi1ELb0EEvPKcS1_S1_S1_S1_PKiPfP15HIP_vector_typeIfLj2EEffffjfiS5_IjLj3EEiiiiiiiiiiiliiliiiiil ; -- Begin function _ZL15flash_attn_tileILi112ELi112ELi4ELi1ELb0EEvPKcS1_S1_S1_S1_PKiPfP15HIP_vector_typeIfLj2EEffffjfiS5_IjLj3EEiiiiiiiiiiiliiliiiiil
	.p2align	8
	.type	_ZL15flash_attn_tileILi112ELi112ELi4ELi1ELb0EEvPKcS1_S1_S1_S1_PKiPfP15HIP_vector_typeIfLj2EEffffjfiS5_IjLj3EEiiiiiiiiiiiliiliiiiil,@function
_ZL15flash_attn_tileILi112ELi112ELi4ELi1ELb0EEvPKcS1_S1_S1_S1_PKiPfP15HIP_vector_typeIfLj2EEffffjfiS5_IjLj3EEiiiiiiiiiiiliiliiiiil: ; @_ZL15flash_attn_tileILi112ELi112ELi4ELi1ELb0EEvPKcS1_S1_S1_S1_PKiPfP15HIP_vector_typeIfLj2EEffffjfiS5_IjLj3EEiiiiiiiiiiiliiliiiiil
; %bb.0:
	s_add_u32 s6, s6, s11
	s_addc_u32 s7, s7, 0
	s_setreg_b32 hwreg(HW_REG_FLAT_SCR_LO), s6
	s_setreg_b32 hwreg(HW_REG_FLAT_SCR_HI), s7
	s_clause 0x1
	s_load_dwordx4 s[28:31], s[4:5], 0x5c
	s_load_dwordx2 s[44:45], s[4:5], 0x80
	s_add_u32 s0, s0, s11
	s_addc_u32 s1, s1, 0
	s_mov_b32 s34, s9
	s_mov_b64 s[42:43], 0
	s_waitcnt lgkmcnt(0)
	v_cvt_f32_u32_e32 v2, s31
	s_sub_i32 s7, 0, s31
	v_rcp_iflag_f32_e32 v2, v2
	v_mul_f32_e32 v2, 0x4f7ffffe, v2
	v_cvt_u32_f32_e32 v2, v2
	v_readfirstlane_b32 s6, v2
	s_mul_i32 s7, s7, s6
	s_mul_hi_u32 s7, s6, s7
	s_add_i32 s6, s6, s7
	s_mul_hi_u32 s6, s10, s6
	s_mul_i32 s7, s6, s31
	s_add_i32 s9, s6, 1
	s_sub_i32 s7, s10, s7
	s_sub_i32 s11, s7, s31
	s_cmp_ge_u32 s7, s31
	s_cselect_b32 s6, s9, s6
	s_cselect_b32 s7, s11, s7
	s_add_i32 s9, s6, 1
	s_cmp_ge_u32 s7, s31
	s_cselect_b32 s33, s9, s6
	s_abs_i32 s6, s45
	s_abs_i32 s12, s31
	v_cvt_f32_u32_e32 v2, s6
	s_sub_i32 s9, 0, s6
	s_xor_b32 s11, s31, s45
	s_ashr_i32 s11, s11, 31
	v_rcp_iflag_f32_e32 v2, v2
	v_mul_f32_e32 v2, 0x4f7ffffe, v2
	v_cvt_u32_f32_e32 v2, v2
	v_readfirstlane_b32 s7, v2
	s_mul_i32 s9, s9, s7
	s_mul_hi_u32 s9, s7, s9
	s_add_i32 s7, s7, s9
	s_mul_i32 s9, s33, s31
	s_mul_hi_u32 s7, s12, s7
	s_sub_i32 s40, s10, s9
	s_mul_i32 s13, s7, s6
	s_add_i32 s10, s7, 1
	s_sub_i32 s9, s12, s13
	s_sub_i32 s12, s9, s6
	s_cmp_ge_u32 s9, s6
	s_cselect_b32 s7, s10, s7
	s_cselect_b32 s9, s12, s9
	s_add_i32 s10, s7, 1
	s_cmp_ge_u32 s9, s6
	s_clause 0x1
	s_load_dwordx16 s[12:27], s[4:5], 0x0
	s_load_dwordx2 s[46:47], s[4:5], 0xb8
	s_cselect_b32 s6, s10, s7
	s_xor_b32 s6, s6, s11
	s_sub_i32 s10, s6, s11
	s_abs_i32 s35, s10
	v_cvt_f32_u32_e32 v2, s35
	s_sub_i32 s6, 0, s35
	v_rcp_iflag_f32_e32 v2, v2
	s_waitcnt lgkmcnt(0)
	s_cmp_eq_u64 s[18:19], 0
	v_mul_f32_e32 v2, 0x4f7ffffe, v2
	v_cvt_u32_f32_e32 v2, v2
	v_readfirstlane_b32 s11, v2
	s_mul_i32 s6, s6, s11
	s_mul_hi_u32 s6, s11, s6
	s_cbranch_scc1 .LBB65_2
; %bb.1:
	s_abs_i32 s7, s46
	s_abs_i32 s38, s33
	v_cvt_f32_u32_e32 v2, s7
	s_sub_i32 s36, 0, s7
	v_rcp_iflag_f32_e32 v2, v2
	v_mul_f32_e32 v2, 0x4f7ffffe, v2
	v_cvt_u32_f32_e32 v2, v2
	v_readfirstlane_b32 s9, v2
	s_mul_i32 s36, s36, s9
	s_mul_hi_u32 s36, s9, s36
	s_add_i32 s9, s9, s36
	s_load_dwordx2 s[36:37], s[4:5], 0xc8
	s_mul_hi_u32 s9, s38, s9
	s_mul_i32 s9, s9, s7
	s_sub_i32 s9, s38, s9
	s_ashr_i32 s38, s33, 31
	s_sub_i32 s39, s9, s7
	s_cmp_ge_u32 s9, s7
	s_cselect_b32 s9, s39, s9
	s_sub_i32 s39, s9, s7
	s_cmp_ge_u32 s9, s7
	s_cselect_b32 s7, s39, s9
	s_xor_b32 s7, s7, s38
	s_sub_i32 s7, s7, s38
	s_ashr_i32 s9, s7, 31
	s_waitcnt lgkmcnt(0)
	s_mul_hi_u32 s38, s36, s7
	s_mul_i32 s9, s36, s9
	s_mul_i32 s37, s37, s7
	s_add_i32 s9, s38, s9
	s_mul_i32 s7, s36, s7
	s_add_i32 s9, s9, s37
	s_add_u32 s42, s18, s7
	s_addc_u32 s43, s19, s9
.LBB65_2:
	s_clause 0x1
	s_load_dwordx4 s[36:39], s[4:5], 0x40
	s_load_dword s7, s[4:5], 0x50
	v_mov_b32_e32 v63, 1.0
	s_abs_i32 s19, s40
	s_add_i32 s11, s11, s6
	s_waitcnt lgkmcnt(0)
	v_cmp_le_f32_e64 s9, s37, 0
	s_and_b32 vcc_lo, exec_lo, s9
	s_cbranch_vccnz .LBB65_4
; %bb.3:
	v_sub_co_u32 v3, vcc_lo, s40, s7
	v_mov_b32_e32 v2, s38
	s_add_i32 s6, s40, 1
	v_lshlrev_b32_e32 v3, 1, v3
	v_cndmask_b32_e32 v2, s39, v2, vcc_lo
	v_or_b32_e32 v3, 1, v3
	v_cndmask_b32_e64 v3, v3, s6, vcc_lo
	v_cmp_neq_f32_e32 vcc_lo, 1.0, v2
	s_mov_b32 s6, 0x3e76c4e1
	v_cvt_f32_i32_e32 v3, v3
	v_cndmask_b32_e32 v4, 1.0, v3, vcc_lo
	v_cmp_neq_f32_e32 vcc_lo, 0, v4
	v_cndmask_b32_e32 v5, 1.0, v2, vcc_lo
	v_frexp_mant_f32_e64 v2, |v5|
	v_cmp_eq_f32_e64 s9, 0, v5
	v_cmp_gt_f32_e32 vcc_lo, 0x3f2aaaab, v2
	v_cndmask_b32_e64 v3, 1.0, 2.0, vcc_lo
	v_mul_f32_e32 v2, v2, v3
	v_add_f32_e32 v3, 1.0, v2
	v_add_f32_e32 v7, -1.0, v2
	v_rcp_f32_e32 v6, v3
	v_add_f32_e32 v9, -1.0, v3
	v_sub_f32_e32 v2, v2, v9
	v_mul_f32_e32 v8, v7, v6
	v_mul_f32_e32 v10, v3, v8
	v_fma_f32 v3, v8, v3, -v10
	v_fmac_f32_e32 v3, v8, v2
	v_add_f32_e32 v2, v10, v3
	v_sub_f32_e32 v9, v7, v2
	v_sub_f32_e32 v10, v2, v10
	;; [unrolled: 1-line block ×5, first 2 shown]
	v_add_f32_e32 v2, v3, v2
	v_add_f32_e32 v2, v9, v2
	v_mul_f32_e32 v2, v6, v2
	v_add_f32_e32 v6, v8, v2
	v_sub_f32_e32 v3, v6, v8
	v_mul_f32_e32 v7, v6, v6
	v_sub_f32_e32 v8, v2, v3
	v_fma_f32 v2, v6, v6, -v7
	v_add_f32_e32 v3, v8, v8
	v_fmac_f32_e32 v2, v6, v3
	v_add_f32_e32 v9, v7, v2
	v_fmaak_f32 v3, s6, v9, 0x3e91f4c4
	v_sub_f32_e32 v7, v9, v7
	v_mul_f32_e32 v14, v6, v9
	v_fmaak_f32 v3, v9, v3, 0x3ecccdef
	v_sub_f32_e32 v7, v2, v7
	v_fma_f32 v15, v9, v6, -v14
	v_mul_f32_e32 v10, v9, v3
	v_fmac_f32_e32 v15, v9, v8
	v_ldexp_f32 v8, v8, 1
	v_fma_f32 v11, v9, v3, -v10
	v_fmac_f32_e32 v15, v7, v6
	v_fmac_f32_e32 v11, v7, v3
	v_cvt_f64_f32_e64 v[2:3], |v5|
	v_add_f32_e32 v12, v10, v11
	v_sub_f32_e32 v10, v12, v10
	v_add_f32_e32 v13, 0x3f2aaaaa, v12
	v_sub_f32_e32 v10, v11, v10
	v_add_f32_e32 v11, 0xbf2aaaaa, v13
	v_add_f32_e32 v10, 0x31739010, v10
	v_sub_f32_e32 v11, v12, v11
	v_frexp_exp_i32_f64_e32 v2, v[2:3]
	v_add_f32_e32 v9, v10, v11
	v_add_f32_e32 v10, v14, v15
	;; [unrolled: 1-line block ×3, first 2 shown]
	v_sub_f32_e32 v12, v10, v14
	v_sub_f32_e32 v3, v13, v7
	v_mul_f32_e32 v11, v10, v7
	v_sub_f32_e32 v12, v15, v12
	v_add_f32_e32 v3, v9, v3
	v_fma_f32 v9, v10, v7, -v11
	v_subrev_co_ci_u32_e64 v2, null, 0, v2, vcc_lo
	v_fmac_f32_e32 v9, v10, v3
	v_ldexp_f32 v3, v6, 1
	v_cvt_f32_i32_e32 v2, v2
	v_fmac_f32_e32 v9, v12, v7
	v_add_f32_e32 v6, v11, v9
	v_add_f32_e32 v7, v3, v6
	v_sub_f32_e32 v10, v6, v11
	v_mul_f32_e32 v11, 0x3f317218, v2
	v_sub_f32_e32 v3, v7, v3
	v_sub_f32_e32 v9, v9, v10
	v_fma_f32 v10, 0x3f317218, v2, -v11
	v_sub_f32_e32 v3, v6, v3
	v_add_f32_e32 v6, v8, v9
	v_fmamk_f32 v2, v2, 0xb102e308, v10
	v_add_f32_e32 v3, v6, v3
	v_add_f32_e32 v6, v11, v2
	;; [unrolled: 1-line block ×3, first 2 shown]
	v_sub_f32_e32 v11, v6, v11
	v_add_f32_e32 v9, v6, v8
	v_sub_f32_e32 v7, v8, v7
	v_sub_f32_e32 v2, v2, v11
	;; [unrolled: 1-line block ×6, first 2 shown]
	v_add_f32_e32 v8, v2, v3
	v_sub_f32_e32 v6, v6, v12
	v_add_f32_e32 v6, v7, v6
	v_sub_f32_e32 v7, v8, v2
	;; [unrolled: 2-line block ×3, first 2 shown]
	v_sub_f32_e32 v3, v3, v7
	v_add_f32_e32 v10, v9, v6
	v_sub_f32_e32 v2, v2, v8
	v_sub_f32_e32 v7, v10, v9
	v_add_f32_e32 v2, v3, v2
	v_sub_f32_e32 v3, v6, v7
	v_add_f32_e32 v2, v2, v3
	v_add_f32_e32 v3, v10, v2
	v_sub_f32_e32 v6, v3, v10
	v_mul_f32_e32 v7, v4, v3
	v_sub_f32_e32 v2, v2, v6
	v_fma_f32 v3, v4, v3, -v7
	v_cmp_class_f32_e64 vcc_lo, v7, 0x204
	v_fmac_f32_e32 v3, v4, v2
	v_add_f32_e32 v2, v7, v3
	v_cndmask_b32_e32 v6, v2, v7, vcc_lo
	v_sub_f32_e32 v2, v2, v7
	v_cmp_eq_f32_e32 vcc_lo, 0x42b17218, v6
	v_sub_f32_e32 v2, v3, v2
	v_cndmask_b32_e64 v8, 0, 0x37000000, vcc_lo
	v_cmp_neq_f32_e64 vcc_lo, 0x7f800000, |v6|
	v_sub_f32_e32 v9, v6, v8
	v_cndmask_b32_e32 v2, 0, v2, vcc_lo
	v_trunc_f32_e32 v6, v4
	v_mul_f32_e32 v10, 0x3fb8aa3b, v9
	v_cmp_ngt_f32_e32 vcc_lo, 0xc2ce8ed0, v9
	v_add_f32_e32 v2, v8, v2
	v_fma_f32 v11, 0x3fb8aa3b, v9, -v10
	v_rndne_f32_e32 v12, v10
	v_fmamk_f32 v11, v9, 0x32a5705f, v11
	v_sub_f32_e32 v10, v10, v12
	v_cvt_i32_f32_e32 v7, v12
	v_add_f32_e32 v10, v10, v11
	v_exp_f32_e32 v10, v10
	v_ldexp_f32 v3, v10, v7
	v_mul_f32_e32 v7, 0.5, v4
	v_cndmask_b32_e32 v3, 0, v3, vcc_lo
	v_cmp_nlt_f32_e32 vcc_lo, 0x42b17218, v9
	v_trunc_f32_e32 v10, v7
	v_cndmask_b32_e32 v3, 0x7f800000, v3, vcc_lo
	v_cmp_eq_f32_e32 vcc_lo, v6, v4
	v_cmp_neq_f32_e64 s6, v10, v7
	v_fma_f32 v2, v3, v2, v3
	v_cmp_class_f32_e64 s7, v3, 0x204
	s_and_b32 s6, vcc_lo, s6
	v_cndmask_b32_e64 v6, 1.0, v5, s6
	v_cndmask_b32_e64 v2, v2, v3, s7
	v_cmp_gt_f32_e64 s7, 0, v4
	v_bfi_b32 v2, 0x7fffffff, v2, v6
	s_xor_b32 s7, s7, s9
	v_cndmask_b32_e64 v6, 0, v5, s6
	v_cndmask_b32_e64 v3, 0x7f800000, 0, s7
	v_cmp_class_f32_e64 s6, v5, 0x204
	v_cndmask_b32_e32 v4, 0x7fc00000, v2, vcc_lo
	v_cmp_gt_f32_e32 vcc_lo, 0, v5
	v_bfi_b32 v3, 0x7fffffff, v3, v6
	v_cndmask_b32_e32 v2, v2, v4, vcc_lo
	s_or_b32 vcc_lo, s9, s6
	v_cndmask_b32_e32 v2, v2, v3, vcc_lo
	v_cmp_o_f32_e32 vcc_lo, v5, v5
	v_cndmask_b32_e32 v63, 0x7fc00000, v2, vcc_lo
.LBB65_4:
	s_lshl_b32 s7, s8, 2
	s_movk_i32 s9, 0xe0
	v_cmp_gt_u32_e64 s6, 28, v0
	v_mad_u32_u24 v64, v1, s9, 0x1040
	v_lshlrev_b32_e32 v56, 3, v0
	v_add_nc_u32_e32 v42, s7, v1
	s_mul_hi_u32 s7, s19, s11
	s_and_saveexec_b32 s9, s6
	s_cbranch_execz .LBB65_6
; %bb.5:
	v_mul_hi_u32 v2, s28, v42
	s_load_dwordx4 s[48:51], s[4:5], 0x70
	v_add_nc_u32_e32 v6, v64, v56
	v_add_nc_u32_e32 v2, v42, v2
	v_lshrrev_b32_e32 v2, s29, v2
	v_mul_lo_u32 v2, v2, s30
	s_waitcnt lgkmcnt(0)
	s_mul_i32 s11, s33, s50
	s_mul_i32 s18, s40, s49
	s_ashr_i32 s37, s11, 31
	s_add_u32 s11, s12, s11
	s_addc_u32 s12, s13, s37
	s_ashr_i32 s13, s18, 31
	s_add_u32 s11, s11, s18
	v_sub_nc_u32_e32 v4, v42, v2
	s_addc_u32 s18, s12, s13
	s_ashr_i32 s49, s48, 31
	s_lshr_b64 s[12:13], s[48:49], 2
	v_mad_u64_u32 v[2:3], null, s12, v4, 0
	s_lshr_b32 s12, s49, 2
	v_mad_u64_u32 v[3:4], null, s12, v4, v[3:4]
	v_lshlrev_b32_e32 v4, 4, v0
	v_lshlrev_b64 v[2:3], 2, v[2:3]
	v_add_co_u32 v2, vcc_lo, s11, v2
	v_add_co_ci_u32_e64 v3, null, s18, v3, vcc_lo
	v_add_co_u32 v2, vcc_lo, v2, v4
	v_add_co_ci_u32_e64 v3, null, 0, v3, vcc_lo
	global_load_dwordx4 v[2:5], v[2:3], off
	s_waitcnt vmcnt(0)
	v_fma_mixlo_f16 v3, s36, v3, 0
	v_fma_mixlo_f16 v2, s36, v2, 0
	;; [unrolled: 1-line block ×4, first 2 shown]
	v_lshlrev_b32_e32 v3, 16, v3
	v_and_b32_e32 v2, 0xffff, v2
	v_and_b32_e32 v4, 0xffff, v4
	v_lshlrev_b32_e32 v5, 16, v5
	v_or_b32_e32 v2, v3, v2
	v_or3_b32 v3, v5, v4, 0
	v_or3_b32 v2, 0, 0, v2
	ds_write_b64 v6, v[2:3]
.LBB65_6:
	s_or_b32 exec_lo, exec_lo, s9
	s_ashr_i32 s41, s40, 31
	s_ashr_i32 s12, s10, 31
	s_cmp_eq_u64 s[22:23], 0
	s_waitcnt lgkmcnt(0)
	s_barrier
	buffer_gl0_inv
	s_cbranch_scc1 .LBB65_8
; %bb.7:
	s_load_dword s9, s[4:5], 0xd0
	s_waitcnt lgkmcnt(0)
	s_mul_i32 s9, s9, s33
	s_add_i32 s8, s9, s8
	s_mov_b32 s9, 0
	s_lshl_b64 s[8:9], s[8:9], 2
	s_add_u32 s8, s22, s8
	s_addc_u32 s9, s23, s9
	s_load_dword s44, s[8:9], 0x0
.LBB65_8:
	s_clause 0x2
	s_load_dwordx2 s[36:37], s[4:5], 0x8c
	s_load_dwordx4 s[8:11], s[4:5], 0x98
	s_load_dwordx2 s[38:39], s[4:5], 0xa8
	s_ashr_i32 s13, s33, 31
	s_ashr_i32 s22, s47, 1
	s_mul_i32 s45, s7, s35
	v_lshl_add_u32 v70, v1, 5, v0
	v_lshrrev_b32_e32 v69, 1, v0
	v_lshlrev_b32_e32 v61, 2, v0
	v_lshrrev_b32_e32 v68, 2, v0
	v_lshlrev_b32_e32 v66, 7, v0
	v_lshl_add_u32 v58, v1, 6, 0x13c0
	v_lshrrev_b32_e32 v62, 3, v0
	v_mbcnt_lo_u32_b32 v57, -1, 0
	s_waitcnt lgkmcnt(0)
	s_ashr_i32 s23, s36, 2
	s_ashr_i32 s18, s10, 2
	s_mul_hi_u32 s10, s8, s33
	s_mul_i32 s36, s8, s13
	s_mul_i32 s9, s9, s33
	s_add_i32 s10, s10, s36
	s_mul_i32 s8, s8, s33
	s_add_i32 s10, s10, s9
	s_add_u32 s8, s14, s8
	s_addc_u32 s9, s15, s10
	s_xor_b32 s10, s41, s12
	s_sub_i32 s12, s19, s45
	s_add_i32 s14, s7, 1
	s_sub_i32 s15, s12, s35
	s_cmp_ge_u32 s12, s35
	s_cselect_b32 s7, s14, s7
	s_cselect_b32 s12, s15, s12
	s_add_i32 s14, s7, 1
	s_cmp_ge_u32 s12, s35
	s_mul_hi_u32 s12, s38, s33
	s_cselect_b32 s7, s14, s7
	s_mul_i32 s14, s38, s13
	s_xor_b32 s7, s7, s10
	s_mul_i32 s15, s38, s33
	s_sub_i32 s7, s7, s10
	s_mul_i32 s10, s39, s33
	s_mul_i32 s13, s7, s37
	;; [unrolled: 1-line block ×3, first 2 shown]
	s_ashr_i32 s19, s13, 31
	s_add_u32 s13, s8, s13
	s_addc_u32 s35, s9, s19
	s_add_i32 s8, s12, s14
	s_add_i32 s8, s8, s10
	s_add_u32 s9, s16, s15
	s_addc_u32 s8, s17, s8
	s_ashr_i32 s10, s7, 31
	s_add_u32 s16, s9, s7
	s_addc_u32 s17, s8, s10
	s_lshl_b32 s19, s34, 5
	s_sub_i32 s36, s44, 32
	s_cmp_ge_i32 s19, s36
	s_cbranch_scc1 .LBB65_31
; %bb.9:
	v_mul_hi_u32 v3, s28, v42
	v_lshl_add_u32 v9, v1, 4, v69
	v_and_b32_e32 v15, 4, v61
	v_lshl_add_u32 v11, v1, 3, v68
	v_lshl_add_u32 v16, v1, 2, v62
	v_and_b32_e32 v14, 12, v61
	v_lshlrev_b32_e32 v5, 7, v9
	v_lshlrev_b32_e32 v10, 2, v15
	v_add_nc_u32_e32 v3, v42, v3
	v_mul_u32_u24_e32 v12, 0xe0, v9
	v_mul_lo_u32 v2, s23, v70
	v_mul_lo_u32 v4, s23, v11
	;; [unrolled: 1-line block ×3, first 2 shown]
	v_lshrrev_b32_e32 v3, s29, v3
	v_mul_lo_u32 v8, s18, v16
	v_or3_b32 v74, v5, v10, 64
	v_lshlrev_b32_e32 v13, 2, v14
	v_mul_u32_u24_e32 v19, 0xe0, v11
	v_mul_lo_u32 v7, v3, s30
	v_and_b32_e32 v18, 28, v61
	v_cmp_gt_u32_e64 s8, 32, v9
	v_cmp_gt_u32_e64 s9, 16, v9
	v_ashrrev_i32_e32 v3, 31, v2
	v_lshl_or_b32 v73, v11, 7, v13
	v_ashrrev_i32_e32 v5, 31, v4
	v_cmp_gt_u32_e64 s10, 16, v11
	v_sub_nc_u32_e32 v17, v42, v7
	v_ashrrev_i32_e32 v7, 31, v6
	v_add3_u32 v76, v19, v13, 0x80
	v_lshlrev_b32_e32 v20, 2, v18
	v_lshlrev_b64 v[48:49], 2, v[4:5]
	v_mad_u64_u32 v[43:44], null, v17, s22, v[0:1]
	v_or_b32_e32 v17, v12, v10
	v_mul_lo_u32 v10, s18, v9
	v_mul_lo_u32 v12, s18, v11
	v_ashrrev_i32_e32 v9, 31, v8
	v_lshlrev_b64 v[44:45], 2, v[2:3]
	v_lshlrev_b64 v[46:47], 2, v[6:7]
	v_cmp_gt_u32_e64 s7, 32, v70
	v_mov_b32_e32 v59, 0
	v_lshlrev_b64 v[54:55], 2, v[8:9]
	v_ashrrev_i32_e32 v11, 31, v10
	v_ashrrev_i32_e32 v13, 31, v12
	v_or_b32_e32 v71, 0x60, v66
	s_cmp_lg_u64 s[42:43], 0
	v_lshl_add_u32 v72, v0, 1, v58
	v_lshlrev_b64 v[50:51], 2, v[10:11]
	v_lshlrev_b64 v[52:53], 2, v[12:13]
	v_add_nc_u32_e32 v75, 0xc0, v17
	v_mad_u32_u24 v77, 0xe0, v16, v20
	v_mov_b32_e32 v84, 0xfeffffff
	v_lshlrev_b32_e32 v78, 2, v14
	v_lshlrev_b32_e32 v79, 2, v18
	;; [unrolled: 1-line block ×3, first 2 shown]
	v_mbcnt_lo_u32_b32 v81, -1, 0
	v_mov_b32_e32 v82, 0x10001
	v_mov_b32_e32 v60, 0
	;; [unrolled: 1-line block ×3, first 2 shown]
	s_cselect_b32 s37, -1, 0
	s_add_u32 s14, s4, 0xd0
	s_addc_u32 s15, s5, 0
.LBB65_10:                              ; =>This Inner Loop Header: Depth=1
	s_mul_hi_i32 s39, s19, s23
	s_mul_i32 s38, s19, s23
	s_lshl_b64 s[38:39], s[38:39], 2
	s_add_u32 s11, s13, s38
	s_addc_u32 s12, s35, s39
	s_and_saveexec_b32 s38, s7
	s_cbranch_execz .LBB65_12
; %bb.11:                               ;   in Loop: Header=BB65_10 Depth=1
	v_add_co_u32 v2, vcc_lo, s11, v44
	v_add_co_ci_u32_e64 v3, null, s12, v45, vcc_lo
	global_load_dwordx4 v[2:5], v[2:3], off offset:96
	s_waitcnt vmcnt(0)
	ds_write_b128 v71, v[2:5]
.LBB65_12:                              ;   in Loop: Header=BB65_10 Depth=1
	s_or_b32 exec_lo, exec_lo, s38
	s_and_saveexec_b32 s38, s8
	s_cbranch_execz .LBB65_14
; %bb.13:                               ;   in Loop: Header=BB65_10 Depth=1
	v_add_co_u32 v2, vcc_lo, s11, v46
	v_add_co_ci_u32_e64 v3, null, s12, v47, vcc_lo
	v_add_co_u32 v2, vcc_lo, v2, v80
	v_add_co_ci_u32_e64 v3, null, 0, v3, vcc_lo
	global_load_dwordx4 v[2:5], v[2:3], off offset:64
	s_waitcnt vmcnt(0)
	ds_write_b128 v74, v[2:5]
.LBB65_14:                              ;   in Loop: Header=BB65_10 Depth=1
	s_or_b32 exec_lo, exec_lo, s38
	v_add_co_u32 v2, vcc_lo, s11, v48
	v_add_co_ci_u32_e64 v3, null, s12, v49, vcc_lo
	v_add_co_u32 v2, vcc_lo, v2, v78
	v_add_co_ci_u32_e64 v3, null, 0, v3, vcc_lo
	global_load_dwordx4 v[4:7], v[2:3], off
	s_waitcnt vmcnt(0)
	ds_write_b128 v73, v[4:7]
	s_waitcnt lgkmcnt(0)
	s_barrier
	buffer_gl0_inv
	ds_read_b128 v[5:8], v66
	ds_read_b128 v[9:12], v64
	v_mov_b32_e32 v4, 0
	s_waitcnt lgkmcnt(0)
	;;#ASMSTART
	v_dot2_f32_f16 v4, v5, v9, v4
	;;#ASMEND
	;;#ASMSTART
	v_dot2_f32_f16 v4, v6, v10, v4
	;;#ASMEND
	;;#ASMSTART
	v_dot2_f32_f16 v4, v7, v11, v4
	;;#ASMEND
	;;#ASMSTART
	v_dot2_f32_f16 v4, v8, v12, v4
	;;#ASMEND
	ds_read_b128 v[5:8], v66 offset:16
	ds_read_b128 v[9:12], v64 offset:16
	s_waitcnt lgkmcnt(0)
	;;#ASMSTART
	v_dot2_f32_f16 v4, v5, v9, v4
	;;#ASMEND
	;;#ASMSTART
	v_dot2_f32_f16 v4, v6, v10, v4
	;;#ASMEND
	;;#ASMSTART
	v_dot2_f32_f16 v4, v7, v11, v4
	;;#ASMEND
	;;#ASMSTART
	v_dot2_f32_f16 v4, v8, v12, v4
	;;#ASMEND
	ds_read_b128 v[5:8], v66 offset:32
	ds_read_b128 v[9:12], v64 offset:32
	;; [unrolled: 15-line block ×6, first 2 shown]
	s_waitcnt lgkmcnt(0)
	;;#ASMSTART
	v_dot2_f32_f16 v4, v5, v9, v4
	;;#ASMEND
	;;#ASMSTART
	v_dot2_f32_f16 v4, v6, v10, v4
	;;#ASMEND
	;; [unrolled: 3-line block ×4, first 2 shown]
	s_barrier
	buffer_gl0_inv
	s_and_saveexec_b32 s38, s7
	s_cbranch_execz .LBB65_16
; %bb.15:                               ;   in Loop: Header=BB65_10 Depth=1
	v_add_co_u32 v5, vcc_lo, s11, v44
	v_add_co_ci_u32_e64 v6, null, s12, v45, vcc_lo
	global_load_dwordx4 v[5:8], v[5:6], off offset:208
	s_waitcnt vmcnt(0)
	ds_write_b128 v71, v[5:8]
.LBB65_16:                              ;   in Loop: Header=BB65_10 Depth=1
	s_or_b32 exec_lo, exec_lo, s38
	s_and_saveexec_b32 s38, s8
	s_cbranch_execz .LBB65_18
; %bb.17:                               ;   in Loop: Header=BB65_10 Depth=1
	v_add_co_u32 v5, vcc_lo, s11, v46
	v_add_co_ci_u32_e64 v6, null, s12, v47, vcc_lo
	v_add_co_u32 v5, vcc_lo, v5, v80
	v_add_co_ci_u32_e64 v6, null, 0, v6, vcc_lo
	global_load_dwordx4 v[5:8], v[5:6], off offset:176
	s_waitcnt vmcnt(0)
	ds_write_b128 v74, v[5:8]
.LBB65_18:                              ;   in Loop: Header=BB65_10 Depth=1
	s_or_b32 exec_lo, exec_lo, s38
	global_load_dwordx4 v[5:8], v[2:3], off offset:112
	s_andn2_b32 vcc_lo, exec_lo, s37
	s_waitcnt vmcnt(0)
	ds_write_b128 v73, v[5:8]
	s_waitcnt lgkmcnt(0)
	s_barrier
	buffer_gl0_inv
	ds_read_b128 v[5:8], v66
	ds_read_b128 v[9:12], v64 offset:112
	s_waitcnt lgkmcnt(0)
	;;#ASMSTART
	v_dot2_f32_f16 v4, v5, v9, v4
	;;#ASMEND
	;;#ASMSTART
	v_dot2_f32_f16 v4, v6, v10, v4
	;;#ASMEND
	;;#ASMSTART
	v_dot2_f32_f16 v4, v7, v11, v4
	;;#ASMEND
	;;#ASMSTART
	v_dot2_f32_f16 v4, v8, v12, v4
	;;#ASMEND
	ds_read_b128 v[5:8], v66 offset:16
	ds_read_b128 v[9:12], v64 offset:128
	s_waitcnt lgkmcnt(0)
	;;#ASMSTART
	v_dot2_f32_f16 v4, v5, v9, v4
	;;#ASMEND
	;;#ASMSTART
	v_dot2_f32_f16 v4, v6, v10, v4
	;;#ASMEND
	;;#ASMSTART
	v_dot2_f32_f16 v4, v7, v11, v4
	;;#ASMEND
	;;#ASMSTART
	v_dot2_f32_f16 v4, v8, v12, v4
	;;#ASMEND
	ds_read_b128 v[5:8], v66 offset:32
	;; [unrolled: 15-line block ×6, first 2 shown]
	ds_read_b128 v[9:12], v64 offset:208
	s_waitcnt lgkmcnt(0)
	;;#ASMSTART
	v_dot2_f32_f16 v4, v5, v9, v4
	;;#ASMEND
	;;#ASMSTART
	v_dot2_f32_f16 v4, v6, v10, v4
	;;#ASMEND
	;;#ASMSTART
	v_dot2_f32_f16 v4, v7, v11, v4
	;;#ASMEND
	;;#ASMSTART
	v_dot2_f32_f16 v4, v8, v12, v4
	;;#ASMEND
	s_cbranch_vccnz .LBB65_20
; %bb.19:                               ;   in Loop: Header=BB65_10 Depth=1
	v_add_nc_u32_e32 v2, s19, v43
	v_ashrrev_i32_e32 v3, 31, v2
	v_lshlrev_b64 v[2:3], 1, v[2:3]
	v_add_co_u32 v2, vcc_lo, s42, v2
	v_add_co_ci_u32_e64 v3, null, s43, v3, vcc_lo
	global_load_ushort v2, v[2:3], off
	s_waitcnt vmcnt(0)
	v_cvt_f32_f16_e32 v2, v2
	v_mul_f32_e32 v2, v63, v2
	s_branch .LBB65_21
.LBB65_20:                              ;   in Loop: Header=BB65_10 Depth=1
	v_mov_b32_e32 v2, 0
.LBB65_21:                              ;   in Loop: Header=BB65_10 Depth=1
	v_xor_b32_e32 v3, 16, v81
	v_add_f32_e32 v2, v4, v2
	v_max_f32_e32 v4, v84, v84
	s_mul_hi_i32 s39, s19, s18
	s_mul_i32 s38, s19, s18
	v_cmp_gt_i32_e32 vcc_lo, 32, v3
	v_add_f32_e32 v5, 0x40051340, v2
	s_lshl_b64 s[38:39], s[38:39], 2
	s_add_u32 s11, s16, s38
	v_cndmask_b32_e32 v3, v81, v3, vcc_lo
	v_max_f32_e32 v4, v4, v5
	v_xor_b32_e32 v5, 8, v81
	s_addc_u32 s12, s17, s39
	s_barrier
	v_lshlrev_b32_e32 v3, 2, v3
	buffer_gl0_inv
	v_cmp_gt_i32_e32 vcc_lo, 32, v5
	ds_bpermute_b32 v3, v3, v4
	v_cndmask_b32_e32 v5, v81, v5, vcc_lo
	v_lshlrev_b32_e32 v5, 2, v5
	s_waitcnt lgkmcnt(0)
	v_max_f32_e32 v3, v3, v3
	v_max_f32_e32 v3, v4, v3
	ds_bpermute_b32 v4, v5, v3
	v_xor_b32_e32 v5, 4, v81
	v_cmp_gt_i32_e32 vcc_lo, 32, v5
	v_cndmask_b32_e32 v5, v81, v5, vcc_lo
	v_lshlrev_b32_e32 v5, 2, v5
	s_waitcnt lgkmcnt(0)
	v_max_f32_e32 v4, v4, v4
	v_max_f32_e32 v3, v3, v4
	ds_bpermute_b32 v4, v5, v3
	v_xor_b32_e32 v5, 2, v81
	v_cmp_gt_i32_e32 vcc_lo, 32, v5
	;; [unrolled: 8-line block ×3, first 2 shown]
	v_cndmask_b32_e32 v5, v81, v5, vcc_lo
	v_lshlrev_b32_e32 v5, 2, v5
	s_waitcnt lgkmcnt(0)
	v_max_f32_e32 v4, v4, v4
	v_max_f32_e32 v3, v3, v4
	ds_bpermute_b32 v4, v5, v3
	s_waitcnt lgkmcnt(0)
	v_max_f32_e32 v4, v4, v4
	v_max_f32_e32 v67, v3, v4
	v_sub_f32_e32 v2, v2, v67
	v_mul_f32_e32 v3, 0x3fb8aa3b, v2
	v_cmp_ngt_f32_e32 vcc_lo, 0xc2ce8ed0, v2
	v_fma_f32 v4, 0x3fb8aa3b, v2, -v3
	v_rndne_f32_e32 v5, v3
	v_fmac_f32_e32 v4, 0x32a5705f, v2
	v_sub_f32_e32 v3, v3, v5
	v_add_f32_e32 v3, v3, v4
	v_cvt_i32_f32_e32 v4, v5
	v_exp_f32_e32 v3, v3
	v_ldexp_f32 v3, v3, v4
	v_cndmask_b32_e32 v3, 0, v3, vcc_lo
	v_cmp_nlt_f32_e32 vcc_lo, 0x42b17218, v2
	v_cndmask_b32_e32 v65, 0x7f800000, v3, vcc_lo
	v_cvt_f16_f32_e32 v2, v65
	ds_write_b16 v72, v2
	s_and_saveexec_b32 s38, s9
	s_cbranch_execz .LBB65_23
; %bb.22:                               ;   in Loop: Header=BB65_10 Depth=1
	v_add_co_u32 v2, vcc_lo, s11, v50
	v_add_co_ci_u32_e64 v3, null, s12, v51, vcc_lo
	v_add_co_u32 v2, vcc_lo, v2, v80
	v_add_co_ci_u32_e64 v3, null, 0, v3, vcc_lo
	global_load_dwordx4 v[2:5], v[2:3], off offset:192
	s_waitcnt vmcnt(0)
	ds_write_b128 v75, v[2:5]
.LBB65_23:                              ;   in Loop: Header=BB65_10 Depth=1
	s_or_b32 exec_lo, exec_lo, s38
	s_and_saveexec_b32 s38, s10
	s_cbranch_execz .LBB65_25
; %bb.24:                               ;   in Loop: Header=BB65_10 Depth=1
	v_add_co_u32 v2, vcc_lo, s11, v52
	v_add_co_ci_u32_e64 v3, null, s12, v53, vcc_lo
	v_add_co_u32 v2, vcc_lo, v2, v78
	v_add_co_ci_u32_e64 v3, null, 0, v3, vcc_lo
	global_load_dwordx4 v[2:5], v[2:3], off offset:128
	s_waitcnt vmcnt(0)
	ds_write_b128 v76, v[2:5]
.LBB65_25:                              ;   in Loop: Header=BB65_10 Depth=1
	s_or_b32 exec_lo, exec_lo, s38
	v_add_co_u32 v2, vcc_lo, s11, v54
	v_add_co_ci_u32_e64 v3, null, s12, v55, vcc_lo
	v_add_nc_u32_e32 v85, 0x800, v56
	v_add_co_u32 v2, vcc_lo, v2, v79
	v_add_co_ci_u32_e64 v3, null, 0, v3, vcc_lo
	v_sub_f32_e32 v84, v84, v67
	s_or_b32 s12, s19, 16
	s_mul_hi_i32 s39, s12, s18
	global_load_dwordx4 v[2:5], v[2:3], off
	s_mul_i32 s38, s12, s18
	v_cmp_nlt_f32_e64 s11, 0x42b17218, v84
	s_lshl_b64 s[38:39], s[38:39], 2
	v_cmp_ngt_f32_e32 vcc_lo, 0xc2ce8ed0, v84
	s_add_u32 s38, s16, s38
	s_addc_u32 s39, s17, s39
	s_waitcnt vmcnt(0)
	ds_write_b128 v77, v[2:5]
	s_waitcnt lgkmcnt(0)
	s_barrier
	buffer_gl0_inv
	ds_read2_b64 v[38:41], v56 offset1:28
	ds_read_b128 v[26:29], v58
	ds_read_b128 v[6:9], v58 offset:16
	ds_read2_b64 v[34:37], v56 offset0:56 offset1:84
	ds_read2_b64 v[30:33], v56 offset0:112 offset1:140
	;; [unrolled: 1-line block ×7, first 2 shown]
	s_waitcnt lgkmcnt(0)
	s_barrier
	buffer_gl0_inv
	s_and_saveexec_b32 s45, s9
	s_cbranch_execz .LBB65_27
; %bb.26:                               ;   in Loop: Header=BB65_10 Depth=1
	v_add_co_u32 v86, s12, s38, v50
	v_add_co_ci_u32_e64 v87, null, s39, v51, s12
	v_add_co_u32 v86, s12, v86, v80
	v_add_co_ci_u32_e64 v87, null, 0, v87, s12
	global_load_dwordx4 v[86:89], v[86:87], off offset:192
	s_waitcnt vmcnt(0)
	ds_write_b128 v75, v[86:89]
.LBB65_27:                              ;   in Loop: Header=BB65_10 Depth=1
	s_or_b32 exec_lo, exec_lo, s45
	s_and_saveexec_b32 s45, s10
	s_cbranch_execz .LBB65_29
; %bb.28:                               ;   in Loop: Header=BB65_10 Depth=1
	v_add_co_u32 v86, s12, s38, v52
	v_add_co_ci_u32_e64 v87, null, s39, v53, s12
	v_add_co_u32 v86, s12, v86, v78
	v_add_co_ci_u32_e64 v87, null, 0, v87, s12
	global_load_dwordx4 v[86:89], v[86:87], off offset:128
	s_waitcnt vmcnt(0)
	ds_write_b128 v76, v[86:89]
.LBB65_29:                              ;   in Loop: Header=BB65_10 Depth=1
	s_or_b32 exec_lo, exec_lo, s45
	v_add_co_u32 v86, s12, s38, v54
	v_add_co_ci_u32_e64 v87, null, s39, v55, s12
	v_mul_f32_e32 v90, 0x3fb8aa3b, v84
	v_add_co_u32 v86, s12, v86, v79
	v_add_co_ci_u32_e64 v87, null, 0, v87, s12
	v_fma_f32 v91, 0x3fb8aa3b, v84, -v90
	v_rndne_f32_e32 v92, v90
	global_load_dwordx4 v[86:89], v[86:87], off
	v_fmac_f32_e32 v91, 0x32a5705f, v84
	v_sub_f32_e32 v84, v90, v92
	v_cvt_i32_f32_e32 v90, v92
	v_add_f32_e32 v84, v84, v91
	v_exp_f32_e32 v84, v84
	v_ldexp_f32 v84, v84, v90
	v_mul_u32_u24_sdwa v90, v26, v82 dst_sel:DWORD dst_unused:UNUSED_PAD src0_sel:WORD_0 src1_sel:DWORD
	v_mul_u32_u24_sdwa v26, v26, v82 dst_sel:DWORD dst_unused:UNUSED_PAD src0_sel:WORD_1 src1_sel:DWORD
	v_cndmask_b32_e32 v84, 0, v84, vcc_lo
	v_pk_mul_f16 v38, v38, v90
	v_pk_mul_f16 v39, v39, v90
	v_cndmask_b32_e64 v84, 0x7f800000, v84, s11
	v_cvt_f16_f32_e32 v91, v84
	v_fmac_f32_e32 v65, v83, v84
	v_mul_u32_u24_sdwa v91, v91, v82 dst_sel:DWORD dst_unused:UNUSED_PAD src0_sel:WORD_0 src1_sel:DWORD
	v_pk_fma_f16 v38, v59, v91, v38
	v_pk_fma_f16 v39, v60, v91, v39
	v_mul_u32_u24_sdwa v59, v27, v82 dst_sel:DWORD dst_unused:UNUSED_PAD src0_sel:WORD_0 src1_sel:DWORD
	v_mul_u32_u24_sdwa v27, v27, v82 dst_sel:DWORD dst_unused:UNUSED_PAD src0_sel:WORD_1 src1_sel:DWORD
	v_pk_fma_f16 v38, v40, v26, v38
	v_pk_fma_f16 v26, v41, v26, v39
	v_pk_fma_f16 v34, v34, v59, v38
	v_pk_fma_f16 v26, v35, v59, v26
	v_mul_u32_u24_sdwa v38, v28, v82 dst_sel:DWORD dst_unused:UNUSED_PAD src0_sel:WORD_0 src1_sel:DWORD
	v_mul_u32_u24_sdwa v28, v28, v82 dst_sel:DWORD dst_unused:UNUSED_PAD src0_sel:WORD_1 src1_sel:DWORD
	v_pk_fma_f16 v34, v36, v27, v34
	v_pk_fma_f16 v26, v37, v27, v26
	;; [unrolled: 6-line block ×4, first 2 shown]
	v_pk_fma_f16 v18, v18, v27, v22
	v_pk_fma_f16 v19, v19, v27, v23
	v_mul_u32_u24_sdwa v22, v7, v82 dst_sel:DWORD dst_unused:UNUSED_PAD src0_sel:WORD_0 src1_sel:DWORD
	v_mul_u32_u24_sdwa v7, v7, v82 dst_sel:DWORD dst_unused:UNUSED_PAD src0_sel:WORD_1 src1_sel:DWORD
	v_mul_u32_u24_sdwa v23, v8, v82 dst_sel:DWORD dst_unused:UNUSED_PAD src0_sel:WORD_0 src1_sel:DWORD
	v_pk_fma_f16 v18, v20, v6, v18
	v_pk_fma_f16 v6, v21, v6, v19
	;; [unrolled: 1-line block ×4, first 2 shown]
	v_mul_u32_u24_sdwa v22, v9, v82 dst_sel:DWORD dst_unused:UNUSED_PAD src0_sel:WORD_1 src1_sel:DWORD
	v_pk_fma_f16 v14, v16, v7, v14
	v_pk_fma_f16 v6, v17, v7, v6
	v_mul_u32_u24_sdwa v7, v8, v82 dst_sel:DWORD dst_unused:UNUSED_PAD src0_sel:WORD_1 src1_sel:DWORD
	v_pk_fma_f16 v8, v10, v23, v14
	v_pk_fma_f16 v6, v11, v23, v6
	v_mul_u32_u24_sdwa v10, v9, v82 dst_sel:DWORD dst_unused:UNUSED_PAD src0_sel:WORD_0 src1_sel:DWORD
	v_pk_fma_f16 v8, v12, v7, v8
	v_pk_fma_f16 v11, v13, v7, v6
	;; [unrolled: 1-line block ×6, first 2 shown]
	s_waitcnt vmcnt(0)
	ds_write_b128 v77, v[86:89]
	s_waitcnt lgkmcnt(0)
	s_barrier
	buffer_gl0_inv
	ds_read_b128 v[18:21], v58 offset:32
	ds_read_b128 v[10:13], v58 offset:48
	ds_read2_b64 v[14:17], v56 offset1:28
	ds_read2_b64 v[6:9], v56 offset0:56 offset1:84
	ds_read2_b64 v[2:5], v56 offset0:112 offset1:140
	s_waitcnt lgkmcnt(4)
	v_mul_u32_u24_sdwa v24, v18, v82 dst_sel:DWORD dst_unused:UNUSED_PAD src0_sel:WORD_0 src1_sel:DWORD
	v_mul_u32_u24_sdwa v18, v18, v82 dst_sel:DWORD dst_unused:UNUSED_PAD src0_sel:WORD_1 src1_sel:DWORD
	s_waitcnt lgkmcnt(2)
	v_pk_fma_f16 v14, v14, v24, v23
	v_pk_fma_f16 v15, v15, v24, v22
	v_mul_u32_u24_sdwa v22, v19, v82 dst_sel:DWORD dst_unused:UNUSED_PAD src0_sel:WORD_0 src1_sel:DWORD
	v_mul_u32_u24_sdwa v19, v19, v82 dst_sel:DWORD dst_unused:UNUSED_PAD src0_sel:WORD_1 src1_sel:DWORD
	v_pk_fma_f16 v23, v16, v18, v14
	v_pk_fma_f16 v18, v17, v18, v15
	ds_read2_b64 v[14:17], v56 offset0:168 offset1:196
	s_waitcnt lgkmcnt(2)
	v_pk_fma_f16 v6, v6, v22, v23
	v_pk_fma_f16 v7, v7, v22, v18
	v_mul_u32_u24_sdwa v18, v20, v82 dst_sel:DWORD dst_unused:UNUSED_PAD src0_sel:WORD_0 src1_sel:DWORD
	v_mul_u32_u24_sdwa v20, v20, v82 dst_sel:DWORD dst_unused:UNUSED_PAD src0_sel:WORD_1 src1_sel:DWORD
	v_pk_fma_f16 v22, v8, v19, v6
	v_pk_fma_f16 v19, v9, v19, v7
	ds_read2_b64 v[6:9], v56 offset0:224 offset1:252
	s_waitcnt lgkmcnt(2)
	v_pk_fma_f16 v2, v2, v18, v22
	v_pk_fma_f16 v3, v3, v18, v19
	v_mul_u32_u24_sdwa v18, v21, v82 dst_sel:DWORD dst_unused:UNUSED_PAD src0_sel:WORD_0 src1_sel:DWORD
	v_mul_u32_u24_sdwa v21, v21, v82 dst_sel:DWORD dst_unused:UNUSED_PAD src0_sel:WORD_1 src1_sel:DWORD
	v_mul_u32_u24_sdwa v22, v11, v82 dst_sel:DWORD dst_unused:UNUSED_PAD src0_sel:WORD_0 src1_sel:DWORD
	v_pk_fma_f16 v19, v4, v20, v2
	v_pk_fma_f16 v20, v5, v20, v3
	ds_read2_b64 v[2:5], v85 offset0:24 offset1:52
	s_waitcnt lgkmcnt(2)
	v_pk_fma_f16 v14, v14, v18, v19
	v_pk_fma_f16 v15, v15, v18, v20
	v_mul_u32_u24_sdwa v18, v10, v82 dst_sel:DWORD dst_unused:UNUSED_PAD src0_sel:WORD_0 src1_sel:DWORD
	v_mul_u32_u24_sdwa v10, v10, v82 dst_sel:DWORD dst_unused:UNUSED_PAD src0_sel:WORD_1 src1_sel:DWORD
	v_pk_fma_f16 v19, v16, v21, v14
	v_pk_fma_f16 v20, v17, v21, v15
	ds_read2_b64 v[14:17], v85 offset0:80 offset1:108
	s_waitcnt lgkmcnt(2)
	v_pk_fma_f16 v6, v6, v18, v19
	v_pk_fma_f16 v7, v7, v18, v20
	ds_read2_b64 v[18:21], v85 offset0:136 offset1:164
	s_waitcnt lgkmcnt(0)
	s_barrier
	v_pk_fma_f16 v6, v8, v10, v6
	v_pk_fma_f16 v7, v9, v10, v7
	v_mul_u32_u24_sdwa v8, v11, v82 dst_sel:DWORD dst_unused:UNUSED_PAD src0_sel:WORD_1 src1_sel:DWORD
	buffer_gl0_inv
	s_load_dword s11, s[14:15], 0x4
	v_pk_fma_f16 v2, v2, v22, v6
	v_pk_fma_f16 v3, v3, v22, v7
	v_mul_u32_u24_sdwa v6, v12, v82 dst_sel:DWORD dst_unused:UNUSED_PAD src0_sel:WORD_0 src1_sel:DWORD
	v_pk_fma_f16 v2, v4, v8, v2
	v_pk_fma_f16 v3, v5, v8, v3
	v_mul_u32_u24_sdwa v4, v12, v82 dst_sel:DWORD dst_unused:UNUSED_PAD src0_sel:WORD_1 src1_sel:DWORD
	v_mul_u32_u24_sdwa v5, v13, v82 dst_sel:DWORD dst_unused:UNUSED_PAD src0_sel:WORD_0 src1_sel:DWORD
	v_pk_fma_f16 v2, v14, v6, v2
	v_pk_fma_f16 v3, v15, v6, v3
	;; [unrolled: 1-line block ×4, first 2 shown]
	v_mul_u32_u24_sdwa v4, v13, v82 dst_sel:DWORD dst_unused:UNUSED_PAD src0_sel:WORD_1 src1_sel:DWORD
	s_waitcnt lgkmcnt(0)
	s_lshl_b32 s11, s11, 5
	v_pk_fma_f16 v2, v18, v5, v2
	v_pk_fma_f16 v3, v19, v5, v3
	s_add_i32 s19, s11, s19
	s_cmp_lt_i32 s19, s36
	v_pk_fma_f16 v59, v20, v4, v2
	v_pk_fma_f16 v60, v21, v4, v3
	s_cbranch_scc0 .LBB65_32
; %bb.30:                               ;   in Loop: Header=BB65_10 Depth=1
	v_mov_b32_e32 v84, v67
	v_mov_b32_e32 v83, v65
	s_branch .LBB65_10
.LBB65_31:
	v_mov_b32_e32 v60, 0
	v_mov_b32_e32 v65, 0
	;; [unrolled: 1-line block ×4, first 2 shown]
.LBB65_32:
	s_cmp_gt_i32 s44, s19
	s_cbranch_scc1 .LBB65_35
; %bb.33:
	v_mbcnt_lo_u32_b32 v2, -1, 0
	v_mov_b32_e32 v73, 32
	v_xor_b32_e32 v53, 16, v2
	v_xor_b32_e32 v54, 8, v2
	;; [unrolled: 1-line block ×5, first 2 shown]
	s_cbranch_execz .LBB65_36
; %bb.34:
	v_mov_b32_e32 v43, v67
	v_mov_b32_e32 v57, v2
	s_branch .LBB65_57
.LBB65_35:
                                        ; implicit-def: $vgpr2
                                        ; implicit-def: $vgpr73
                                        ; implicit-def: $vgpr53
                                        ; implicit-def: $vgpr54
                                        ; implicit-def: $vgpr55
                                        ; implicit-def: $vgpr71
                                        ; implicit-def: $vgpr72
.LBB65_36:
	v_mul_lo_u32 v2, s23, v70
	s_mul_hi_i32 s9, s19, s23
	s_mul_i32 s8, s19, s23
	s_sub_i32 s36, s44, s19
	s_lshl_b64 s[14:15], s[8:9], 2
	v_cmp_gt_u32_e64 s9, 32, v70
	v_or_b32_e32 v8, 0x60, v66
	v_cmp_gt_i32_e64 s8, s36, v70
	v_ashrrev_i32_e32 v3, 31, v2
	s_add_u32 s37, s13, s14
	s_mov_b64 s[10:11], src_private_base
	s_addc_u32 s35, s35, s15
	v_lshlrev_b64 v[2:3], 2, v[2:3]
	s_and_saveexec_b32 s7, s9
	s_cbranch_execz .LBB65_38
; %bb.37:
	v_add_co_u32 v4, vcc_lo, s37, v2
	v_add_co_ci_u32_e64 v5, null, s35, v3, vcc_lo
	v_mov_b32_e32 v6, 0
	v_add_co_u32 v4, vcc_lo, 0x60, v4
	v_add_co_ci_u32_e64 v5, null, 0, v5, vcc_lo
	buffer_store_dword v6, off, s[0:3], 0
	buffer_store_dword v6, off, s[0:3], 0 offset:4
	buffer_store_dword v6, off, s[0:3], 0 offset:8
	buffer_store_dword v6, off, s[0:3], 0 offset:12
	v_cndmask_b32_e64 v4, 0, v4, s8
	v_cndmask_b32_e64 v5, s11, v5, s8
	flat_load_dwordx4 v[4:7], v[4:5]
	s_waitcnt vmcnt(0) lgkmcnt(0)
	ds_write_b128 v8, v[4:7]
.LBB65_38:
	s_or_b32 exec_lo, exec_lo, s7
	v_lshl_add_u32 v41, v1, 4, v69
	v_and_b32_e32 v6, 4, v61
	s_mov_b64 s[12:13], src_private_base
	v_mul_lo_u32 v4, s23, v41
	v_lshlrev_b32_e32 v7, 7, v41
	v_lshlrev_b32_e32 v51, 2, v6
	v_cmp_gt_u32_e64 s10, 32, v41
	v_cmp_gt_i32_e32 vcc_lo, s36, v41
	v_or3_b32 v9, v7, v51, 64
	v_ashrrev_i32_e32 v5, 31, v4
	v_lshlrev_b64 v[4:5], 2, v[4:5]
	s_and_saveexec_b32 s12, s10
	s_cbranch_execz .LBB65_40
; %bb.39:
	v_add_co_u32 v7, s7, s37, v4
	v_add_co_ci_u32_e64 v10, null, s35, v5, s7
	v_mov_b32_e32 v12, 0
	v_add_co_u32 v7, s7, v7, v51
	v_add_co_ci_u32_e64 v10, null, 0, v10, s7
	buffer_store_dword v12, off, s[0:3], 0
	buffer_store_dword v12, off, s[0:3], 0 offset:4
	buffer_store_dword v12, off, s[0:3], 0 offset:8
	;; [unrolled: 1-line block ×3, first 2 shown]
	v_add_co_u32 v7, s7, v7, 64
	v_add_co_ci_u32_e64 v10, null, 0, v10, s7
	v_cndmask_b32_e32 v11, s13, v10, vcc_lo
	v_cndmask_b32_e32 v10, 0, v7, vcc_lo
	flat_load_dwordx4 v[10:13], v[10:11]
	s_waitcnt vmcnt(0) lgkmcnt(0)
	ds_write_b128 v9, v[10:13]
.LBB65_40:
	s_or_b32 exec_lo, exec_lo, s12
	v_lshl_add_u32 v50, v1, 3, v68
	v_and_b32_e32 v7, 12, v61
	s_mov_b64 s[14:15], src_private_base
	v_mov_b32_e32 v13, 0
	buffer_store_dword v13, off, s[0:3], 0
	buffer_store_dword v13, off, s[0:3], 0 offset:4
	buffer_store_dword v13, off, s[0:3], 0 offset:8
	;; [unrolled: 1-line block ×3, first 2 shown]
	v_mul_lo_u32 v10, s23, v50
	v_lshlrev_b32_e32 v52, 2, v7
	v_lshl_or_b32 v12, v50, 7, v52
	v_ashrrev_i32_e32 v11, 31, v10
	v_lshlrev_b64 v[10:11], 2, v[10:11]
	v_add_co_u32 v7, s7, s37, v10
	v_add_co_ci_u32_e64 v11, null, s35, v11, s7
	v_add_co_u32 v10, s7, v7, v52
	v_add_co_ci_u32_e64 v11, null, 0, v11, s7
	v_cmp_gt_i32_e64 s7, s36, v50
	v_mov_b32_e32 v7, 0
	v_cndmask_b32_e64 v15, s15, v11, s7
	v_cndmask_b32_e64 v14, 0, v10, s7
	flat_load_dwordx4 v[14:17], v[14:15]
	s_waitcnt vmcnt(0) lgkmcnt(0)
	ds_write_b128 v12, v[14:17]
	s_waitcnt lgkmcnt(0)
	s_waitcnt_vscnt null, 0x0
	s_barrier
	buffer_gl0_inv
	ds_read_b128 v[14:17], v66
	ds_read_b128 v[18:21], v64
	s_waitcnt lgkmcnt(0)
	;;#ASMSTART
	v_dot2_f32_f16 v7, v14, v18, v7
	;;#ASMEND
	;;#ASMSTART
	v_dot2_f32_f16 v7, v15, v19, v7
	;;#ASMEND
	;;#ASMSTART
	v_dot2_f32_f16 v7, v16, v20, v7
	;;#ASMEND
	;;#ASMSTART
	v_dot2_f32_f16 v7, v17, v21, v7
	;;#ASMEND
	ds_read_b128 v[14:17], v66 offset:16
	ds_read_b128 v[18:21], v64 offset:16
	s_waitcnt lgkmcnt(0)
	;;#ASMSTART
	v_dot2_f32_f16 v7, v14, v18, v7
	;;#ASMEND
	;;#ASMSTART
	v_dot2_f32_f16 v7, v15, v19, v7
	;;#ASMEND
	;;#ASMSTART
	v_dot2_f32_f16 v7, v16, v20, v7
	;;#ASMEND
	;;#ASMSTART
	v_dot2_f32_f16 v7, v17, v21, v7
	;;#ASMEND
	ds_read_b128 v[14:17], v66 offset:32
	ds_read_b128 v[18:21], v64 offset:32
	;; [unrolled: 15-line block ×6, first 2 shown]
	s_waitcnt lgkmcnt(0)
	;;#ASMSTART
	v_dot2_f32_f16 v7, v14, v18, v7
	;;#ASMEND
	;;#ASMSTART
	v_dot2_f32_f16 v7, v15, v19, v7
	;;#ASMEND
	;; [unrolled: 3-line block ×4, first 2 shown]
	s_barrier
	buffer_gl0_inv
	s_and_saveexec_b32 s12, s9
	s_cbranch_execz .LBB65_42
; %bb.41:
	v_add_co_u32 v2, s9, s37, v2
	v_add_co_ci_u32_e64 v3, null, s35, v3, s9
	buffer_store_dword v13, off, s[0:3], 0
	buffer_store_dword v13, off, s[0:3], 0 offset:4
	buffer_store_dword v13, off, s[0:3], 0 offset:8
	;; [unrolled: 1-line block ×3, first 2 shown]
	v_add_co_u32 v2, s9, 0xd0, v2
	v_add_co_ci_u32_e64 v3, null, 0, v3, s9
	v_cndmask_b32_e64 v2, 0, v2, s8
	v_cndmask_b32_e64 v3, s11, v3, s8
	flat_load_dwordx4 v[13:16], v[2:3]
	s_waitcnt vmcnt(0) lgkmcnt(0)
	ds_write_b128 v8, v[13:16]
.LBB65_42:
	s_or_b32 exec_lo, exec_lo, s12
	s_and_saveexec_b32 s9, s10
	s_cbranch_execz .LBB65_44
; %bb.43:
	v_add_co_u32 v2, s8, s37, v4
	v_add_co_ci_u32_e64 v3, null, s35, v5, s8
	v_mov_b32_e32 v4, 0
	v_add_co_u32 v2, s8, v2, v51
	v_add_co_ci_u32_e64 v3, null, 0, v3, s8
	buffer_store_dword v4, off, s[0:3], 0
	buffer_store_dword v4, off, s[0:3], 0 offset:4
	buffer_store_dword v4, off, s[0:3], 0 offset:8
	;; [unrolled: 1-line block ×3, first 2 shown]
	v_add_co_u32 v2, s8, 0xb0, v2
	v_add_co_ci_u32_e64 v3, null, 0, v3, s8
	v_cndmask_b32_e32 v2, 0, v2, vcc_lo
	v_cndmask_b32_e32 v3, s13, v3, vcc_lo
	flat_load_dwordx4 v[2:5], v[2:3]
	s_waitcnt vmcnt(0) lgkmcnt(0)
	ds_write_b128 v9, v[2:5]
.LBB65_44:
	s_or_b32 exec_lo, exec_lo, s9
	v_add_co_u32 v3, s8, 0x70, v10
	v_add_co_ci_u32_e64 v4, null, 0, v11, s8
	v_mov_b32_e32 v2, 0
	v_cndmask_b32_e64 v3, 0, v3, s7
	buffer_store_dword v2, off, s[0:3], 0
	buffer_store_dword v2, off, s[0:3], 0 offset:4
	buffer_store_dword v2, off, s[0:3], 0 offset:8
	;; [unrolled: 1-line block ×3, first 2 shown]
	v_cndmask_b32_e64 v4, s15, v4, s7
	s_mov_b32 s9, exec_lo
	flat_load_dwordx4 v[8:11], v[3:4]
	v_mov_b32_e32 v3, v67
	s_waitcnt vmcnt(0) lgkmcnt(0)
	ds_write_b128 v12, v[8:11]
	s_waitcnt lgkmcnt(0)
	s_waitcnt_vscnt null, 0x0
	s_barrier
	buffer_gl0_inv
	ds_read_b128 v[8:11], v66
	ds_read_b128 v[12:15], v64 offset:112
	s_waitcnt lgkmcnt(0)
	;;#ASMSTART
	v_dot2_f32_f16 v7, v8, v12, v7
	;;#ASMEND
	;;#ASMSTART
	v_dot2_f32_f16 v7, v9, v13, v7
	;;#ASMEND
	;;#ASMSTART
	v_dot2_f32_f16 v7, v10, v14, v7
	;;#ASMEND
	;;#ASMSTART
	v_dot2_f32_f16 v7, v11, v15, v7
	;;#ASMEND
	ds_read_b128 v[8:11], v66 offset:16
	ds_read_b128 v[12:15], v64 offset:128
	s_waitcnt lgkmcnt(0)
	;;#ASMSTART
	v_dot2_f32_f16 v7, v8, v12, v7
	;;#ASMEND
	;;#ASMSTART
	v_dot2_f32_f16 v7, v9, v13, v7
	;;#ASMEND
	;;#ASMSTART
	v_dot2_f32_f16 v7, v10, v14, v7
	;;#ASMEND
	;;#ASMSTART
	v_dot2_f32_f16 v7, v11, v15, v7
	;;#ASMEND
	ds_read_b128 v[8:11], v66 offset:32
	;; [unrolled: 15-line block ×6, first 2 shown]
	ds_read_b128 v[12:15], v64 offset:208
	s_waitcnt lgkmcnt(0)
	;;#ASMSTART
	v_dot2_f32_f16 v7, v8, v12, v7
	;;#ASMEND
	;;#ASMSTART
	v_dot2_f32_f16 v7, v9, v13, v7
	;;#ASMEND
	;; [unrolled: 3-line block ×4, first 2 shown]
	v_cmpx_gt_i32_e64 s36, v0
	s_cbranch_execz .LBB65_48
; %bb.45:
	s_cmp_eq_u64 s[42:43], 0
	s_cbranch_scc1 .LBB65_47
; %bb.46:
	v_mul_hi_u32 v2, s28, v42
	v_add_nc_u32_e32 v2, v42, v2
	v_lshrrev_b32_e32 v2, s29, v2
	v_mul_lo_u32 v2, v2, s30
	v_sub_nc_u32_e32 v2, v42, v2
	v_mul_lo_u32 v2, v2, s22
	v_add3_u32 v2, v2, v0, s19
	v_ashrrev_i32_e32 v3, 31, v2
	v_lshlrev_b64 v[2:3], 1, v[2:3]
	v_add_co_u32 v2, s8, s42, v2
	v_add_co_ci_u32_e64 v3, null, s43, v3, s8
	global_load_ushort v2, v[2:3], off
	s_waitcnt vmcnt(0)
	v_cvt_f32_f16_e32 v2, v2
	v_mul_f32_e32 v2, v63, v2
.LBB65_47:
	v_add_f32_e32 v7, v7, v2
	v_max_f32_e32 v3, v67, v67
	v_add_f32_e32 v2, 0x40051340, v7
	v_max_f32_e32 v3, v3, v2
.LBB65_48:
	s_or_b32 exec_lo, exec_lo, s9
	v_xor_b32_e32 v53, 16, v57
	v_xor_b32_e32 v54, 8, v57
	;; [unrolled: 1-line block ×5, first 2 shown]
	v_cmp_gt_i32_e64 s8, 32, v53
	v_cmp_gt_u32_e64 s9, s36, v0
	s_mul_hi_i32 s13, s19, s18
	s_mul_i32 s12, s19, s18
	v_mov_b32_e32 v73, 32
	v_cndmask_b32_e64 v2, v57, v53, s8
	v_cmp_gt_i32_e64 s8, 32, v54
	s_lshl_b64 s[12:13], s[12:13], 2
	s_mov_b64 s[10:11], src_private_base
	s_add_u32 s10, s16, s12
	v_lshlrev_b32_e32 v2, 2, v2
	v_cndmask_b32_e64 v4, v57, v54, s8
	v_cmp_gt_i32_e64 s8, 32, v55
	s_addc_u32 s22, s17, s13
	ds_bpermute_b32 v2, v2, v3
	v_max_f32_e32 v3, v3, v3
	v_lshlrev_b32_e32 v4, 2, v4
	s_barrier
	s_waitcnt lgkmcnt(0)
	buffer_gl0_inv
	v_max_f32_e32 v2, v2, v2
	v_max_f32_e32 v2, v3, v2
	ds_bpermute_b32 v3, v4, v2
	v_cndmask_b32_e64 v4, v57, v55, s8
	v_cmp_gt_i32_e64 s8, 32, v71
	v_lshlrev_b32_e32 v4, 2, v4
	s_waitcnt lgkmcnt(0)
	v_max_f32_e32 v3, v3, v3
	v_max_f32_e32 v2, v2, v3
	ds_bpermute_b32 v3, v4, v2
	v_cndmask_b32_e64 v4, v57, v71, s8
	v_cmp_gt_i32_e64 s8, 32, v72
	v_lshlrev_b32_e32 v4, 2, v4
	s_waitcnt lgkmcnt(0)
	v_max_f32_e32 v3, v3, v3
	v_max_f32_e32 v2, v2, v3
	ds_bpermute_b32 v3, v4, v2
	v_cndmask_b32_e64 v4, v57, v72, s8
	v_lshlrev_b32_e32 v4, 2, v4
	s_waitcnt lgkmcnt(0)
	v_max_f32_e32 v3, v3, v3
	v_max_f32_e32 v2, v2, v3
	ds_bpermute_b32 v3, v4, v2
	s_waitcnt lgkmcnt(0)
	v_max_f32_e32 v3, v3, v3
	v_max_f32_e32 v43, v2, v3
	v_sub_f32_e32 v3, v7, v43
	v_mul_f32_e32 v2, 0x3fb8aa3b, v3
	v_cmp_ngt_f32_e64 s8, 0xc2ce8ed0, v3
	v_fma_f32 v4, 0x3fb8aa3b, v3, -v2
	v_rndne_f32_e32 v5, v2
	v_fmamk_f32 v4, v3, 0x32a5705f, v4
	v_sub_f32_e32 v2, v2, v5
	v_add_f32_e32 v2, v2, v4
	v_cvt_i32_f32_e32 v4, v5
	v_mul_u32_u24_e32 v5, 0xe0, v41
	v_exp_f32_e32 v2, v2
	v_lshl_or_b32 v5, v6, 2, v5
	v_add_nc_u32_e32 v64, 0xc0, v5
	v_ldexp_f32 v2, v2, v4
	v_cndmask_b32_e64 v4, 0, v2, s8
	v_cmp_nlt_f32_e64 s8, 0x42b17218, v3
	v_mul_lo_u32 v2, s18, v41
	v_cndmask_b32_e64 v3, 0x7f800000, v4, s8
	v_lshl_add_u32 v4, v0, 1, v58
	v_cmp_gt_u32_e64 s8, 16, v41
	v_cndmask_b32_e64 v63, 0, v3, s9
	v_ashrrev_i32_e32 v3, 31, v2
	v_cvt_f16_f32_e32 v5, v63
	v_lshlrev_b64 v[48:49], 2, v[2:3]
	ds_write_b16 v4, v5
	s_and_saveexec_b32 s12, s8
	s_cbranch_execz .LBB65_50
; %bb.49:
	v_add_co_u32 v2, s9, s10, v48
	v_add_co_ci_u32_e64 v3, null, s22, v49, s9
	v_mov_b32_e32 v4, 0
	v_add_co_u32 v2, s9, v2, v51
	v_add_co_ci_u32_e64 v3, null, 0, v3, s9
	buffer_store_dword v4, off, s[0:3], 0
	buffer_store_dword v4, off, s[0:3], 0 offset:4
	buffer_store_dword v4, off, s[0:3], 0 offset:8
	;; [unrolled: 1-line block ×3, first 2 shown]
	v_add_co_u32 v2, s9, 0xc0, v2
	v_add_co_ci_u32_e64 v3, null, 0, v3, s9
	v_cndmask_b32_e32 v2, 0, v2, vcc_lo
	v_cndmask_b32_e32 v3, s11, v3, vcc_lo
	flat_load_dwordx4 v[2:5], v[2:3]
	s_waitcnt vmcnt(0) lgkmcnt(0)
	ds_write_b128 v64, v[2:5]
.LBB65_50:
	s_or_b32 exec_lo, exec_lo, s12
	v_mul_lo_u32 v2, s18, v50
	v_mul_u32_u24_e32 v4, 0xe0, v50
	v_cmp_gt_u32_e32 vcc_lo, 16, v50
	s_mov_b64 s[14:15], src_private_base
	v_add3_u32 v66, v4, v52, 0x80
	v_ashrrev_i32_e32 v3, 31, v2
	v_lshlrev_b64 v[46:47], 2, v[2:3]
	s_and_saveexec_b32 s12, vcc_lo
	s_cbranch_execz .LBB65_52
; %bb.51:
	v_add_co_u32 v2, s9, s10, v46
	v_add_co_ci_u32_e64 v3, null, s22, v47, s9
	v_mov_b32_e32 v4, 0
	v_add_co_u32 v2, s9, v2, v52
	v_add_co_ci_u32_e64 v3, null, 0, v3, s9
	buffer_store_dword v4, off, s[0:3], 0
	buffer_store_dword v4, off, s[0:3], 0 offset:4
	buffer_store_dword v4, off, s[0:3], 0 offset:8
	;; [unrolled: 1-line block ×3, first 2 shown]
	v_add_co_u32 v2, s9, 0x80, v2
	v_add_co_ci_u32_e64 v3, null, 0, v3, s9
	v_cndmask_b32_e64 v2, 0, v2, s7
	v_cndmask_b32_e64 v3, s15, v3, s7
	flat_load_dwordx4 v[2:5], v[2:3]
	s_waitcnt vmcnt(0) lgkmcnt(0)
	ds_write_b128 v66, v[2:5]
.LBB65_52:
	s_or_b32 exec_lo, exec_lo, s12
	v_lshl_add_u32 v62, v1, 2, v62
	v_and_b32_e32 v3, 28, v61
	s_mov_b64 s[12:13], src_private_base
	v_mov_b32_e32 v69, 0
	v_sub_f32_e32 v61, v67, v43
	v_mul_lo_u32 v1, s18, v62
	v_lshlrev_b32_e32 v68, 2, v3
	buffer_store_dword v69, off, s[0:3], 0
	buffer_store_dword v69, off, s[0:3], 0 offset:4
	buffer_store_dword v69, off, s[0:3], 0 offset:8
	;; [unrolled: 1-line block ×3, first 2 shown]
	v_mul_f32_e32 v5, 0x3fb8aa3b, v61
	v_add_nc_u32_e32 v70, 0x800, v56
	v_mad_u32_u24 v67, 0xe0, v62, v68
	v_ashrrev_i32_e32 v2, 31, v1
	v_fma_f32 v6, 0x3fb8aa3b, v61, -v5
	v_rndne_f32_e32 v7, v5
	v_lshlrev_b64 v[44:45], 2, v[1:2]
	v_fmamk_f32 v6, v61, 0x32a5705f, v6
	v_sub_f32_e32 v5, v5, v7
	v_add_co_u32 v1, s7, s10, v44
	v_add_co_ci_u32_e64 v2, null, s22, v45, s7
	v_add_f32_e32 v5, v5, v6
	v_add_co_u32 v1, s7, v1, v68
	v_add_co_ci_u32_e64 v2, null, 0, v2, s7
	v_cmp_gt_i32_e64 s7, s36, v62
	v_exp_f32_e32 v5, v5
	v_cvt_i32_f32_e32 v6, v7
	v_cndmask_b32_e64 v2, s13, v2, s7
	v_cndmask_b32_e64 v1, 0, v1, s7
	v_cmp_ngt_f32_e64 s7, 0xc2ce8ed0, v61
	flat_load_dwordx4 v[1:4], v[1:2]
	v_ldexp_f32 v5, v5, v6
	v_cndmask_b32_e64 v74, 0, v5, s7
	v_cmp_nlt_f32_e64 s7, 0x42b17218, v61
	v_cndmask_b32_e64 v61, 0x7f800000, v74, s7
	s_or_b32 s7, s19, 16
	s_mul_hi_i32 s19, s7, s18
	s_mul_i32 s18, s7, s18
	s_lshl_b64 s[18:19], s[18:19], 2
	s_add_u32 s9, s16, s18
	s_addc_u32 s10, s17, s19
	s_add_i32 s36, s36, -16
	s_waitcnt vmcnt(0) lgkmcnt(0)
	ds_write_b128 v67, v[1:4]
	s_waitcnt lgkmcnt(0)
	s_waitcnt_vscnt null, 0x0
	s_barrier
	buffer_gl0_inv
	ds_read2_b64 v[29:32], v56 offset1:28
	ds_read_b128 v[37:40], v58
	ds_read_b128 v[33:36], v58 offset:16
	ds_read2_b64 v[25:28], v56 offset0:56 offset1:84
	ds_read2_b64 v[21:24], v56 offset0:112 offset1:140
	;; [unrolled: 1-line block ×7, first 2 shown]
	v_cvt_f16_f32_e32 v70, v61
	s_waitcnt lgkmcnt(0)
	s_barrier
	buffer_gl0_inv
	s_and_saveexec_b32 s12, s8
	s_cbranch_execz .LBB65_54
; %bb.53:
	v_add_co_u32 v48, s7, s9, v48
	v_add_co_ci_u32_e64 v49, null, s10, v49, s7
	buffer_store_dword v69, off, s[0:3], 0
	buffer_store_dword v69, off, s[0:3], 0 offset:4
	buffer_store_dword v69, off, s[0:3], 0 offset:8
	;; [unrolled: 1-line block ×3, first 2 shown]
	v_add_co_u32 v48, s7, v48, v51
	v_add_co_ci_u32_e64 v49, null, 0, v49, s7
	v_add_co_u32 v48, s7, 0xc0, v48
	v_add_co_ci_u32_e64 v49, null, 0, v49, s7
	v_cmp_gt_i32_e64 s7, s36, v41
	v_cndmask_b32_e64 v49, s11, v49, s7
	v_cndmask_b32_e64 v48, 0, v48, s7
	flat_load_dwordx4 v[74:77], v[48:49]
	s_waitcnt vmcnt(0) lgkmcnt(0)
	ds_write_b128 v64, v[74:77]
.LBB65_54:
	s_or_b32 exec_lo, exec_lo, s12
	v_mov_b32_e32 v41, 0x10001
	v_mul_u32_u24_sdwa v75, v70, v41 dst_sel:DWORD dst_unused:UNUSED_PAD src0_sel:WORD_0 src1_sel:DWORD
	v_mul_u32_u24_sdwa v77, v37, v41 dst_sel:DWORD dst_unused:UNUSED_PAD src0_sel:WORD_0 src1_sel:DWORD
	v_mul_u32_u24_sdwa v76, v37, v41 dst_sel:DWORD dst_unused:UNUSED_PAD src0_sel:WORD_1 src1_sel:DWORD
	v_mul_u32_u24_sdwa v74, v38, v41 dst_sel:DWORD dst_unused:UNUSED_PAD src0_sel:WORD_0 src1_sel:DWORD
	v_mul_u32_u24_sdwa v70, v38, v41 dst_sel:DWORD dst_unused:UNUSED_PAD src0_sel:WORD_1 src1_sel:DWORD
	;; [unrolled: 2-line block ×8, first 2 shown]
	s_and_saveexec_b32 s7, vcc_lo
	s_cbranch_execz .LBB65_56
; %bb.55:
	v_add_co_u32 v36, vcc_lo, s9, v46
	v_add_co_ci_u32_e64 v46, null, s10, v47, vcc_lo
	v_add_co_u32 v36, vcc_lo, v36, v52
	v_add_co_ci_u32_e64 v46, null, 0, v46, vcc_lo
	;; [unrolled: 2-line block ×3, first 2 shown]
	v_cmp_gt_i32_e32 vcc_lo, s36, v50
	v_mov_b32_e32 v50, 0
	buffer_store_dword v50, off, s[0:3], 0
	buffer_store_dword v50, off, s[0:3], 0 offset:4
	buffer_store_dword v50, off, s[0:3], 0 offset:8
	;; [unrolled: 1-line block ×3, first 2 shown]
	v_cndmask_b32_e32 v47, s15, v46, vcc_lo
	v_cndmask_b32_e32 v46, 0, v36, vcc_lo
	flat_load_dwordx4 v[78:81], v[46:47]
	s_waitcnt vmcnt(0) lgkmcnt(0)
	ds_write_b128 v66, v[78:81]
.LBB65_56:
	s_or_b32 exec_lo, exec_lo, s7
	v_add_co_u32 v36, vcc_lo, s9, v44
	v_add_co_ci_u32_e64 v44, null, s10, v45, vcc_lo
	v_mov_b32_e32 v46, 0
	v_add_co_u32 v36, vcc_lo, v36, v68
	v_add_co_ci_u32_e64 v44, null, 0, v44, vcc_lo
	v_cmp_gt_i32_e32 vcc_lo, s36, v62
	buffer_store_dword v46, off, s[0:3], 0
	buffer_store_dword v46, off, s[0:3], 0 offset:4
	buffer_store_dword v46, off, s[0:3], 0 offset:8
	;; [unrolled: 1-line block ×3, first 2 shown]
	v_pk_mul_f16 v29, v29, v77
	v_pk_mul_f16 v30, v30, v77
	v_fmac_f32_e32 v63, v65, v61
	v_cndmask_b32_e32 v45, s13, v44, vcc_lo
	v_cndmask_b32_e32 v44, 0, v36, vcc_lo
	v_pk_fma_f16 v29, v59, v75, v29
	v_pk_fma_f16 v30, v60, v75, v30
	v_mov_b32_e32 v65, v63
	flat_load_dwordx4 v[44:47], v[44:45]
	v_pk_fma_f16 v29, v31, v76, v29
	v_pk_fma_f16 v30, v32, v76, v30
	;; [unrolled: 1-line block ×30, first 2 shown]
	s_waitcnt vmcnt(0) lgkmcnt(0)
	ds_write_b128 v67, v[44:47]
	s_waitcnt lgkmcnt(0)
	s_waitcnt_vscnt null, 0x0
	s_barrier
	buffer_gl0_inv
	ds_read_b128 v[13:16], v58 offset:32
	ds_read_b128 v[17:20], v58 offset:48
	ds_read2_b64 v[9:12], v56 offset1:28
	ds_read2_b64 v[5:8], v56 offset0:56 offset1:84
	ds_read2_b64 v[1:4], v56 offset0:112 offset1:140
	s_waitcnt lgkmcnt(4)
	v_mul_u32_u24_sdwa v22, v13, v41 dst_sel:DWORD dst_unused:UNUSED_PAD src0_sel:WORD_0 src1_sel:DWORD
	v_mul_u32_u24_sdwa v13, v13, v41 dst_sel:DWORD dst_unused:UNUSED_PAD src0_sel:WORD_1 src1_sel:DWORD
	s_waitcnt lgkmcnt(2)
	v_pk_fma_f16 v9, v9, v22, v21
	v_pk_fma_f16 v10, v10, v22, v23
	v_mul_u32_u24_sdwa v21, v14, v41 dst_sel:DWORD dst_unused:UNUSED_PAD src0_sel:WORD_0 src1_sel:DWORD
	v_mul_u32_u24_sdwa v14, v14, v41 dst_sel:DWORD dst_unused:UNUSED_PAD src0_sel:WORD_1 src1_sel:DWORD
	v_pk_fma_f16 v22, v11, v13, v9
	v_pk_fma_f16 v13, v12, v13, v10
	ds_read2_b64 v[9:12], v56 offset0:168 offset1:196
	s_waitcnt lgkmcnt(2)
	v_pk_fma_f16 v5, v5, v21, v22
	v_pk_fma_f16 v6, v6, v21, v13
	v_mul_u32_u24_sdwa v13, v15, v41 dst_sel:DWORD dst_unused:UNUSED_PAD src0_sel:WORD_0 src1_sel:DWORD
	v_mul_u32_u24_sdwa v15, v15, v41 dst_sel:DWORD dst_unused:UNUSED_PAD src0_sel:WORD_1 src1_sel:DWORD
	v_pk_fma_f16 v21, v7, v14, v5
	v_pk_fma_f16 v14, v8, v14, v6
	ds_read2_b64 v[5:8], v56 offset0:224 offset1:252
	s_waitcnt lgkmcnt(2)
	v_pk_fma_f16 v1, v1, v13, v21
	v_pk_fma_f16 v2, v2, v13, v14
	v_add_nc_u32_e32 v13, 0x800, v56
	v_mul_u32_u24_sdwa v14, v16, v41 dst_sel:DWORD dst_unused:UNUSED_PAD src0_sel:WORD_0 src1_sel:DWORD
	v_mul_u32_u24_sdwa v16, v16, v41 dst_sel:DWORD dst_unused:UNUSED_PAD src0_sel:WORD_1 src1_sel:DWORD
	v_pk_fma_f16 v21, v3, v15, v1
	v_pk_fma_f16 v15, v4, v15, v2
	ds_read2_b64 v[1:4], v13 offset0:24 offset1:52
	s_waitcnt lgkmcnt(2)
	v_pk_fma_f16 v9, v9, v14, v21
	v_pk_fma_f16 v10, v10, v14, v15
	v_mul_u32_u24_sdwa v14, v17, v41 dst_sel:DWORD dst_unused:UNUSED_PAD src0_sel:WORD_0 src1_sel:DWORD
	v_mul_u32_u24_sdwa v17, v17, v41 dst_sel:DWORD dst_unused:UNUSED_PAD src0_sel:WORD_1 src1_sel:DWORD
	v_pk_fma_f16 v15, v11, v16, v9
	v_pk_fma_f16 v16, v12, v16, v10
	ds_read2_b64 v[9:12], v13 offset0:80 offset1:108
	s_waitcnt lgkmcnt(2)
	v_pk_fma_f16 v5, v5, v14, v15
	v_pk_fma_f16 v6, v6, v14, v16
	v_mul_u32_u24_sdwa v14, v18, v41 dst_sel:DWORD dst_unused:UNUSED_PAD src0_sel:WORD_0 src1_sel:DWORD
	v_pk_fma_f16 v15, v7, v17, v5
	v_pk_fma_f16 v16, v8, v17, v6
	ds_read2_b64 v[5:8], v13 offset0:136 offset1:164
	v_mul_u32_u24_sdwa v13, v18, v41 dst_sel:DWORD dst_unused:UNUSED_PAD src0_sel:WORD_1 src1_sel:DWORD
	s_waitcnt lgkmcnt(0)
	v_pk_fma_f16 v1, v1, v14, v15
	v_pk_fma_f16 v2, v2, v14, v16
	v_mul_u32_u24_sdwa v14, v19, v41 dst_sel:DWORD dst_unused:UNUSED_PAD src0_sel:WORD_0 src1_sel:DWORD
	s_barrier
	buffer_gl0_inv
	v_pk_fma_f16 v1, v3, v13, v1
	v_pk_fma_f16 v2, v4, v13, v2
	v_mul_u32_u24_sdwa v3, v19, v41 dst_sel:DWORD dst_unused:UNUSED_PAD src0_sel:WORD_1 src1_sel:DWORD
	v_mul_u32_u24_sdwa v4, v20, v41 dst_sel:DWORD dst_unused:UNUSED_PAD src0_sel:WORD_0 src1_sel:DWORD
	v_pk_fma_f16 v1, v9, v14, v1
	v_pk_fma_f16 v2, v10, v14, v2
	;; [unrolled: 1-line block ×4, first 2 shown]
	v_mul_u32_u24_sdwa v3, v20, v41 dst_sel:DWORD dst_unused:UNUSED_PAD src0_sel:WORD_1 src1_sel:DWORD
	v_pk_fma_f16 v1, v5, v4, v1
	v_pk_fma_f16 v2, v6, v4, v2
	;; [unrolled: 1-line block ×4, first 2 shown]
.LBB65_57:
	v_cmp_lt_i32_e32 vcc_lo, v53, v73
	s_cmp_eq_u64 s[20:21], 0
	s_cselect_b32 s7, -1, 0
	s_cmp_lg_u32 s34, 0
	v_cndmask_b32_e32 v1, v57, v53, vcc_lo
	v_cmp_lt_i32_e32 vcc_lo, v54, v73
	s_cselect_b32 s8, -1, 0
	s_or_b32 s7, s8, s7
	v_lshlrev_b32_e32 v1, 2, v1
	v_cndmask_b32_e32 v2, v57, v54, vcc_lo
	v_cmp_lt_i32_e32 vcc_lo, v55, v73
	ds_bpermute_b32 v1, v1, v65
	v_lshlrev_b32_e32 v2, 2, v2
	v_cndmask_b32_e32 v3, v57, v55, vcc_lo
	v_cmp_lt_i32_e32 vcc_lo, v71, v73
	v_lshlrev_b32_e32 v3, 2, v3
	s_waitcnt lgkmcnt(0)
	v_add_f32_e32 v1, v65, v1
	ds_bpermute_b32 v2, v2, v1
	s_waitcnt lgkmcnt(0)
	v_add_f32_e32 v1, v1, v2
	ds_bpermute_b32 v2, v3, v1
	v_cndmask_b32_e32 v3, v57, v71, vcc_lo
	v_cmp_lt_i32_e32 vcc_lo, v72, v73
	v_lshlrev_b32_e32 v3, 2, v3
	s_waitcnt lgkmcnt(0)
	v_add_f32_e32 v1, v1, v2
	ds_bpermute_b32 v2, v3, v1
	v_cndmask_b32_e32 v3, v57, v72, vcc_lo
	s_and_b32 vcc_lo, exec_lo, s7
	v_lshlrev_b32_e32 v3, 2, v3
	s_waitcnt lgkmcnt(0)
	v_add_f32_e32 v1, v1, v2
	ds_bpermute_b32 v2, v3, v1
	s_waitcnt lgkmcnt(0)
	v_add_f32_e32 v44, v1, v2
	s_cbranch_vccnz .LBB65_59
; %bb.58:
	s_lshl_b64 s[8:9], s[40:41], 2
	v_mov_b32_e32 v1, 0
	s_add_u32 s8, s20, s8
	s_addc_u32 s9, s21, s9
	v_max_f32_e32 v2, v43, v43
	global_load_dword v1, v1, s[8:9]
	s_waitcnt vmcnt(0)
	v_max_f32_e32 v3, v1, v1
	v_max_f32_e32 v2, v2, v3
	v_sub_f32_e32 v3, v43, v2
	v_sub_f32_e32 v1, v1, v2
	v_mov_b32_e32 v43, v2
	v_mul_f32_e32 v4, 0x3fb8aa3b, v3
	v_mul_f32_e32 v5, 0x3fb8aa3b, v1
	v_cmp_ngt_f32_e32 vcc_lo, 0xc2ce8ed0, v3
	v_fma_f32 v6, 0x3fb8aa3b, v3, -v4
	v_rndne_f32_e32 v7, v4
	v_fma_f32 v8, 0x3fb8aa3b, v1, -v5
	v_rndne_f32_e32 v9, v5
	v_fmac_f32_e32 v6, 0x32a5705f, v3
	v_sub_f32_e32 v4, v4, v7
	v_fmac_f32_e32 v8, 0x32a5705f, v1
	v_sub_f32_e32 v5, v5, v9
	v_add_f32_e32 v4, v4, v6
	v_cvt_i32_f32_e32 v6, v7
	v_add_f32_e32 v5, v5, v8
	v_cvt_i32_f32_e32 v7, v9
	v_exp_f32_e32 v4, v4
	v_exp_f32_e32 v5, v5
	v_ldexp_f32 v4, v4, v6
	v_ldexp_f32 v5, v5, v7
	v_cndmask_b32_e32 v4, 0, v4, vcc_lo
	v_cmp_ngt_f32_e32 vcc_lo, 0xc2ce8ed0, v1
	v_cndmask_b32_e32 v5, 0, v5, vcc_lo
	v_cmp_nlt_f32_e32 vcc_lo, 0x42b17218, v3
	v_cndmask_b32_e32 v3, 0x7f800000, v4, vcc_lo
	v_cmp_nlt_f32_e32 vcc_lo, 0x42b17218, v1
	v_mov_b32_e32 v4, 0x10001
	v_cndmask_b32_e32 v1, 0x7f800000, v5, vcc_lo
	v_cvt_f16_f32_e32 v5, v3
	v_fmac_f32_e32 v1, v44, v3
	v_mul_u32_u24_sdwa v3, v5, v4 dst_sel:DWORD dst_unused:UNUSED_PAD src0_sel:WORD_0 src1_sel:DWORD
	v_mov_b32_e32 v44, v1
	v_pk_mul_f16 v59, v59, v3
	v_pk_mul_f16 v60, v60, v3
.LBB65_59:
	s_mov_b32 s7, exec_lo
	v_cmpx_gt_i32_e64 s30, v42
	s_cbranch_execz .LBB65_64
; %bb.60:
	s_load_dword s4, s[4:5], 0xd4
	v_mad_u64_u32 v[1:2], null, s33, s30, v[42:43]
	v_mad_u64_u32 v[1:2], null, v1, s31, s[40:41]
	s_waitcnt lgkmcnt(0)
	v_mad_u64_u32 v[1:2], null, s4, v1, s[34:35]
	s_cmp_lg_u32 s4, 1
	s_cselect_b32 s4, -1, 0
	s_and_saveexec_b32 s5, s6
	s_cbranch_execz .LBB65_62
; %bb.61:
	v_div_scale_f32 v2, null, v44, v44, 1.0
	v_div_scale_f32 v5, vcc_lo, 1.0, v44, 1.0
	v_cvt_f32_f16_sdwa v8, v60 dst_sel:DWORD dst_unused:UNUSED_PAD src0_sel:WORD_1
	v_rcp_f32_e32 v3, v2
	v_cvt_f32_f16_sdwa v10, v59 dst_sel:DWORD dst_unused:UNUSED_PAD src0_sel:WORD_1
	v_cvt_f32_f16_e32 v11, v59
	v_fma_f32 v4, -v2, v3, 1.0
	v_fmac_f32_e32 v3, v4, v3
	v_mul_f32_e32 v4, v5, v3
	v_fma_f32 v6, -v2, v4, v5
	v_fmac_f32_e32 v4, v6, v3
	v_fma_f32 v2, -v2, v4, v5
	v_div_fmas_f32 v2, v2, v3, v4
	v_mul_lo_u32 v4, 0x70, v1
	v_mov_b32_e32 v3, 0
	v_div_fixup_f32 v5, v2, v44, 1.0
	v_lshl_add_u32 v2, v0, 2, v4
	v_cndmask_b32_e64 v9, v5, 1.0, s4
	v_cvt_f32_f16_e32 v4, v60
	v_lshlrev_b64 v[6:7], 2, v[2:3]
	v_mul_f32_e32 v5, v9, v8
	v_mul_f32_e32 v4, v9, v4
	;; [unrolled: 1-line block ×4, first 2 shown]
	v_add_co_u32 v6, vcc_lo, s24, v6
	v_add_co_ci_u32_e64 v7, null, s25, v7, vcc_lo
	global_store_dwordx4 v[6:7], v[2:5], off
.LBB65_62:
	s_or_b32 exec_lo, exec_lo, s5
	v_cmp_eq_u32_e32 vcc_lo, 0, v0
	s_and_b32 s4, vcc_lo, s4
	s_and_b32 exec_lo, exec_lo, s4
	s_cbranch_execz .LBB65_64
; %bb.63:
	v_ashrrev_i32_e32 v2, 31, v1
	v_lshlrev_b64 v[0:1], 3, v[1:2]
	v_add_co_u32 v0, vcc_lo, s26, v0
	v_add_co_ci_u32_e64 v1, null, s27, v1, vcc_lo
	global_store_dwordx2 v[0:1], v[43:44], off
.LBB65_64:
	s_endpgm
	.section	.rodata,"a",@progbits
	.p2align	6, 0x0
	.amdhsa_kernel _ZL15flash_attn_tileILi112ELi112ELi4ELi1ELb0EEvPKcS1_S1_S1_S1_PKiPfP15HIP_vector_typeIfLj2EEffffjfiS5_IjLj3EEiiiiiiiiiiiliiliiiiil
		.amdhsa_group_segment_fixed_size 5312
		.amdhsa_private_segment_fixed_size 32
		.amdhsa_kernarg_size 464
		.amdhsa_user_sgpr_count 8
		.amdhsa_user_sgpr_private_segment_buffer 1
		.amdhsa_user_sgpr_dispatch_ptr 0
		.amdhsa_user_sgpr_queue_ptr 0
		.amdhsa_user_sgpr_kernarg_segment_ptr 1
		.amdhsa_user_sgpr_dispatch_id 0
		.amdhsa_user_sgpr_flat_scratch_init 1
		.amdhsa_user_sgpr_private_segment_size 0
		.amdhsa_wavefront_size32 1
		.amdhsa_uses_dynamic_stack 0
		.amdhsa_system_sgpr_private_segment_wavefront_offset 1
		.amdhsa_system_sgpr_workgroup_id_x 1
		.amdhsa_system_sgpr_workgroup_id_y 1
		.amdhsa_system_sgpr_workgroup_id_z 1
		.amdhsa_system_sgpr_workgroup_info 0
		.amdhsa_system_vgpr_workitem_id 1
		.amdhsa_next_free_vgpr 93
		.amdhsa_next_free_sgpr 52
		.amdhsa_reserve_vcc 1
		.amdhsa_reserve_flat_scratch 1
		.amdhsa_float_round_mode_32 0
		.amdhsa_float_round_mode_16_64 0
		.amdhsa_float_denorm_mode_32 3
		.amdhsa_float_denorm_mode_16_64 3
		.amdhsa_dx10_clamp 1
		.amdhsa_ieee_mode 1
		.amdhsa_fp16_overflow 0
		.amdhsa_workgroup_processor_mode 1
		.amdhsa_memory_ordered 1
		.amdhsa_forward_progress 1
		.amdhsa_shared_vgpr_count 0
		.amdhsa_exception_fp_ieee_invalid_op 0
		.amdhsa_exception_fp_denorm_src 0
		.amdhsa_exception_fp_ieee_div_zero 0
		.amdhsa_exception_fp_ieee_overflow 0
		.amdhsa_exception_fp_ieee_underflow 0
		.amdhsa_exception_fp_ieee_inexact 0
		.amdhsa_exception_int_div_zero 0
	.end_amdhsa_kernel
	.section	.text._ZL15flash_attn_tileILi112ELi112ELi4ELi1ELb0EEvPKcS1_S1_S1_S1_PKiPfP15HIP_vector_typeIfLj2EEffffjfiS5_IjLj3EEiiiiiiiiiiiliiliiiiil,"axG",@progbits,_ZL15flash_attn_tileILi112ELi112ELi4ELi1ELb0EEvPKcS1_S1_S1_S1_PKiPfP15HIP_vector_typeIfLj2EEffffjfiS5_IjLj3EEiiiiiiiiiiiliiliiiiil,comdat
.Lfunc_end65:
	.size	_ZL15flash_attn_tileILi112ELi112ELi4ELi1ELb0EEvPKcS1_S1_S1_S1_PKiPfP15HIP_vector_typeIfLj2EEffffjfiS5_IjLj3EEiiiiiiiiiiiliiliiiiil, .Lfunc_end65-_ZL15flash_attn_tileILi112ELi112ELi4ELi1ELb0EEvPKcS1_S1_S1_S1_PKiPfP15HIP_vector_typeIfLj2EEffffjfiS5_IjLj3EEiiiiiiiiiiiliiliiiiil
                                        ; -- End function
	.set _ZL15flash_attn_tileILi112ELi112ELi4ELi1ELb0EEvPKcS1_S1_S1_S1_PKiPfP15HIP_vector_typeIfLj2EEffffjfiS5_IjLj3EEiiiiiiiiiiiliiliiiiil.num_vgpr, 93
	.set _ZL15flash_attn_tileILi112ELi112ELi4ELi1ELb0EEvPKcS1_S1_S1_S1_PKiPfP15HIP_vector_typeIfLj2EEffffjfiS5_IjLj3EEiiiiiiiiiiiliiliiiiil.num_agpr, 0
	.set _ZL15flash_attn_tileILi112ELi112ELi4ELi1ELb0EEvPKcS1_S1_S1_S1_PKiPfP15HIP_vector_typeIfLj2EEffffjfiS5_IjLj3EEiiiiiiiiiiiliiliiiiil.numbered_sgpr, 52
	.set _ZL15flash_attn_tileILi112ELi112ELi4ELi1ELb0EEvPKcS1_S1_S1_S1_PKiPfP15HIP_vector_typeIfLj2EEffffjfiS5_IjLj3EEiiiiiiiiiiiliiliiiiil.num_named_barrier, 0
	.set _ZL15flash_attn_tileILi112ELi112ELi4ELi1ELb0EEvPKcS1_S1_S1_S1_PKiPfP15HIP_vector_typeIfLj2EEffffjfiS5_IjLj3EEiiiiiiiiiiiliiliiiiil.private_seg_size, 32
	.set _ZL15flash_attn_tileILi112ELi112ELi4ELi1ELb0EEvPKcS1_S1_S1_S1_PKiPfP15HIP_vector_typeIfLj2EEffffjfiS5_IjLj3EEiiiiiiiiiiiliiliiiiil.uses_vcc, 1
	.set _ZL15flash_attn_tileILi112ELi112ELi4ELi1ELb0EEvPKcS1_S1_S1_S1_PKiPfP15HIP_vector_typeIfLj2EEffffjfiS5_IjLj3EEiiiiiiiiiiiliiliiiiil.uses_flat_scratch, 1
	.set _ZL15flash_attn_tileILi112ELi112ELi4ELi1ELb0EEvPKcS1_S1_S1_S1_PKiPfP15HIP_vector_typeIfLj2EEffffjfiS5_IjLj3EEiiiiiiiiiiiliiliiiiil.has_dyn_sized_stack, 0
	.set _ZL15flash_attn_tileILi112ELi112ELi4ELi1ELb0EEvPKcS1_S1_S1_S1_PKiPfP15HIP_vector_typeIfLj2EEffffjfiS5_IjLj3EEiiiiiiiiiiiliiliiiiil.has_recursion, 0
	.set _ZL15flash_attn_tileILi112ELi112ELi4ELi1ELb0EEvPKcS1_S1_S1_S1_PKiPfP15HIP_vector_typeIfLj2EEffffjfiS5_IjLj3EEiiiiiiiiiiiliiliiiiil.has_indirect_call, 0
	.section	.AMDGPU.csdata,"",@progbits
; Kernel info:
; codeLenInByte = 12000
; TotalNumSgprs: 54
; NumVgprs: 93
; ScratchSize: 32
; MemoryBound: 0
; FloatMode: 240
; IeeeMode: 1
; LDSByteSize: 5312 bytes/workgroup (compile time only)
; SGPRBlocks: 0
; VGPRBlocks: 11
; NumSGPRsForWavesPerEU: 54
; NumVGPRsForWavesPerEU: 93
; Occupancy: 10
; WaveLimiterHint : 1
; COMPUTE_PGM_RSRC2:SCRATCH_EN: 1
; COMPUTE_PGM_RSRC2:USER_SGPR: 8
; COMPUTE_PGM_RSRC2:TRAP_HANDLER: 0
; COMPUTE_PGM_RSRC2:TGID_X_EN: 1
; COMPUTE_PGM_RSRC2:TGID_Y_EN: 1
; COMPUTE_PGM_RSRC2:TGID_Z_EN: 1
; COMPUTE_PGM_RSRC2:TIDIG_COMP_CNT: 1
	.section	.text._ZL33flash_attn_stream_k_fixup_uniformILi112ELi4ELi1EEvPfPK15HIP_vector_typeIfLj2EEiiiiiiS1_IjLj3EES5_S5_,"axG",@progbits,_ZL33flash_attn_stream_k_fixup_uniformILi112ELi4ELi1EEvPfPK15HIP_vector_typeIfLj2EEiiiiiiS1_IjLj3EES5_S5_,comdat
	.globl	_ZL33flash_attn_stream_k_fixup_uniformILi112ELi4ELi1EEvPfPK15HIP_vector_typeIfLj2EEiiiiiiS1_IjLj3EES5_S5_ ; -- Begin function _ZL33flash_attn_stream_k_fixup_uniformILi112ELi4ELi1EEvPfPK15HIP_vector_typeIfLj2EEiiiiiiS1_IjLj3EES5_S5_
	.p2align	8
	.type	_ZL33flash_attn_stream_k_fixup_uniformILi112ELi4ELi1EEvPfPK15HIP_vector_typeIfLj2EEiiiiiiS1_IjLj3EES5_S5_,@function
_ZL33flash_attn_stream_k_fixup_uniformILi112ELi4ELi1EEvPfPK15HIP_vector_typeIfLj2EEiiiiiiS1_IjLj3EES5_S5_: ; @_ZL33flash_attn_stream_k_fixup_uniformILi112ELi4ELi1EEvPfPK15HIP_vector_typeIfLj2EEiiiiiiS1_IjLj3EES5_S5_
; %bb.0:
	s_clause 0x2
	s_load_dwordx8 s[12:19], s[4:5], 0x1c
	s_load_dwordx4 s[20:23], s[4:5], 0x3c
	s_load_dwordx2 s[10:11], s[4:5], 0x10
	s_waitcnt lgkmcnt(0)
	s_mul_hi_u32 s0, s15, s6
	s_add_i32 s0, s6, s0
	s_lshr_b32 s0, s0, s16
	s_mul_i32 s1, s0, s17
	s_sub_i32 s1, s6, s1
	s_mul_hi_u32 s2, s1, s18
	s_add_i32 s2, s1, s2
	s_lshr_b32 s9, s2, s19
	s_mul_i32 s2, s9, s20
	s_sub_i32 s1, s1, s2
	;; [unrolled: 5-line block ×3, first 2 shown]
	s_lshl_b32 s1, s15, 2
	s_add_i32 s1, s1, s7
	s_cmp_lt_i32 s1, s10
	s_cselect_b32 s1, -1, 0
	s_add_i32 s16, s16, s8
	s_cmp_lt_i32 s16, s13
	s_cselect_b32 s2, -1, 0
	s_and_b32 s1, s1, s2
	s_andn2_b32 vcc_lo, exec_lo, s1
	s_cbranch_vccnz .LBB66_6
; %bb.1:
	s_mul_i32 s10, s0, s10
	s_load_dwordx4 s[0:3], s[4:5], 0x0
	s_add_i32 s4, s10, s7
	s_mul_i32 s9, s9, s13
	s_mul_i32 s4, s4, s11
	s_add_i32 s5, s16, s9
	s_mul_i32 s9, s11, s15
	s_add_i32 s4, s5, s4
	s_mulk_i32 s9, 0x1c0
	s_mulk_i32 s4, 0x70
	s_add_i32 s8, s7, s8
	v_add3_u32 v1, s4, s9, v0
	s_mul_i32 s4, s14, s6
	s_add_i32 s9, s4, s14
	v_ashrrev_i32_e32 v2, 31, v1
	v_lshlrev_b64 v[1:2], 2, v[1:2]
	s_waitcnt lgkmcnt(0)
	v_add_co_u32 v1, vcc_lo, s0, v1
	v_add_co_ci_u32_e64 v2, null, s1, v2, vcc_lo
	s_lshl_b32 s0, s9, 2
	s_add_i32 s0, s8, s0
	global_load_dword v5, v[1:2], off
	s_add_i32 s0, s0, -4
	s_ashr_i32 s1, s0, 31
	s_lshl_b64 s[0:1], s[0:1], 3
	s_add_u32 s0, s2, s0
	s_addc_u32 s1, s3, s1
	s_add_i32 s5, s9, -2
	s_load_dword s10, s[0:1], 0x4
	s_cmp_lt_i32 s5, s4
	s_cbranch_scc1 .LBB66_4
; %bb.2:
	s_load_dword s11, s[0:1], 0x0
	s_lshl_b32 s0, s12, 4
	s_waitcnt lgkmcnt(0)
	v_mov_b32_e32 v6, s10
	s_ashr_i32 s1, s0, 31
	s_lshl_b64 s[0:1], s[0:1], 2
	s_add_u32 s5, s2, s0
	s_addc_u32 s7, s3, s1
	s_add_i32 s6, s6, 1
	s_mul_i32 s1, s8, 0x70
	s_mul_i32 s0, s14, s6
	s_lshl_b32 s6, s0, 2
	s_mulk_i32 s0, 0x1c0
	s_add_i32 s6, s8, s6
	s_add_i32 s1, s1, s0
	s_lshl_b32 s0, s12, 2
	v_add3_u32 v3, s1, v0, 0xfffffc80
	s_add_i32 s0, s6, s0
	v_mov_b32_e32 v0, s11
	s_add_i32 s6, s9, -1
	s_add_i32 s0, s0, -8
.LBB66_3:                               ; =>This Inner Loop Header: Depth=1
	v_ashrrev_i32_e32 v4, 31, v3
	s_ashr_i32 s1, s0, 31
	s_lshl_b64 s[8:9], s[0:1], 3
	s_add_u32 s8, s2, s8
	v_lshlrev_b64 v[7:8], 2, v[3:4]
	s_addc_u32 s9, s3, s9
	v_add_nc_u32_e32 v3, 0xfffffe40, v3
	s_add_i32 s6, s6, -1
	s_add_i32 s0, s0, -4
	s_cmp_le_i32 s6, s4
	v_add_co_u32 v7, vcc_lo, s5, v7
	v_add_co_ci_u32_e64 v8, null, s7, v8, vcc_lo
	s_load_dwordx2 s[8:9], s[8:9], 0x0
	global_load_dword v4, v[7:8], off
	v_max_f32_e32 v7, v0, v0
	s_waitcnt lgkmcnt(0)
	v_max_f32_e64 v8, s8, s8
	v_max_f32_e32 v7, v7, v8
	v_sub_f32_e32 v8, s8, v7
	v_sub_f32_e32 v0, v0, v7
	v_mul_f32_e32 v9, 0x3fb8aa3b, v8
	v_mul_f32_e32 v12, 0x3fb8aa3b, v0
	v_cmp_ngt_f32_e32 vcc_lo, 0xc2ce8ed0, v8
	v_fma_f32 v10, 0x3fb8aa3b, v8, -v9
	v_rndne_f32_e32 v11, v9
	v_fma_f32 v13, 0x3fb8aa3b, v0, -v12
	v_rndne_f32_e32 v14, v12
	v_fmac_f32_e32 v10, 0x32a5705f, v8
	v_sub_f32_e32 v9, v9, v11
	v_fmac_f32_e32 v13, 0x32a5705f, v0
	v_cvt_i32_f32_e32 v11, v11
	v_add_f32_e32 v9, v9, v10
	v_sub_f32_e32 v10, v12, v14
	v_exp_f32_e32 v9, v9
	v_add_f32_e32 v10, v10, v13
	v_exp_f32_e32 v10, v10
	v_ldexp_f32 v9, v9, v11
	v_cvt_i32_f32_e32 v11, v14
	v_cndmask_b32_e32 v9, 0, v9, vcc_lo
	v_cmp_nlt_f32_e32 vcc_lo, 0x42b17218, v8
	v_ldexp_f32 v10, v10, v11
	v_mov_b32_e32 v11, v6
	v_cndmask_b32_e32 v9, 0x7f800000, v9, vcc_lo
	v_cmp_ngt_f32_e32 vcc_lo, 0xc2ce8ed0, v0
	v_cndmask_b32_e32 v10, 0, v10, vcc_lo
	v_cmp_le_f32_e32 vcc_lo, 0xc1a00000, v8
	v_cndmask_b32_e32 v8, 0, v9, vcc_lo
	v_cmp_nlt_f32_e32 vcc_lo, 0x42b17218, v0
	s_waitcnt vmcnt(1)
	v_mov_b32_e32 v9, v5
	v_cndmask_b32_e32 v5, 0x7f800000, v10, vcc_lo
	v_mul_f32_e32 v10, s9, v8
	v_cmp_le_f32_e32 vcc_lo, 0xc1a00000, v0
	v_mov_b32_e32 v0, v7
	v_mov_b32_e32 v6, v10
	v_cndmask_b32_e32 v12, 0, v5, vcc_lo
	v_fmac_f32_e32 v6, v11, v12
	s_waitcnt vmcnt(0)
	v_mul_f32_e32 v5, v4, v8
	v_fmac_f32_e32 v5, v9, v12
	s_cbranch_scc0 .LBB66_3
	s_branch .LBB66_5
.LBB66_4:
	s_waitcnt lgkmcnt(0)
	v_mov_b32_e32 v6, s10
.LBB66_5:
	s_waitcnt vmcnt(0)
	v_div_scale_f32 v0, null, v6, v6, v5
	v_rcp_f32_e32 v3, v0
	v_fma_f32 v4, -v0, v3, 1.0
	v_fmac_f32_e32 v3, v4, v3
	v_div_scale_f32 v4, vcc_lo, v5, v6, v5
	v_mul_f32_e32 v7, v4, v3
	v_fma_f32 v8, -v0, v7, v4
	v_fmac_f32_e32 v7, v8, v3
	v_fma_f32 v0, -v0, v7, v4
	v_div_fmas_f32 v0, v0, v3, v7
	v_div_fixup_f32 v0, v0, v6, v5
	global_store_dword v[1:2], v0, off
.LBB66_6:
	s_endpgm
	.section	.rodata,"a",@progbits
	.p2align	6, 0x0
	.amdhsa_kernel _ZL33flash_attn_stream_k_fixup_uniformILi112ELi4ELi1EEvPfPK15HIP_vector_typeIfLj2EEiiiiiiS1_IjLj3EES5_S5_
		.amdhsa_group_segment_fixed_size 0
		.amdhsa_private_segment_fixed_size 0
		.amdhsa_kernarg_size 76
		.amdhsa_user_sgpr_count 6
		.amdhsa_user_sgpr_private_segment_buffer 1
		.amdhsa_user_sgpr_dispatch_ptr 0
		.amdhsa_user_sgpr_queue_ptr 0
		.amdhsa_user_sgpr_kernarg_segment_ptr 1
		.amdhsa_user_sgpr_dispatch_id 0
		.amdhsa_user_sgpr_flat_scratch_init 0
		.amdhsa_user_sgpr_private_segment_size 0
		.amdhsa_wavefront_size32 1
		.amdhsa_uses_dynamic_stack 0
		.amdhsa_system_sgpr_private_segment_wavefront_offset 0
		.amdhsa_system_sgpr_workgroup_id_x 1
		.amdhsa_system_sgpr_workgroup_id_y 1
		.amdhsa_system_sgpr_workgroup_id_z 1
		.amdhsa_system_sgpr_workgroup_info 0
		.amdhsa_system_vgpr_workitem_id 0
		.amdhsa_next_free_vgpr 15
		.amdhsa_next_free_sgpr 24
		.amdhsa_reserve_vcc 1
		.amdhsa_reserve_flat_scratch 0
		.amdhsa_float_round_mode_32 0
		.amdhsa_float_round_mode_16_64 0
		.amdhsa_float_denorm_mode_32 3
		.amdhsa_float_denorm_mode_16_64 3
		.amdhsa_dx10_clamp 1
		.amdhsa_ieee_mode 1
		.amdhsa_fp16_overflow 0
		.amdhsa_workgroup_processor_mode 1
		.amdhsa_memory_ordered 1
		.amdhsa_forward_progress 1
		.amdhsa_shared_vgpr_count 0
		.amdhsa_exception_fp_ieee_invalid_op 0
		.amdhsa_exception_fp_denorm_src 0
		.amdhsa_exception_fp_ieee_div_zero 0
		.amdhsa_exception_fp_ieee_overflow 0
		.amdhsa_exception_fp_ieee_underflow 0
		.amdhsa_exception_fp_ieee_inexact 0
		.amdhsa_exception_int_div_zero 0
	.end_amdhsa_kernel
	.section	.text._ZL33flash_attn_stream_k_fixup_uniformILi112ELi4ELi1EEvPfPK15HIP_vector_typeIfLj2EEiiiiiiS1_IjLj3EES5_S5_,"axG",@progbits,_ZL33flash_attn_stream_k_fixup_uniformILi112ELi4ELi1EEvPfPK15HIP_vector_typeIfLj2EEiiiiiiS1_IjLj3EES5_S5_,comdat
.Lfunc_end66:
	.size	_ZL33flash_attn_stream_k_fixup_uniformILi112ELi4ELi1EEvPfPK15HIP_vector_typeIfLj2EEiiiiiiS1_IjLj3EES5_S5_, .Lfunc_end66-_ZL33flash_attn_stream_k_fixup_uniformILi112ELi4ELi1EEvPfPK15HIP_vector_typeIfLj2EEiiiiiiS1_IjLj3EES5_S5_
                                        ; -- End function
	.set _ZL33flash_attn_stream_k_fixup_uniformILi112ELi4ELi1EEvPfPK15HIP_vector_typeIfLj2EEiiiiiiS1_IjLj3EES5_S5_.num_vgpr, 15
	.set _ZL33flash_attn_stream_k_fixup_uniformILi112ELi4ELi1EEvPfPK15HIP_vector_typeIfLj2EEiiiiiiS1_IjLj3EES5_S5_.num_agpr, 0
	.set _ZL33flash_attn_stream_k_fixup_uniformILi112ELi4ELi1EEvPfPK15HIP_vector_typeIfLj2EEiiiiiiS1_IjLj3EES5_S5_.numbered_sgpr, 24
	.set _ZL33flash_attn_stream_k_fixup_uniformILi112ELi4ELi1EEvPfPK15HIP_vector_typeIfLj2EEiiiiiiS1_IjLj3EES5_S5_.num_named_barrier, 0
	.set _ZL33flash_attn_stream_k_fixup_uniformILi112ELi4ELi1EEvPfPK15HIP_vector_typeIfLj2EEiiiiiiS1_IjLj3EES5_S5_.private_seg_size, 0
	.set _ZL33flash_attn_stream_k_fixup_uniformILi112ELi4ELi1EEvPfPK15HIP_vector_typeIfLj2EEiiiiiiS1_IjLj3EES5_S5_.uses_vcc, 1
	.set _ZL33flash_attn_stream_k_fixup_uniformILi112ELi4ELi1EEvPfPK15HIP_vector_typeIfLj2EEiiiiiiS1_IjLj3EES5_S5_.uses_flat_scratch, 0
	.set _ZL33flash_attn_stream_k_fixup_uniformILi112ELi4ELi1EEvPfPK15HIP_vector_typeIfLj2EEiiiiiiS1_IjLj3EES5_S5_.has_dyn_sized_stack, 0
	.set _ZL33flash_attn_stream_k_fixup_uniformILi112ELi4ELi1EEvPfPK15HIP_vector_typeIfLj2EEiiiiiiS1_IjLj3EES5_S5_.has_recursion, 0
	.set _ZL33flash_attn_stream_k_fixup_uniformILi112ELi4ELi1EEvPfPK15HIP_vector_typeIfLj2EEiiiiiiS1_IjLj3EES5_S5_.has_indirect_call, 0
	.section	.AMDGPU.csdata,"",@progbits
; Kernel info:
; codeLenInByte = 828
; TotalNumSgprs: 26
; NumVgprs: 15
; ScratchSize: 0
; MemoryBound: 0
; FloatMode: 240
; IeeeMode: 1
; LDSByteSize: 0 bytes/workgroup (compile time only)
; SGPRBlocks: 0
; VGPRBlocks: 1
; NumSGPRsForWavesPerEU: 26
; NumVGPRsForWavesPerEU: 15
; Occupancy: 16
; WaveLimiterHint : 0
; COMPUTE_PGM_RSRC2:SCRATCH_EN: 0
; COMPUTE_PGM_RSRC2:USER_SGPR: 6
; COMPUTE_PGM_RSRC2:TRAP_HANDLER: 0
; COMPUTE_PGM_RSRC2:TGID_X_EN: 1
; COMPUTE_PGM_RSRC2:TGID_Y_EN: 1
; COMPUTE_PGM_RSRC2:TGID_Z_EN: 1
; COMPUTE_PGM_RSRC2:TIDIG_COMP_CNT: 0
	.section	.text._ZL33flash_attn_stream_k_fixup_generalILi112ELi4ELi1EEvPfPK15HIP_vector_typeIfLj2EEiiiiS1_IjLj3EES5_S5_S5_,"axG",@progbits,_ZL33flash_attn_stream_k_fixup_generalILi112ELi4ELi1EEvPfPK15HIP_vector_typeIfLj2EEiiiiS1_IjLj3EES5_S5_S5_,comdat
	.globl	_ZL33flash_attn_stream_k_fixup_generalILi112ELi4ELi1EEvPfPK15HIP_vector_typeIfLj2EEiiiiS1_IjLj3EES5_S5_S5_ ; -- Begin function _ZL33flash_attn_stream_k_fixup_generalILi112ELi4ELi1EEvPfPK15HIP_vector_typeIfLj2EEiiiiS1_IjLj3EES5_S5_S5_
	.p2align	8
	.type	_ZL33flash_attn_stream_k_fixup_generalILi112ELi4ELi1EEvPfPK15HIP_vector_typeIfLj2EEiiiiS1_IjLj3EES5_S5_S5_,@function
_ZL33flash_attn_stream_k_fixup_generalILi112ELi4ELi1EEvPfPK15HIP_vector_typeIfLj2EEiiiiS1_IjLj3EES5_S5_S5_: ; @_ZL33flash_attn_stream_k_fixup_generalILi112ELi4ELi1EEvPfPK15HIP_vector_typeIfLj2EEiiiiS1_IjLj3EES5_S5_S5_
; %bb.0:
	s_clause 0x1
	s_load_dwordx4 s[0:3], s[4:5], 0x10
	s_load_dword s9, s[4:5], 0x50
	s_mov_b32 s16, 0
	s_waitcnt lgkmcnt(0)
	s_mul_hi_i32 s17, s3, s6
	s_mul_i32 s18, s3, s6
	s_cmp_lg_u64 s[16:17], 0
	s_cbranch_scc0 .LBB67_21
; %bb.1:
	s_add_u32 s10, s9, 0
	s_addc_u32 s11, 0, 0
	s_xor_b64 s[10:11], s[10:11], 0
	v_cvt_f32_u32_e32 v1, s10
	v_cvt_f32_u32_e32 v2, s11
	s_sub_u32 s14, 0, s10
	s_subb_u32 s15, 0, s11
	v_fmamk_f32 v1, v2, 0x4f800000, v1
	v_rcp_f32_e32 v1, v1
	v_mul_f32_e32 v1, 0x5f7ffffc, v1
	v_mul_f32_e32 v2, 0x2f800000, v1
	v_trunc_f32_e32 v2, v2
	v_fmamk_f32 v1, v2, 0xcf800000, v1
	v_cvt_u32_f32_e32 v2, v2
	v_cvt_u32_f32_e32 v1, v1
	v_readfirstlane_b32 s12, v2
	v_readfirstlane_b32 s13, v1
	s_mul_i32 s19, s14, s12
	s_mul_hi_u32 s21, s14, s13
	s_mul_i32 s20, s15, s13
	s_add_i32 s19, s21, s19
	s_mul_i32 s22, s14, s13
	s_add_i32 s19, s19, s20
	s_mul_hi_u32 s21, s13, s22
	s_mul_i32 s24, s13, s19
	s_mul_hi_u32 s23, s12, s22
	s_mul_i32 s20, s12, s22
	s_mul_hi_u32 s22, s13, s19
	s_add_u32 s21, s21, s24
	s_addc_u32 s22, 0, s22
	s_mul_hi_u32 s25, s12, s19
	s_add_u32 s20, s21, s20
	s_mul_i32 s19, s12, s19
	s_addc_u32 s20, s22, s23
	s_addc_u32 s21, s25, 0
	s_add_u32 s19, s20, s19
	s_addc_u32 s20, 0, s21
	s_add_u32 s13, s13, s19
	s_cselect_b32 s19, -1, 0
	s_mul_hi_u32 s21, s14, s13
	s_cmp_lg_u32 s19, 0
	s_mul_i32 s19, s14, s13
	s_addc_u32 s12, s12, s20
	s_mul_i32 s15, s15, s13
	s_mul_i32 s14, s14, s12
	s_mul_hi_u32 s20, s13, s19
	s_add_i32 s14, s21, s14
	s_mul_hi_u32 s21, s12, s19
	s_add_i32 s14, s14, s15
	s_mul_i32 s15, s12, s19
	s_mul_i32 s23, s13, s14
	s_mul_hi_u32 s22, s13, s14
	s_add_u32 s20, s20, s23
	s_addc_u32 s22, 0, s22
	s_mul_hi_u32 s19, s12, s14
	s_add_u32 s15, s20, s15
	s_mul_i32 s14, s12, s14
	s_addc_u32 s15, s22, s21
	s_addc_u32 s19, s19, 0
	s_add_u32 s14, s15, s14
	s_addc_u32 s15, 0, s19
	s_add_u32 s19, s13, s14
	s_cselect_b32 s13, -1, 0
	s_cmp_lg_u32 s13, 0
	s_addc_u32 s20, s12, s15
	s_ashr_i32 s12, s17, 31
	s_add_u32 s14, s18, s12
	s_mov_b32 s13, s12
	s_addc_u32 s15, s17, s12
	s_xor_b64 s[14:15], s[14:15], s[12:13]
	s_mul_i32 s21, s14, s20
	s_mul_hi_u32 s22, s14, s19
	s_mul_hi_u32 s17, s14, s20
	;; [unrolled: 1-line block ×3, first 2 shown]
	s_mul_i32 s19, s15, s19
	s_add_u32 s21, s22, s21
	s_addc_u32 s17, 0, s17
	s_mul_hi_u32 s23, s15, s20
	s_add_u32 s19, s21, s19
	s_mul_i32 s20, s15, s20
	s_addc_u32 s17, s17, s24
	s_addc_u32 s19, s23, 0
	s_add_u32 s17, s17, s20
	s_addc_u32 s19, 0, s19
	s_mul_hi_u32 s20, s10, s17
	s_mul_i32 s21, s10, s19
	s_mul_i32 s22, s11, s17
	s_add_i32 s20, s20, s21
	s_mul_i32 s21, s10, s17
	s_add_i32 s20, s20, s22
	s_sub_i32 s22, s15, s20
	s_sub_u32 s14, s14, s21
	s_cselect_b32 s21, -1, 0
	s_cmp_lg_u32 s21, 0
	s_subb_u32 s22, s22, s11
	s_sub_u32 s23, s14, s10
	s_cselect_b32 s24, -1, 0
	s_cmp_lg_u32 s24, 0
	s_subb_u32 s22, s22, 0
	s_cmp_ge_u32 s22, s11
	s_cselect_b32 s24, -1, 0
	s_cmp_ge_u32 s23, s10
	s_cselect_b32 s23, -1, 0
	s_cmp_eq_u32 s22, s11
	s_cselect_b32 s22, s23, s24
	s_add_u32 s23, s17, 1
	s_addc_u32 s24, s19, 0
	s_add_u32 s25, s17, 2
	s_addc_u32 s26, s19, 0
	s_cmp_lg_u32 s22, 0
	s_cselect_b32 s22, s25, s23
	s_cselect_b32 s23, s26, s24
	s_cmp_lg_u32 s21, 0
	s_subb_u32 s15, s15, s20
	s_cmp_ge_u32 s15, s11
	s_cselect_b32 s20, -1, 0
	s_cmp_ge_u32 s14, s10
	s_cselect_b32 s10, -1, 0
	s_cmp_eq_u32 s15, s11
	s_cselect_b32 s10, s10, s20
	s_cmp_lg_u32 s10, 0
	s_cselect_b32 s11, s23, s19
	s_cselect_b32 s10, s22, s17
	s_xor_b64 s[12:13], s[12:13], 0
	s_xor_b64 s[10:11], s[10:11], s[12:13]
	s_sub_u32 s10, s10, s12
	s_load_dwordx4 s[12:15], s[4:5], 0x44
	s_andn2_b32 vcc_lo, exec_lo, s16
	s_cbranch_vccnz .LBB67_3
.LBB67_2:
	v_cvt_f32_u32_e32 v1, s9
	s_sub_i32 s11, 0, s9
	v_rcp_iflag_f32_e32 v1, v1
	v_mul_f32_e32 v1, 0x4f7ffffe, v1
	v_cvt_u32_f32_e32 v1, v1
	v_readfirstlane_b32 s10, v1
	s_mul_i32 s11, s11, s10
	s_mul_hi_u32 s11, s10, s11
	s_add_i32 s10, s10, s11
	s_mul_hi_u32 s10, s18, s10
	s_mul_i32 s11, s10, s9
	s_waitcnt lgkmcnt(0)
	s_add_i32 s15, s10, 1
	s_sub_i32 s11, s18, s11
	s_sub_i32 s16, s11, s9
	s_cmp_ge_u32 s11, s9
	s_cselect_b32 s10, s15, s10
	s_cselect_b32 s11, s16, s11
	s_add_i32 s15, s10, 1
	s_cmp_ge_u32 s11, s9
	s_cselect_b32 s10, s15, s10
.LBB67_3:
	s_add_i32 s11, s6, 1
	s_mov_b32 s16, 0
	s_mul_hi_i32 s17, s3, s11
	s_mul_i32 s11, s3, s11
	s_cmp_lg_u64 s[16:17], 0
	s_cbranch_scc0 .LBB67_22
; %bb.4:
	s_add_u32 s18, s9, 0
	s_addc_u32 s19, 0, 0
	s_xor_b64 s[18:19], s[18:19], 0
	v_cvt_f32_u32_e32 v1, s18
	v_cvt_f32_u32_e32 v2, s19
	s_sub_u32 s21, 0, s18
	s_subb_u32 s22, 0, s19
	v_fmamk_f32 v1, v2, 0x4f800000, v1
	v_rcp_f32_e32 v1, v1
	v_mul_f32_e32 v1, 0x5f7ffffc, v1
	v_mul_f32_e32 v2, 0x2f800000, v1
	v_trunc_f32_e32 v2, v2
	v_fmamk_f32 v1, v2, 0xcf800000, v1
	v_cvt_u32_f32_e32 v2, v2
	v_cvt_u32_f32_e32 v1, v1
	s_waitcnt lgkmcnt(0)
	v_readfirstlane_b32 s15, v2
	v_readfirstlane_b32 s20, v1
	s_mul_i32 s23, s21, s15
	s_mul_hi_u32 s25, s21, s20
	s_mul_i32 s24, s22, s20
	s_add_i32 s23, s25, s23
	s_mul_i32 s26, s21, s20
	s_add_i32 s23, s23, s24
	s_mul_hi_u32 s25, s20, s26
	s_mul_i32 s28, s20, s23
	s_mul_hi_u32 s27, s15, s26
	s_mul_i32 s24, s15, s26
	s_mul_hi_u32 s26, s20, s23
	s_add_u32 s25, s25, s28
	s_addc_u32 s26, 0, s26
	s_mul_hi_u32 s29, s15, s23
	s_add_u32 s24, s25, s24
	s_mul_i32 s23, s15, s23
	s_addc_u32 s24, s26, s27
	s_addc_u32 s25, s29, 0
	s_add_u32 s23, s24, s23
	s_addc_u32 s24, 0, s25
	s_add_u32 s20, s20, s23
	s_cselect_b32 s23, -1, 0
	s_mul_hi_u32 s25, s21, s20
	s_cmp_lg_u32 s23, 0
	s_mul_i32 s23, s21, s20
	s_addc_u32 s15, s15, s24
	s_mul_i32 s22, s22, s20
	s_mul_i32 s21, s21, s15
	s_mul_hi_u32 s24, s20, s23
	s_add_i32 s21, s25, s21
	s_mul_hi_u32 s25, s15, s23
	s_add_i32 s21, s21, s22
	s_mul_i32 s22, s15, s23
	s_mul_i32 s27, s20, s21
	s_mul_hi_u32 s26, s20, s21
	s_add_u32 s24, s24, s27
	s_addc_u32 s26, 0, s26
	s_mul_hi_u32 s23, s15, s21
	s_add_u32 s22, s24, s22
	s_mul_i32 s21, s15, s21
	s_addc_u32 s22, s26, s25
	s_addc_u32 s23, s23, 0
	s_add_u32 s21, s22, s21
	s_addc_u32 s22, 0, s23
	s_add_u32 s24, s20, s21
	s_cselect_b32 s20, -1, 0
	s_cmp_lg_u32 s20, 0
	s_addc_u32 s15, s15, s22
	s_ashr_i32 s20, s17, 31
	s_add_u32 s22, s11, s20
	s_mov_b32 s21, s20
	s_addc_u32 s23, s17, s20
	s_xor_b64 s[22:23], s[22:23], s[20:21]
	s_mul_i32 s25, s22, s15
	s_mul_hi_u32 s26, s22, s24
	s_mul_hi_u32 s17, s22, s15
	;; [unrolled: 1-line block ×3, first 2 shown]
	s_mul_i32 s24, s23, s24
	s_add_u32 s25, s26, s25
	s_addc_u32 s17, 0, s17
	s_mul_hi_u32 s27, s23, s15
	s_add_u32 s24, s25, s24
	s_mul_i32 s15, s23, s15
	s_addc_u32 s17, s17, s28
	s_addc_u32 s24, s27, 0
	s_add_u32 s15, s17, s15
	s_addc_u32 s17, 0, s24
	s_mul_hi_u32 s24, s18, s15
	s_mul_i32 s25, s18, s17
	s_mul_i32 s26, s19, s15
	s_add_i32 s24, s24, s25
	s_mul_i32 s25, s18, s15
	s_add_i32 s24, s24, s26
	s_sub_i32 s26, s23, s24
	s_sub_u32 s22, s22, s25
	s_cselect_b32 s25, -1, 0
	s_cmp_lg_u32 s25, 0
	s_subb_u32 s26, s26, s19
	s_sub_u32 s27, s22, s18
	s_cselect_b32 s28, -1, 0
	s_cmp_lg_u32 s28, 0
	s_subb_u32 s26, s26, 0
	s_cmp_ge_u32 s26, s19
	s_cselect_b32 s28, -1, 0
	s_cmp_ge_u32 s27, s18
	s_cselect_b32 s27, -1, 0
	s_cmp_eq_u32 s26, s19
	s_cselect_b32 s26, s27, s28
	s_add_u32 s27, s15, 1
	s_addc_u32 s28, s17, 0
	s_add_u32 s29, s15, 2
	s_addc_u32 s30, s17, 0
	s_cmp_lg_u32 s26, 0
	s_cselect_b32 s26, s29, s27
	s_cselect_b32 s27, s30, s28
	s_cmp_lg_u32 s25, 0
	s_subb_u32 s23, s23, s24
	s_cmp_ge_u32 s23, s19
	s_cselect_b32 s24, -1, 0
	s_cmp_ge_u32 s22, s18
	s_cselect_b32 s18, -1, 0
	s_cmp_eq_u32 s23, s19
	s_cselect_b32 s18, s18, s24
	s_cmp_lg_u32 s18, 0
	s_cselect_b32 s19, s27, s17
	s_cselect_b32 s18, s26, s15
	s_xor_b64 s[20:21], s[20:21], 0
	s_xor_b64 s[18:19], s[18:19], s[20:21]
	s_sub_u32 s18, s18, s20
	s_andn2_b32 vcc_lo, exec_lo, s16
	s_cbranch_vccnz .LBB67_6
.LBB67_5:
	v_cvt_f32_u32_e32 v1, s9
	s_sub_i32 s16, 0, s9
	v_rcp_iflag_f32_e32 v1, v1
	v_mul_f32_e32 v1, 0x4f7ffffe, v1
	v_cvt_u32_f32_e32 v1, v1
	s_waitcnt lgkmcnt(0)
	v_readfirstlane_b32 s15, v1
	s_mul_i32 s16, s16, s15
	s_mul_hi_u32 s16, s15, s16
	s_add_i32 s15, s15, s16
	s_mul_hi_u32 s15, s11, s15
	s_mul_i32 s16, s15, s9
	s_sub_i32 s11, s11, s16
	s_add_i32 s16, s15, 1
	s_sub_i32 s17, s11, s9
	s_cmp_ge_u32 s11, s9
	s_cselect_b32 s15, s16, s15
	s_cselect_b32 s11, s17, s11
	s_add_i32 s16, s15, 1
	s_cmp_ge_u32 s11, s9
	s_cselect_b32 s18, s16, s15
.LBB67_6:
	s_cmp_eq_u32 s10, s18
	s_waitcnt lgkmcnt(0)
	s_mul_hi_u32 s11, s10, s12
	s_cselect_b32 s15, -1, 0
	s_add_i32 s11, s11, s10
	s_lshr_b32 s11, s11, s13
	s_mul_i32 s16, s11, s14
	s_cmp_eq_u32 s16, s10
	s_mul_hi_u32 s16, s18, s12
	s_cselect_b32 s17, -1, 0
	s_add_i32 s16, s16, s18
	s_lshr_b32 s16, s16, s13
	s_cmp_eq_u32 s11, s16
	s_mul_i32 s16, s16, s14
	s_cselect_b32 s19, -1, 0
	s_cmp_lg_u32 s16, s18
	s_cselect_b32 s16, -1, 0
	s_or_b32 s15, s15, s17
	s_and_b32 s16, s19, s16
	s_or_b32 s15, s15, s16
	s_and_b32 vcc_lo, exec_lo, s15
	s_cbranch_vccnz .LBB67_24
; %bb.7:
	s_clause 0x1
	s_load_dwordx8 s[20:27], s[4:5], 0x20
	s_load_dword s16, s[4:5], 0x40
	s_waitcnt lgkmcnt(0)
	s_mul_hi_u32 s15, s10, s20
	s_add_i32 s15, s15, s10
	s_lshr_b32 s15, s15, s21
	s_mul_i32 s17, s15, s22
	s_sub_i32 s17, s10, s17
	s_mul_hi_u32 s18, s17, s23
	s_add_i32 s18, s17, s18
	s_lshr_b32 s21, s18, s24
	s_mul_i32 s18, s21, s25
	s_sub_i32 s17, s17, s18
	;; [unrolled: 5-line block ×3, first 2 shown]
	s_mul_hi_u32 s17, s16, s12
	s_add_i32 s16, s16, s17
	s_lshr_b32 s20, s16, s13
	s_lshl_b32 s16, s20, 2
	s_add_i32 s16, s16, s7
	s_cmp_lt_i32 s16, s0
	s_cselect_b32 s16, -1, 0
	s_add_i32 s22, s22, s8
	s_cmp_lt_i32 s22, s2
	s_cselect_b32 s17, -1, 0
	s_and_b32 s16, s16, s17
	s_andn2_b32 vcc_lo, exec_lo, s16
	s_cbranch_vccnz .LBB67_24
; %bb.8:
	s_load_dwordx4 s[16:19], s[4:5], 0x0
	s_mov_b32 s4, 0
	s_lshl_b32 s24, s9, 4
	s_mov_b32 s25, s4
	s_add_i32 s8, s7, s8
	s_lshl_b64 s[24:25], s[24:25], 2
	s_mul_i32 s0, s15, s0
	s_mul_i32 s21, s21, s2
	v_cvt_f32_u32_e32 v3, s9
	v_rcp_iflag_f32_e32 v3, v3
	s_waitcnt lgkmcnt(0)
	s_add_u32 s2, s18, s24
	s_addc_u32 s15, s19, s25
	s_add_i32 s0, s0, s7
	s_add_i32 s5, s22, s21
	s_mul_i32 s0, s0, s1
	s_mul_i32 s1, s1, s20
	s_add_i32 s0, s5, s0
	s_mulk_i32 s1, 0x1c0
	s_mulk_i32 s0, 0x70
	v_mul_f32_e32 v7, 0x4f7ffffe, v3
	v_add3_u32 v1, s1, s0, v0
	s_lshl_b32 s0, s6, 2
	s_add_i32 s0, s0, s8
	v_ashrrev_i32_e32 v2, 31, v1
	s_ashr_i32 s1, s0, 31
	s_lshl_b64 s[0:1], s[0:1], 3
	v_lshlrev_b64 v[1:2], 2, v[1:2]
	s_add_u32 s0, s18, s0
	s_addc_u32 s1, s19, s1
	s_load_dwordx2 s[0:1], s[0:1], 0x0
	v_add_co_u32 v1, vcc_lo, s16, v1
	v_add_co_ci_u32_e64 v2, null, s17, v2, vcc_lo
	s_add_i32 s17, s6, -1
	v_mad_u64_u32 v[3:4], null, 0x70, s8, v[0:1]
	global_load_dword v5, v[1:2], off
	v_cvt_u32_f32_e32 v0, v7
	s_sub_i32 s16, 0, s9
	s_waitcnt lgkmcnt(0)
	v_mov_b32_e32 v4, s1
	v_mov_b32_e32 v6, s0
.LBB67_9:                               ; =>This Inner Loop Header: Depth=1
	s_mul_hi_i32 s5, s17, s3
	s_mul_i32 s6, s17, s3
	s_cmp_lg_u64 s[4:5], 0
	s_mov_b32 s7, -1
                                        ; implicit-def: $sgpr0_sgpr1
	s_cbranch_scc0 .LBB67_11
; %bb.10:                               ;   in Loop: Header=BB67_9 Depth=1
	s_add_u32 s0, s9, 0
	s_addc_u32 s1, 0, 0
	s_xor_b64 s[0:1], s[0:1], 0
	v_cvt_f32_u32_e32 v7, s0
	v_cvt_f32_u32_e32 v8, s1
	s_sub_u32 s21, 0, s0
	s_subb_u32 s22, 0, s1
	v_fmac_f32_e32 v7, 0x4f800000, v8
	v_rcp_f32_e32 v7, v7
	v_mul_f32_e32 v7, 0x5f7ffffc, v7
	v_mul_f32_e32 v8, 0x2f800000, v7
	v_trunc_f32_e32 v8, v8
	v_fmac_f32_e32 v7, 0xcf800000, v8
	v_cvt_u32_f32_e32 v8, v8
	v_cvt_u32_f32_e32 v7, v7
	v_readfirstlane_b32 s7, v8
	v_readfirstlane_b32 s20, v7
	s_mul_i32 s23, s21, s7
	s_mul_hi_u32 s25, s21, s20
	s_mul_i32 s24, s22, s20
	s_add_i32 s23, s25, s23
	s_mul_i32 s26, s21, s20
	s_add_i32 s23, s23, s24
	s_mul_hi_u32 s25, s20, s26
	s_mul_i32 s28, s20, s23
	s_mul_hi_u32 s27, s7, s26
	s_mul_i32 s24, s7, s26
	s_mul_hi_u32 s26, s20, s23
	s_add_u32 s25, s25, s28
	s_addc_u32 s26, 0, s26
	s_mul_hi_u32 s29, s7, s23
	s_add_u32 s24, s25, s24
	s_mul_i32 s23, s7, s23
	s_addc_u32 s24, s26, s27
	s_addc_u32 s25, s29, 0
	s_add_u32 s23, s24, s23
	s_addc_u32 s24, 0, s25
	s_add_u32 s20, s20, s23
	s_cselect_b32 s23, -1, 0
	s_mul_hi_u32 s25, s21, s20
	s_cmp_lg_u32 s23, 0
	s_mul_i32 s23, s21, s20
	s_addc_u32 s7, s7, s24
	s_mul_i32 s22, s22, s20
	s_mul_i32 s21, s21, s7
	s_mul_hi_u32 s24, s20, s23
	s_add_i32 s21, s25, s21
	s_mul_hi_u32 s25, s7, s23
	s_add_i32 s21, s21, s22
	s_mul_i32 s22, s7, s23
	s_mul_i32 s27, s20, s21
	s_mul_hi_u32 s26, s20, s21
	s_add_u32 s24, s24, s27
	s_addc_u32 s26, 0, s26
	s_mul_hi_u32 s23, s7, s21
	s_add_u32 s22, s24, s22
	s_mul_i32 s21, s7, s21
	s_addc_u32 s22, s26, s25
	s_addc_u32 s23, s23, 0
	s_add_u32 s21, s22, s21
	s_addc_u32 s22, 0, s23
	s_add_u32 s24, s20, s21
	s_cselect_b32 s20, -1, 0
	s_cmp_lg_u32 s20, 0
	s_addc_u32 s7, s7, s22
	s_ashr_i32 s20, s5, 31
	s_add_u32 s22, s6, s20
	s_mov_b32 s21, s20
	s_addc_u32 s23, s5, s20
	s_xor_b64 s[22:23], s[22:23], s[20:21]
	s_mul_i32 s25, s22, s7
	s_mul_hi_u32 s26, s22, s24
	s_mul_hi_u32 s5, s22, s7
	;; [unrolled: 1-line block ×3, first 2 shown]
	s_mul_i32 s24, s23, s24
	s_add_u32 s25, s26, s25
	s_addc_u32 s5, 0, s5
	s_mul_hi_u32 s27, s23, s7
	s_add_u32 s24, s25, s24
	s_mul_i32 s7, s23, s7
	s_addc_u32 s5, s5, s28
	s_addc_u32 s24, s27, 0
	s_add_u32 s5, s5, s7
	s_addc_u32 s7, 0, s24
	s_mul_hi_u32 s24, s0, s5
	s_mul_i32 s25, s0, s7
	s_mul_i32 s26, s1, s5
	s_add_i32 s24, s24, s25
	s_mul_i32 s25, s0, s5
	s_add_i32 s24, s24, s26
	s_sub_i32 s26, s23, s24
	s_sub_u32 s22, s22, s25
	s_cselect_b32 s25, -1, 0
	s_cmp_lg_u32 s25, 0
	s_subb_u32 s26, s26, s1
	s_sub_u32 s27, s22, s0
	s_cselect_b32 s28, -1, 0
	s_cmp_lg_u32 s28, 0
	s_subb_u32 s26, s26, 0
	s_cmp_ge_u32 s26, s1
	s_cselect_b32 s28, -1, 0
	s_cmp_ge_u32 s27, s0
	s_cselect_b32 s27, -1, 0
	s_cmp_eq_u32 s26, s1
	s_cselect_b32 s26, s27, s28
	s_add_u32 s27, s5, 1
	s_addc_u32 s28, s7, 0
	s_add_u32 s29, s5, 2
	s_addc_u32 s30, s7, 0
	s_cmp_lg_u32 s26, 0
	s_cselect_b32 s26, s29, s27
	s_cselect_b32 s27, s30, s28
	s_cmp_lg_u32 s25, 0
	s_subb_u32 s23, s23, s24
	s_cmp_ge_u32 s23, s1
	s_cselect_b32 s24, -1, 0
	s_cmp_ge_u32 s22, s0
	s_cselect_b32 s0, -1, 0
	s_cmp_eq_u32 s23, s1
	s_cselect_b32 s0, s0, s24
	s_cmp_lg_u32 s0, 0
	s_cselect_b32 s1, s27, s7
	s_cselect_b32 s0, s26, s5
	s_xor_b64 s[20:21], s[20:21], 0
	s_mov_b32 s7, 0
	s_xor_b64 s[0:1], s[0:1], s[20:21]
	s_sub_u32 s0, s0, s20
.LBB67_11:                              ;   in Loop: Header=BB67_9 Depth=1
	s_andn2_b32 vcc_lo, exec_lo, s7
	s_cbranch_vccnz .LBB67_13
; %bb.12:                               ;   in Loop: Header=BB67_9 Depth=1
	v_readfirstlane_b32 s0, v0
	s_mul_i32 s1, s16, s0
	s_mul_hi_u32 s1, s0, s1
	s_add_i32 s0, s0, s1
	s_mul_hi_u32 s0, s6, s0
	s_mul_i32 s1, s0, s9
	s_add_i32 s5, s0, 1
	s_sub_i32 s1, s6, s1
	s_sub_i32 s6, s1, s9
	s_cmp_ge_u32 s1, s9
	s_cselect_b32 s0, s5, s0
	s_cselect_b32 s1, s6, s1
	s_add_i32 s5, s0, 1
	s_cmp_ge_u32 s1, s9
	s_cselect_b32 s0, s5, s0
.LBB67_13:                              ;   in Loop: Header=BB67_9 Depth=1
	s_cmp_lg_u32 s10, s0
	s_mov_b32 s6, -1
                                        ; implicit-def: $sgpr5
                                        ; implicit-def: $vgpr8
                                        ; implicit-def: $vgpr7
                                        ; implicit-def: $vgpr9
                                        ; implicit-def: $sgpr1
                                        ; implicit-def: $sgpr20
	s_cbranch_scc0 .LBB67_18
; %bb.14:                               ;   in Loop: Header=BB67_9 Depth=1
	s_add_i32 s1, s17, s9
	s_mov_b32 s7, s4
	s_lshl_b32 s1, s1, 2
	s_mov_b32 s20, s10
	s_add_i32 s6, s1, s8
	s_mul_hi_u32 s1, s0, s12
	s_lshl_b64 s[6:7], s[6:7], 3
	s_add_u32 s6, s18, s6
	s_addc_u32 s7, s19, s7
	s_add_i32 s1, s1, s0
	s_lshr_b32 s1, s1, s13
	s_mul_i32 s5, s1, s14
	s_cmp_eq_u32 s5, s0
	s_cselect_b32 s5, -1, 0
	s_cmp_lt_u32 s1, s11
	s_cselect_b32 s1, -1, 0
	s_or_b32 s1, s1, s5
	s_mov_b32 s5, -1
	s_and_b32 vcc_lo, exec_lo, s1
	s_mov_b32 s1, s17
	s_cbranch_vccnz .LBB67_16
; %bb.15:                               ;   in Loop: Header=BB67_9 Depth=1
	s_add_i32 s1, s17, -1
	s_mov_b32 s5, 0
	s_mov_b32 s20, s0
.LBB67_16:                              ;   in Loop: Header=BB67_9 Depth=1
	v_mad_u64_u32 v[7:8], null, 0x1c0, s17, v[3:4]
	s_load_dwordx2 s[6:7], s[6:7], 0x0
	v_ashrrev_i32_e32 v8, 31, v7
	v_lshlrev_b64 v[7:8], 2, v[7:8]
	v_add_co_u32 v7, vcc_lo, s2, v7
	v_add_co_ci_u32_e64 v8, null, s15, v8, vcc_lo
	s_waitcnt lgkmcnt(0)
	v_max_f32_e64 v9, s6, s6
	global_load_dword v8, v[7:8], off
	v_max_f32_e32 v7, v6, v6
	v_max_f32_e32 v7, v7, v9
	v_sub_f32_e32 v9, s6, v7
	v_sub_f32_e32 v10, v6, v7
	v_mul_f32_e32 v11, 0x3fb8aa3b, v9
	v_mul_f32_e32 v12, 0x3fb8aa3b, v10
	v_cmp_ngt_f32_e32 vcc_lo, 0xc2ce8ed0, v9
	v_fma_f32 v13, 0x3fb8aa3b, v9, -v11
	v_rndne_f32_e32 v14, v11
	v_fma_f32 v15, 0x3fb8aa3b, v10, -v12
	v_rndne_f32_e32 v16, v12
	v_fmac_f32_e32 v13, 0x32a5705f, v9
	v_sub_f32_e32 v11, v11, v14
	v_fmac_f32_e32 v15, 0x32a5705f, v10
	v_sub_f32_e32 v12, v12, v16
	v_add_f32_e32 v11, v11, v13
	v_cvt_i32_f32_e32 v13, v14
	v_add_f32_e32 v12, v12, v15
	v_cvt_i32_f32_e32 v14, v16
	v_exp_f32_e32 v11, v11
	v_exp_f32_e32 v12, v12
	v_ldexp_f32 v11, v11, v13
	v_ldexp_f32 v12, v12, v14
	v_cndmask_b32_e32 v11, 0, v11, vcc_lo
	v_cmp_ngt_f32_e32 vcc_lo, 0xc2ce8ed0, v10
	v_cndmask_b32_e32 v12, 0, v12, vcc_lo
	v_cmp_nlt_f32_e32 vcc_lo, 0x42b17218, v9
	v_cndmask_b32_e32 v11, 0x7f800000, v11, vcc_lo
	v_cmp_nlt_f32_e32 vcc_lo, 0x42b17218, v10
	v_cndmask_b32_e32 v12, 0x7f800000, v12, vcc_lo
	v_cmp_le_f32_e32 vcc_lo, 0xc1a00000, v9
	v_cndmask_b32_e32 v9, 0, v11, vcc_lo
	v_cmp_le_f32_e32 vcc_lo, 0xc1a00000, v10
	v_cndmask_b32_e32 v10, 0, v12, vcc_lo
	s_waitcnt vmcnt(0)
	v_mul_f32_e32 v8, v8, v9
	v_mul_f32_e32 v9, s7, v9
	v_fmac_f32_e32 v8, v5, v10
	v_fmac_f32_e32 v9, v4, v10
	s_cbranch_execz .LBB67_19
.LBB67_17:                              ;   in Loop: Header=BB67_9 Depth=1
	s_andn2_b32 vcc_lo, exec_lo, s5
	s_cbranch_vccnz .LBB67_20
	s_branch .LBB67_23
.LBB67_18:                              ;   in Loop: Header=BB67_9 Depth=1
	s_andn2_b32 vcc_lo, exec_lo, s6
	s_cbranch_vccnz .LBB67_17
.LBB67_19:                              ;   in Loop: Header=BB67_9 Depth=1
	v_mov_b32_e32 v9, v4
	v_mov_b32_e32 v7, v6
	s_waitcnt vmcnt(0)
	v_mov_b32_e32 v8, v5
	s_add_i32 s1, s17, -1
	s_mov_b32 s20, s10
	s_cbranch_execz .LBB67_23
.LBB67_20:                              ;   in Loop: Header=BB67_9 Depth=1
	v_mov_b32_e32 v4, v9
	v_mov_b32_e32 v6, v7
	s_waitcnt vmcnt(0)
	v_mov_b32_e32 v5, v8
	s_mov_b32 s10, s20
	s_mov_b32 s17, s1
	s_branch .LBB67_9
.LBB67_21:
                                        ; implicit-def: $sgpr10_sgpr11
	s_load_dwordx4 s[12:15], s[4:5], 0x44
	s_branch .LBB67_2
.LBB67_22:
                                        ; implicit-def: $sgpr18_sgpr19
	s_branch .LBB67_5
.LBB67_23:
	v_div_scale_f32 v0, null, v9, v9, v8
	v_rcp_f32_e32 v3, v0
	v_fma_f32 v4, -v0, v3, 1.0
	v_fmac_f32_e32 v3, v4, v3
	v_div_scale_f32 v4, vcc_lo, v8, v9, v8
	s_waitcnt vmcnt(0)
	v_mul_f32_e32 v5, v4, v3
	v_fma_f32 v6, -v0, v5, v4
	v_fmac_f32_e32 v5, v6, v3
	v_fma_f32 v0, -v0, v5, v4
	v_div_fmas_f32 v0, v0, v3, v5
	v_div_fixup_f32 v0, v0, v9, v8
	global_store_dword v[1:2], v0, off
.LBB67_24:
	s_endpgm
	.section	.rodata,"a",@progbits
	.p2align	6, 0x0
	.amdhsa_kernel _ZL33flash_attn_stream_k_fixup_generalILi112ELi4ELi1EEvPfPK15HIP_vector_typeIfLj2EEiiiiS1_IjLj3EES5_S5_S5_
		.amdhsa_group_segment_fixed_size 0
		.amdhsa_private_segment_fixed_size 0
		.amdhsa_kernarg_size 336
		.amdhsa_user_sgpr_count 6
		.amdhsa_user_sgpr_private_segment_buffer 1
		.amdhsa_user_sgpr_dispatch_ptr 0
		.amdhsa_user_sgpr_queue_ptr 0
		.amdhsa_user_sgpr_kernarg_segment_ptr 1
		.amdhsa_user_sgpr_dispatch_id 0
		.amdhsa_user_sgpr_flat_scratch_init 0
		.amdhsa_user_sgpr_private_segment_size 0
		.amdhsa_wavefront_size32 1
		.amdhsa_uses_dynamic_stack 0
		.amdhsa_system_sgpr_private_segment_wavefront_offset 0
		.amdhsa_system_sgpr_workgroup_id_x 1
		.amdhsa_system_sgpr_workgroup_id_y 1
		.amdhsa_system_sgpr_workgroup_id_z 1
		.amdhsa_system_sgpr_workgroup_info 0
		.amdhsa_system_vgpr_workitem_id 0
		.amdhsa_next_free_vgpr 17
		.amdhsa_next_free_sgpr 31
		.amdhsa_reserve_vcc 1
		.amdhsa_reserve_flat_scratch 0
		.amdhsa_float_round_mode_32 0
		.amdhsa_float_round_mode_16_64 0
		.amdhsa_float_denorm_mode_32 3
		.amdhsa_float_denorm_mode_16_64 3
		.amdhsa_dx10_clamp 1
		.amdhsa_ieee_mode 1
		.amdhsa_fp16_overflow 0
		.amdhsa_workgroup_processor_mode 1
		.amdhsa_memory_ordered 1
		.amdhsa_forward_progress 1
		.amdhsa_shared_vgpr_count 0
		.amdhsa_exception_fp_ieee_invalid_op 0
		.amdhsa_exception_fp_denorm_src 0
		.amdhsa_exception_fp_ieee_div_zero 0
		.amdhsa_exception_fp_ieee_overflow 0
		.amdhsa_exception_fp_ieee_underflow 0
		.amdhsa_exception_fp_ieee_inexact 0
		.amdhsa_exception_int_div_zero 0
	.end_amdhsa_kernel
	.section	.text._ZL33flash_attn_stream_k_fixup_generalILi112ELi4ELi1EEvPfPK15HIP_vector_typeIfLj2EEiiiiS1_IjLj3EES5_S5_S5_,"axG",@progbits,_ZL33flash_attn_stream_k_fixup_generalILi112ELi4ELi1EEvPfPK15HIP_vector_typeIfLj2EEiiiiS1_IjLj3EES5_S5_S5_,comdat
.Lfunc_end67:
	.size	_ZL33flash_attn_stream_k_fixup_generalILi112ELi4ELi1EEvPfPK15HIP_vector_typeIfLj2EEiiiiS1_IjLj3EES5_S5_S5_, .Lfunc_end67-_ZL33flash_attn_stream_k_fixup_generalILi112ELi4ELi1EEvPfPK15HIP_vector_typeIfLj2EEiiiiS1_IjLj3EES5_S5_S5_
                                        ; -- End function
	.set _ZL33flash_attn_stream_k_fixup_generalILi112ELi4ELi1EEvPfPK15HIP_vector_typeIfLj2EEiiiiS1_IjLj3EES5_S5_S5_.num_vgpr, 17
	.set _ZL33flash_attn_stream_k_fixup_generalILi112ELi4ELi1EEvPfPK15HIP_vector_typeIfLj2EEiiiiS1_IjLj3EES5_S5_S5_.num_agpr, 0
	.set _ZL33flash_attn_stream_k_fixup_generalILi112ELi4ELi1EEvPfPK15HIP_vector_typeIfLj2EEiiiiS1_IjLj3EES5_S5_S5_.numbered_sgpr, 31
	.set _ZL33flash_attn_stream_k_fixup_generalILi112ELi4ELi1EEvPfPK15HIP_vector_typeIfLj2EEiiiiS1_IjLj3EES5_S5_S5_.num_named_barrier, 0
	.set _ZL33flash_attn_stream_k_fixup_generalILi112ELi4ELi1EEvPfPK15HIP_vector_typeIfLj2EEiiiiS1_IjLj3EES5_S5_S5_.private_seg_size, 0
	.set _ZL33flash_attn_stream_k_fixup_generalILi112ELi4ELi1EEvPfPK15HIP_vector_typeIfLj2EEiiiiS1_IjLj3EES5_S5_S5_.uses_vcc, 1
	.set _ZL33flash_attn_stream_k_fixup_generalILi112ELi4ELi1EEvPfPK15HIP_vector_typeIfLj2EEiiiiS1_IjLj3EES5_S5_S5_.uses_flat_scratch, 0
	.set _ZL33flash_attn_stream_k_fixup_generalILi112ELi4ELi1EEvPfPK15HIP_vector_typeIfLj2EEiiiiS1_IjLj3EES5_S5_S5_.has_dyn_sized_stack, 0
	.set _ZL33flash_attn_stream_k_fixup_generalILi112ELi4ELi1EEvPfPK15HIP_vector_typeIfLj2EEiiiiS1_IjLj3EES5_S5_S5_.has_recursion, 0
	.set _ZL33flash_attn_stream_k_fixup_generalILi112ELi4ELi1EEvPfPK15HIP_vector_typeIfLj2EEiiiiS1_IjLj3EES5_S5_S5_.has_indirect_call, 0
	.section	.AMDGPU.csdata,"",@progbits
; Kernel info:
; codeLenInByte = 2940
; TotalNumSgprs: 33
; NumVgprs: 17
; ScratchSize: 0
; MemoryBound: 0
; FloatMode: 240
; IeeeMode: 1
; LDSByteSize: 0 bytes/workgroup (compile time only)
; SGPRBlocks: 0
; VGPRBlocks: 2
; NumSGPRsForWavesPerEU: 33
; NumVGPRsForWavesPerEU: 17
; Occupancy: 16
; WaveLimiterHint : 0
; COMPUTE_PGM_RSRC2:SCRATCH_EN: 0
; COMPUTE_PGM_RSRC2:USER_SGPR: 6
; COMPUTE_PGM_RSRC2:TRAP_HANDLER: 0
; COMPUTE_PGM_RSRC2:TGID_X_EN: 1
; COMPUTE_PGM_RSRC2:TGID_Y_EN: 1
; COMPUTE_PGM_RSRC2:TGID_Z_EN: 1
; COMPUTE_PGM_RSRC2:TIDIG_COMP_CNT: 0
	.section	.text._ZL15flash_attn_tileILi112ELi112ELi2ELi1ELb0EEvPKcS1_S1_S1_S1_PKiPfP15HIP_vector_typeIfLj2EEffffjfiS5_IjLj3EEiiiiiiiiiiiliiliiiiil,"axG",@progbits,_ZL15flash_attn_tileILi112ELi112ELi2ELi1ELb0EEvPKcS1_S1_S1_S1_PKiPfP15HIP_vector_typeIfLj2EEffffjfiS5_IjLj3EEiiiiiiiiiiiliiliiiiil,comdat
	.globl	_ZL15flash_attn_tileILi112ELi112ELi2ELi1ELb0EEvPKcS1_S1_S1_S1_PKiPfP15HIP_vector_typeIfLj2EEffffjfiS5_IjLj3EEiiiiiiiiiiiliiliiiiil ; -- Begin function _ZL15flash_attn_tileILi112ELi112ELi2ELi1ELb0EEvPKcS1_S1_S1_S1_PKiPfP15HIP_vector_typeIfLj2EEffffjfiS5_IjLj3EEiiiiiiiiiiiliiliiiiil
	.p2align	8
	.type	_ZL15flash_attn_tileILi112ELi112ELi2ELi1ELb0EEvPKcS1_S1_S1_S1_PKiPfP15HIP_vector_typeIfLj2EEffffjfiS5_IjLj3EEiiiiiiiiiiiliiliiiiil,@function
_ZL15flash_attn_tileILi112ELi112ELi2ELi1ELb0EEvPKcS1_S1_S1_S1_PKiPfP15HIP_vector_typeIfLj2EEffffjfiS5_IjLj3EEiiiiiiiiiiiliiliiiiil: ; @_ZL15flash_attn_tileILi112ELi112ELi2ELi1ELb0EEvPKcS1_S1_S1_S1_PKiPfP15HIP_vector_typeIfLj2EEffffjfiS5_IjLj3EEiiiiiiiiiiiliiliiiiil
; %bb.0:
	s_add_u32 s6, s6, s11
	s_addc_u32 s7, s7, 0
	s_setreg_b32 hwreg(HW_REG_FLAT_SCR_LO), s6
	s_setreg_b32 hwreg(HW_REG_FLAT_SCR_HI), s7
	s_clause 0x1
	s_load_dwordx4 s[28:31], s[4:5], 0x5c
	s_load_dwordx2 s[44:45], s[4:5], 0x80
	s_add_u32 s0, s0, s11
	s_addc_u32 s1, s1, 0
	s_mov_b32 s34, s9
	s_mov_b64 s[42:43], 0
	s_waitcnt lgkmcnt(0)
	v_cvt_f32_u32_e32 v2, s31
	s_sub_i32 s7, 0, s31
	v_rcp_iflag_f32_e32 v2, v2
	v_mul_f32_e32 v2, 0x4f7ffffe, v2
	v_cvt_u32_f32_e32 v2, v2
	v_readfirstlane_b32 s6, v2
	s_mul_i32 s7, s7, s6
	s_mul_hi_u32 s7, s6, s7
	s_add_i32 s6, s6, s7
	s_mul_hi_u32 s6, s10, s6
	s_mul_i32 s7, s6, s31
	s_add_i32 s9, s6, 1
	s_sub_i32 s7, s10, s7
	s_sub_i32 s11, s7, s31
	s_cmp_ge_u32 s7, s31
	s_cselect_b32 s6, s9, s6
	s_cselect_b32 s7, s11, s7
	s_add_i32 s9, s6, 1
	s_cmp_ge_u32 s7, s31
	s_cselect_b32 s33, s9, s6
	s_abs_i32 s6, s45
	s_abs_i32 s12, s31
	v_cvt_f32_u32_e32 v2, s6
	s_sub_i32 s9, 0, s6
	s_xor_b32 s11, s31, s45
	s_ashr_i32 s11, s11, 31
	v_rcp_iflag_f32_e32 v2, v2
	v_mul_f32_e32 v2, 0x4f7ffffe, v2
	v_cvt_u32_f32_e32 v2, v2
	v_readfirstlane_b32 s7, v2
	s_mul_i32 s9, s9, s7
	s_mul_hi_u32 s9, s7, s9
	s_add_i32 s7, s7, s9
	s_mul_i32 s9, s33, s31
	s_mul_hi_u32 s7, s12, s7
	s_sub_i32 s40, s10, s9
	s_mul_i32 s13, s7, s6
	s_add_i32 s10, s7, 1
	s_sub_i32 s9, s12, s13
	s_sub_i32 s12, s9, s6
	s_cmp_ge_u32 s9, s6
	s_cselect_b32 s7, s10, s7
	s_cselect_b32 s9, s12, s9
	s_add_i32 s10, s7, 1
	s_cmp_ge_u32 s9, s6
	s_clause 0x1
	s_load_dwordx16 s[12:27], s[4:5], 0x0
	s_load_dwordx2 s[46:47], s[4:5], 0xb8
	s_cselect_b32 s6, s10, s7
	s_xor_b32 s6, s6, s11
	s_sub_i32 s10, s6, s11
	s_abs_i32 s35, s10
	v_cvt_f32_u32_e32 v2, s35
	s_sub_i32 s6, 0, s35
	v_rcp_iflag_f32_e32 v2, v2
	s_waitcnt lgkmcnt(0)
	s_cmp_eq_u64 s[18:19], 0
	v_mul_f32_e32 v2, 0x4f7ffffe, v2
	v_cvt_u32_f32_e32 v2, v2
	v_readfirstlane_b32 s11, v2
	s_mul_i32 s6, s6, s11
	s_mul_hi_u32 s6, s11, s6
	s_cbranch_scc1 .LBB68_2
; %bb.1:
	s_abs_i32 s7, s46
	s_abs_i32 s38, s33
	v_cvt_f32_u32_e32 v2, s7
	s_sub_i32 s36, 0, s7
	v_rcp_iflag_f32_e32 v2, v2
	v_mul_f32_e32 v2, 0x4f7ffffe, v2
	v_cvt_u32_f32_e32 v2, v2
	v_readfirstlane_b32 s9, v2
	s_mul_i32 s36, s36, s9
	s_mul_hi_u32 s36, s9, s36
	s_add_i32 s9, s9, s36
	s_load_dwordx2 s[36:37], s[4:5], 0xc8
	s_mul_hi_u32 s9, s38, s9
	s_mul_i32 s9, s9, s7
	s_sub_i32 s9, s38, s9
	s_ashr_i32 s38, s33, 31
	s_sub_i32 s39, s9, s7
	s_cmp_ge_u32 s9, s7
	s_cselect_b32 s9, s39, s9
	s_sub_i32 s39, s9, s7
	s_cmp_ge_u32 s9, s7
	s_cselect_b32 s7, s39, s9
	s_xor_b32 s7, s7, s38
	s_sub_i32 s7, s7, s38
	s_ashr_i32 s9, s7, 31
	s_waitcnt lgkmcnt(0)
	s_mul_hi_u32 s38, s36, s7
	s_mul_i32 s9, s36, s9
	s_mul_i32 s37, s37, s7
	s_add_i32 s9, s38, s9
	s_mul_i32 s7, s36, s7
	s_add_i32 s9, s9, s37
	s_add_u32 s42, s18, s7
	s_addc_u32 s43, s19, s9
.LBB68_2:
	s_clause 0x1
	s_load_dwordx4 s[36:39], s[4:5], 0x40
	s_load_dword s7, s[4:5], 0x50
	v_mov_b32_e32 v67, 1.0
	s_add_i32 s11, s11, s6
	s_waitcnt lgkmcnt(0)
	v_cmp_le_f32_e64 s9, s37, 0
	s_abs_i32 s37, s40
	s_and_b32 vcc_lo, exec_lo, s9
	s_cbranch_vccnz .LBB68_4
; %bb.3:
	v_sub_co_u32 v3, vcc_lo, s40, s7
	v_mov_b32_e32 v2, s38
	s_add_i32 s6, s40, 1
	v_lshlrev_b32_e32 v3, 1, v3
	v_cndmask_b32_e32 v2, s39, v2, vcc_lo
	v_or_b32_e32 v3, 1, v3
	v_cndmask_b32_e64 v3, v3, s6, vcc_lo
	v_cmp_neq_f32_e32 vcc_lo, 1.0, v2
	s_mov_b32 s6, 0x3e76c4e1
	v_cvt_f32_i32_e32 v3, v3
	v_cndmask_b32_e32 v4, 1.0, v3, vcc_lo
	v_cmp_neq_f32_e32 vcc_lo, 0, v4
	v_cndmask_b32_e32 v5, 1.0, v2, vcc_lo
	v_frexp_mant_f32_e64 v2, |v5|
	v_cmp_eq_f32_e64 s9, 0, v5
	v_cmp_gt_f32_e32 vcc_lo, 0x3f2aaaab, v2
	v_cndmask_b32_e64 v3, 1.0, 2.0, vcc_lo
	v_mul_f32_e32 v2, v2, v3
	v_add_f32_e32 v3, 1.0, v2
	v_add_f32_e32 v7, -1.0, v2
	v_rcp_f32_e32 v6, v3
	v_add_f32_e32 v9, -1.0, v3
	v_sub_f32_e32 v2, v2, v9
	v_mul_f32_e32 v8, v7, v6
	v_mul_f32_e32 v10, v3, v8
	v_fma_f32 v3, v8, v3, -v10
	v_fmac_f32_e32 v3, v8, v2
	v_add_f32_e32 v2, v10, v3
	v_sub_f32_e32 v9, v7, v2
	v_sub_f32_e32 v10, v2, v10
	;; [unrolled: 1-line block ×5, first 2 shown]
	v_add_f32_e32 v2, v3, v2
	v_add_f32_e32 v2, v9, v2
	v_mul_f32_e32 v2, v6, v2
	v_add_f32_e32 v6, v8, v2
	v_sub_f32_e32 v3, v6, v8
	v_mul_f32_e32 v7, v6, v6
	v_sub_f32_e32 v8, v2, v3
	v_fma_f32 v2, v6, v6, -v7
	v_add_f32_e32 v3, v8, v8
	v_fmac_f32_e32 v2, v6, v3
	v_add_f32_e32 v9, v7, v2
	v_fmaak_f32 v3, s6, v9, 0x3e91f4c4
	v_sub_f32_e32 v7, v9, v7
	v_mul_f32_e32 v14, v6, v9
	v_fmaak_f32 v3, v9, v3, 0x3ecccdef
	v_sub_f32_e32 v7, v2, v7
	v_fma_f32 v15, v9, v6, -v14
	v_mul_f32_e32 v10, v9, v3
	v_fmac_f32_e32 v15, v9, v8
	v_ldexp_f32 v8, v8, 1
	v_fma_f32 v11, v9, v3, -v10
	v_fmac_f32_e32 v15, v7, v6
	v_fmac_f32_e32 v11, v7, v3
	v_cvt_f64_f32_e64 v[2:3], |v5|
	v_add_f32_e32 v12, v10, v11
	v_sub_f32_e32 v10, v12, v10
	v_add_f32_e32 v13, 0x3f2aaaaa, v12
	v_sub_f32_e32 v10, v11, v10
	v_add_f32_e32 v11, 0xbf2aaaaa, v13
	v_add_f32_e32 v10, 0x31739010, v10
	v_sub_f32_e32 v11, v12, v11
	v_frexp_exp_i32_f64_e32 v2, v[2:3]
	v_add_f32_e32 v9, v10, v11
	v_add_f32_e32 v10, v14, v15
	;; [unrolled: 1-line block ×3, first 2 shown]
	v_sub_f32_e32 v12, v10, v14
	v_sub_f32_e32 v3, v13, v7
	v_mul_f32_e32 v11, v10, v7
	v_sub_f32_e32 v12, v15, v12
	v_add_f32_e32 v3, v9, v3
	v_fma_f32 v9, v10, v7, -v11
	v_subrev_co_ci_u32_e64 v2, null, 0, v2, vcc_lo
	v_fmac_f32_e32 v9, v10, v3
	v_ldexp_f32 v3, v6, 1
	v_cvt_f32_i32_e32 v2, v2
	v_fmac_f32_e32 v9, v12, v7
	v_add_f32_e32 v6, v11, v9
	v_add_f32_e32 v7, v3, v6
	v_sub_f32_e32 v10, v6, v11
	v_mul_f32_e32 v11, 0x3f317218, v2
	v_sub_f32_e32 v3, v7, v3
	v_sub_f32_e32 v9, v9, v10
	v_fma_f32 v10, 0x3f317218, v2, -v11
	v_sub_f32_e32 v3, v6, v3
	v_add_f32_e32 v6, v8, v9
	v_fmamk_f32 v2, v2, 0xb102e308, v10
	v_add_f32_e32 v3, v6, v3
	v_add_f32_e32 v6, v11, v2
	;; [unrolled: 1-line block ×3, first 2 shown]
	v_sub_f32_e32 v11, v6, v11
	v_add_f32_e32 v9, v6, v8
	v_sub_f32_e32 v7, v8, v7
	v_sub_f32_e32 v2, v2, v11
	;; [unrolled: 1-line block ×6, first 2 shown]
	v_add_f32_e32 v8, v2, v3
	v_sub_f32_e32 v6, v6, v12
	v_add_f32_e32 v6, v7, v6
	v_sub_f32_e32 v7, v8, v2
	;; [unrolled: 2-line block ×3, first 2 shown]
	v_sub_f32_e32 v3, v3, v7
	v_add_f32_e32 v10, v9, v6
	v_sub_f32_e32 v2, v2, v8
	v_sub_f32_e32 v7, v10, v9
	v_add_f32_e32 v2, v3, v2
	v_sub_f32_e32 v3, v6, v7
	v_add_f32_e32 v2, v2, v3
	v_add_f32_e32 v3, v10, v2
	v_sub_f32_e32 v6, v3, v10
	v_mul_f32_e32 v7, v4, v3
	v_sub_f32_e32 v2, v2, v6
	v_fma_f32 v3, v4, v3, -v7
	v_cmp_class_f32_e64 vcc_lo, v7, 0x204
	v_fmac_f32_e32 v3, v4, v2
	v_add_f32_e32 v2, v7, v3
	v_cndmask_b32_e32 v6, v2, v7, vcc_lo
	v_sub_f32_e32 v2, v2, v7
	v_cmp_eq_f32_e32 vcc_lo, 0x42b17218, v6
	v_sub_f32_e32 v2, v3, v2
	v_cndmask_b32_e64 v8, 0, 0x37000000, vcc_lo
	v_cmp_neq_f32_e64 vcc_lo, 0x7f800000, |v6|
	v_sub_f32_e32 v9, v6, v8
	v_cndmask_b32_e32 v2, 0, v2, vcc_lo
	v_trunc_f32_e32 v6, v4
	v_mul_f32_e32 v10, 0x3fb8aa3b, v9
	v_cmp_ngt_f32_e32 vcc_lo, 0xc2ce8ed0, v9
	v_add_f32_e32 v2, v8, v2
	v_fma_f32 v11, 0x3fb8aa3b, v9, -v10
	v_rndne_f32_e32 v12, v10
	v_fmamk_f32 v11, v9, 0x32a5705f, v11
	v_sub_f32_e32 v10, v10, v12
	v_cvt_i32_f32_e32 v7, v12
	v_add_f32_e32 v10, v10, v11
	v_exp_f32_e32 v10, v10
	v_ldexp_f32 v3, v10, v7
	v_mul_f32_e32 v7, 0.5, v4
	v_cndmask_b32_e32 v3, 0, v3, vcc_lo
	v_cmp_nlt_f32_e32 vcc_lo, 0x42b17218, v9
	v_trunc_f32_e32 v10, v7
	v_cndmask_b32_e32 v3, 0x7f800000, v3, vcc_lo
	v_cmp_eq_f32_e32 vcc_lo, v6, v4
	v_cmp_neq_f32_e64 s6, v10, v7
	v_fma_f32 v2, v3, v2, v3
	v_cmp_class_f32_e64 s7, v3, 0x204
	s_and_b32 s6, vcc_lo, s6
	v_cndmask_b32_e64 v6, 1.0, v5, s6
	v_cndmask_b32_e64 v2, v2, v3, s7
	v_cmp_gt_f32_e64 s7, 0, v4
	v_bfi_b32 v2, 0x7fffffff, v2, v6
	s_xor_b32 s7, s7, s9
	v_cndmask_b32_e64 v6, 0, v5, s6
	v_cndmask_b32_e64 v3, 0x7f800000, 0, s7
	v_cmp_class_f32_e64 s6, v5, 0x204
	v_cndmask_b32_e32 v4, 0x7fc00000, v2, vcc_lo
	v_cmp_gt_f32_e32 vcc_lo, 0, v5
	v_bfi_b32 v3, 0x7fffffff, v3, v6
	v_cndmask_b32_e32 v2, v2, v4, vcc_lo
	s_or_b32 vcc_lo, s9, s6
	v_cndmask_b32_e32 v2, v2, v3, vcc_lo
	v_cmp_o_f32_e32 vcc_lo, v5, v5
	v_cndmask_b32_e32 v67, 0x7fc00000, v2, vcc_lo
.LBB68_4:
	s_lshl_b32 s7, s8, 1
	s_movk_i32 s9, 0xe0
	v_cmp_gt_u32_e64 s6, 28, v0
	v_mad_u32_u24 v68, v1, s9, 0x1040
	v_lshlrev_b32_e32 v60, 3, v0
	v_add_nc_u32_e32 v42, s7, v1
	s_mul_hi_u32 s7, s37, s11
	s_and_saveexec_b32 s9, s6
	s_cbranch_execz .LBB68_6
; %bb.5:
	v_mul_hi_u32 v2, s28, v42
	s_load_dwordx4 s[48:51], s[4:5], 0x70
	v_add_nc_u32_e32 v6, v68, v60
	v_add_nc_u32_e32 v2, v42, v2
	v_lshrrev_b32_e32 v2, s29, v2
	v_mul_lo_u32 v2, v2, s30
	s_waitcnt lgkmcnt(0)
	s_mul_i32 s11, s33, s50
	s_mul_i32 s18, s40, s49
	s_ashr_i32 s19, s11, 31
	s_add_u32 s11, s12, s11
	s_addc_u32 s12, s13, s19
	s_ashr_i32 s13, s18, 31
	s_add_u32 s11, s11, s18
	v_sub_nc_u32_e32 v4, v42, v2
	s_addc_u32 s18, s12, s13
	s_ashr_i32 s49, s48, 31
	s_lshr_b64 s[12:13], s[48:49], 2
	v_mad_u64_u32 v[2:3], null, s12, v4, 0
	s_lshr_b32 s12, s49, 2
	v_mad_u64_u32 v[3:4], null, s12, v4, v[3:4]
	v_lshlrev_b32_e32 v4, 4, v0
	v_lshlrev_b64 v[2:3], 2, v[2:3]
	v_add_co_u32 v2, vcc_lo, s11, v2
	v_add_co_ci_u32_e64 v3, null, s18, v3, vcc_lo
	v_add_co_u32 v2, vcc_lo, v2, v4
	v_add_co_ci_u32_e64 v3, null, 0, v3, vcc_lo
	global_load_dwordx4 v[2:5], v[2:3], off
	s_waitcnt vmcnt(0)
	v_fma_mixlo_f16 v3, s36, v3, 0
	v_fma_mixlo_f16 v2, s36, v2, 0
	;; [unrolled: 1-line block ×4, first 2 shown]
	v_lshlrev_b32_e32 v3, 16, v3
	v_and_b32_e32 v2, 0xffff, v2
	v_and_b32_e32 v4, 0xffff, v4
	v_lshlrev_b32_e32 v5, 16, v5
	v_or_b32_e32 v2, v3, v2
	v_or3_b32 v3, v5, v4, 0
	v_or3_b32 v2, 0, 0, v2
	ds_write_b64 v6, v[2:3]
.LBB68_6:
	s_or_b32 exec_lo, exec_lo, s9
	s_ashr_i32 s41, s40, 31
	s_ashr_i32 s12, s10, 31
	s_cmp_eq_u64 s[22:23], 0
	s_waitcnt lgkmcnt(0)
	s_barrier
	buffer_gl0_inv
	s_cbranch_scc1 .LBB68_8
; %bb.7:
	s_load_dword s9, s[4:5], 0xd0
	s_waitcnt lgkmcnt(0)
	s_mul_i32 s9, s9, s33
	s_add_i32 s8, s9, s8
	s_mov_b32 s9, 0
	s_lshl_b64 s[8:9], s[8:9], 2
	s_add_u32 s8, s22, s8
	s_addc_u32 s9, s23, s9
	s_load_dword s44, s[8:9], 0x0
.LBB68_8:
	s_clause 0x2
	s_load_dwordx2 s[22:23], s[4:5], 0x8c
	s_load_dwordx4 s[8:11], s[4:5], 0x98
	s_load_dwordx2 s[38:39], s[4:5], 0xa8
	s_ashr_i32 s13, s33, 31
	s_ashr_i32 s19, s47, 1
	s_mul_i32 s36, s7, s35
	v_lshl_add_u32 v74, v1, 5, v0
	v_lshlrev_b32_e32 v70, 7, v0
	v_lshrrev_b32_e32 v73, 1, v0
	v_lshlrev_b32_e32 v65, 2, v0
	v_lshrrev_b32_e32 v72, 2, v0
	v_lshl_add_u32 v62, v1, 6, 0x1200
	v_lshrrev_b32_e32 v66, 3, v0
	v_mbcnt_lo_u32_b32 v61, -1, 0
	s_waitcnt lgkmcnt(0)
	s_ashr_i32 s22, s22, 2
	s_ashr_i32 s18, s10, 2
	s_mul_hi_u32 s10, s8, s33
	s_mul_i32 s45, s8, s13
	s_mul_i32 s9, s9, s33
	s_add_i32 s10, s10, s45
	s_mul_i32 s8, s8, s33
	s_add_i32 s10, s10, s9
	s_add_u32 s8, s14, s8
	s_addc_u32 s9, s15, s10
	s_xor_b32 s10, s41, s12
	s_sub_i32 s12, s37, s36
	s_add_i32 s14, s7, 1
	s_sub_i32 s15, s12, s35
	s_cmp_ge_u32 s12, s35
	s_mul_i32 s13, s38, s13
	s_cselect_b32 s7, s14, s7
	s_cselect_b32 s12, s15, s12
	s_add_i32 s14, s7, 1
	s_cmp_ge_u32 s12, s35
	s_mul_hi_u32 s12, s38, s33
	s_cselect_b32 s7, s14, s7
	s_mul_i32 s15, s38, s33
	s_xor_b32 s7, s7, s10
	s_sub_i32 s7, s7, s10
	s_mul_i32 s10, s39, s33
	s_mul_i32 s14, s7, s23
	;; [unrolled: 1-line block ×3, first 2 shown]
	s_ashr_i32 s35, s14, 31
	s_add_u32 s23, s8, s14
	s_addc_u32 s35, s9, s35
	s_add_i32 s8, s12, s13
	s_add_i32 s8, s8, s10
	s_add_u32 s9, s16, s15
	s_addc_u32 s8, s17, s8
	s_ashr_i32 s10, s7, 31
	s_add_u32 s14, s9, s7
	s_addc_u32 s15, s8, s10
	s_lshl_b32 s16, s34, 5
	s_sub_i32 s11, s44, 32
	s_cmp_ge_i32 s16, s11
	s_cbranch_scc1 .LBB68_23
; %bb.9:
	v_mul_hi_u32 v3, s28, v42
	v_lshl_add_u32 v13, v1, 3, v72
	v_lshl_add_u32 v15, v1, 2, v66
	;; [unrolled: 1-line block ×3, first 2 shown]
	v_and_b32_e32 v18, 4, v65
	v_and_b32_e32 v19, 12, v65
	v_mul_lo_u32 v6, s22, v13
	v_mul_lo_u32 v8, s18, v15
	v_add_nc_u32_e32 v3, v42, v3
	v_and_b32_e32 v21, 28, v65
	v_mul_lo_u32 v2, s22, v74
	v_mul_lo_u32 v4, s22, v9
	;; [unrolled: 1-line block ×3, first 2 shown]
	v_lshrrev_b32_e32 v3, s29, v3
	v_lshlrev_b32_e32 v5, 7, v9
	v_lshlrev_b32_e32 v17, 2, v18
	;; [unrolled: 1-line block ×3, first 2 shown]
	v_lshl_add_u32 v10, s22, 4, v6
	v_mul_lo_u32 v7, v3, s30
	v_mul_u32_u24_e32 v22, 0xe0, v9
	v_lshlrev_b32_e32 v24, 2, v21
	v_lshl_add_u32 v16, s18, 3, v8
	v_ashrrev_i32_e32 v3, 31, v2
	v_or3_b32 v77, v5, v17, 64
	v_lshl_or_b32 v78, v13, 7, v20
	v_ashrrev_i32_e32 v5, 31, v4
	v_sub_nc_u32_e32 v12, v42, v7
	v_ashrrev_i32_e32 v7, 31, v6
	v_ashrrev_i32_e32 v11, 31, v10
	v_cmp_gt_u32_e64 s8, 16, v9
	v_mul_u32_u24_e32 v23, 0xe0, v13
	v_mad_u64_u32 v[43:44], null, v12, s19, v[0:1]
	v_mul_lo_u32 v12, s18, v13
	v_or_b32_e32 v22, v22, v17
	v_ashrrev_i32_e32 v9, 31, v8
	v_mad_u32_u24 v80, 0xe0, v15, v24
	v_ashrrev_i32_e32 v17, 31, v16
	v_ashrrev_i32_e32 v15, 31, v14
	v_lshlrev_b64 v[44:45], 2, v[2:3]
	v_lshlrev_b64 v[46:47], 2, v[4:5]
	v_ashrrev_i32_e32 v13, 31, v12
	v_lshlrev_b64 v[48:49], 2, v[6:7]
	v_lshlrev_b64 v[50:51], 2, v[10:11]
	;; [unrolled: 1-line block ×6, first 2 shown]
	v_cmp_gt_u32_e64 s7, 32, v74
	v_mov_b32_e32 v63, 0
	v_or_b32_e32 v75, 0x60, v70
	s_cmp_lg_u64 s[42:43], 0
	v_lshl_add_u32 v76, v0, 1, v62
	v_add_nc_u32_e32 v79, 0x800, v78
	v_add_nc_u32_e32 v81, 0xc0, v22
	v_add3_u32 v82, v23, v20, 0x80
	v_add_nc_u32_e32 v83, 0x700, v80
	v_mov_b32_e32 v90, 0xfeffffff
	v_lshlrev_b32_e32 v84, 2, v18
	v_lshlrev_b32_e32 v85, 2, v19
	;; [unrolled: 1-line block ×3, first 2 shown]
	v_mbcnt_lo_u32_b32 v87, -1, 0
	v_mov_b32_e32 v88, 0x10001
	v_mov_b32_e32 v64, 0
	;; [unrolled: 1-line block ×3, first 2 shown]
	s_cselect_b32 s17, -1, 0
	s_add_u32 s12, s4, 0xd0
	s_addc_u32 s13, s5, 0
.LBB68_10:                              ; =>This Inner Loop Header: Depth=1
	s_mul_hi_i32 s37, s16, s22
	s_mul_i32 s36, s16, s22
	s_lshl_b64 s[36:37], s[36:37], 2
	s_add_u32 s9, s23, s36
	s_addc_u32 s10, s35, s37
	s_and_saveexec_b32 s36, s7
	s_cbranch_execz .LBB68_12
; %bb.11:                               ;   in Loop: Header=BB68_10 Depth=1
	v_add_co_u32 v2, vcc_lo, s9, v44
	v_add_co_ci_u32_e64 v3, null, s10, v45, vcc_lo
	global_load_dwordx4 v[2:5], v[2:3], off offset:96
	s_waitcnt vmcnt(0)
	ds_write_b128 v75, v[2:5]
.LBB68_12:                              ;   in Loop: Header=BB68_10 Depth=1
	s_or_b32 exec_lo, exec_lo, s36
	v_add_co_u32 v2, vcc_lo, s9, v46
	v_add_co_ci_u32_e64 v3, null, s10, v47, vcc_lo
	v_add_co_u32 v2, vcc_lo, v2, v84
	v_add_co_ci_u32_e64 v3, null, 0, v3, vcc_lo
	;; [unrolled: 2-line block ×6, first 2 shown]
	s_clause 0x2
	global_load_dwordx4 v[8:11], v[2:3], off offset:64
	global_load_dwordx4 v[12:15], v[4:5], off
	global_load_dwordx4 v[16:19], v[6:7], off
	s_waitcnt vmcnt(2)
	ds_write_b128 v77, v[8:11]
	s_waitcnt vmcnt(1)
	ds_write_b128 v78, v[12:15]
	;; [unrolled: 2-line block ×3, first 2 shown]
	s_waitcnt lgkmcnt(0)
	s_barrier
	buffer_gl0_inv
	ds_read_b128 v[9:12], v70
	ds_read_b128 v[13:16], v68
	v_mov_b32_e32 v8, 0
	s_waitcnt lgkmcnt(0)
	;;#ASMSTART
	v_dot2_f32_f16 v8, v9, v13, v8
	;;#ASMEND
	;;#ASMSTART
	v_dot2_f32_f16 v8, v10, v14, v8
	;;#ASMEND
	;;#ASMSTART
	v_dot2_f32_f16 v8, v11, v15, v8
	;;#ASMEND
	;;#ASMSTART
	v_dot2_f32_f16 v8, v12, v16, v8
	;;#ASMEND
	ds_read_b128 v[9:12], v70 offset:16
	ds_read_b128 v[13:16], v68 offset:16
	s_waitcnt lgkmcnt(0)
	;;#ASMSTART
	v_dot2_f32_f16 v8, v9, v13, v8
	;;#ASMEND
	;;#ASMSTART
	v_dot2_f32_f16 v8, v10, v14, v8
	;;#ASMEND
	;;#ASMSTART
	v_dot2_f32_f16 v8, v11, v15, v8
	;;#ASMEND
	;;#ASMSTART
	v_dot2_f32_f16 v8, v12, v16, v8
	;;#ASMEND
	ds_read_b128 v[9:12], v70 offset:32
	ds_read_b128 v[13:16], v68 offset:32
	;; [unrolled: 15-line block ×6, first 2 shown]
	s_waitcnt lgkmcnt(0)
	;;#ASMSTART
	v_dot2_f32_f16 v8, v9, v13, v8
	;;#ASMEND
	;;#ASMSTART
	v_dot2_f32_f16 v8, v10, v14, v8
	;;#ASMEND
	;; [unrolled: 3-line block ×4, first 2 shown]
	s_barrier
	buffer_gl0_inv
	s_and_saveexec_b32 s36, s7
	s_cbranch_execz .LBB68_14
; %bb.13:                               ;   in Loop: Header=BB68_10 Depth=1
	v_add_co_u32 v9, vcc_lo, s9, v44
	v_add_co_ci_u32_e64 v10, null, s10, v45, vcc_lo
	global_load_dwordx4 v[9:12], v[9:10], off offset:208
	s_waitcnt vmcnt(0)
	ds_write_b128 v75, v[9:12]
.LBB68_14:                              ;   in Loop: Header=BB68_10 Depth=1
	s_or_b32 exec_lo, exec_lo, s36
	s_clause 0x2
	global_load_dwordx4 v[9:12], v[2:3], off offset:176
	global_load_dwordx4 v[2:5], v[4:5], off offset:112
	;; [unrolled: 1-line block ×3, first 2 shown]
	s_andn2_b32 vcc_lo, exec_lo, s17
	s_waitcnt vmcnt(2)
	ds_write_b128 v77, v[9:12]
	s_waitcnt vmcnt(1)
	ds_write_b128 v78, v[2:5]
	;; [unrolled: 2-line block ×3, first 2 shown]
	s_waitcnt lgkmcnt(0)
	s_barrier
	buffer_gl0_inv
	ds_read_b128 v[2:5], v70
	ds_read_b128 v[9:12], v68 offset:112
	s_waitcnt lgkmcnt(0)
	;;#ASMSTART
	v_dot2_f32_f16 v8, v2, v9, v8
	;;#ASMEND
	;;#ASMSTART
	v_dot2_f32_f16 v8, v3, v10, v8
	;;#ASMEND
	;;#ASMSTART
	v_dot2_f32_f16 v8, v4, v11, v8
	;;#ASMEND
	;;#ASMSTART
	v_dot2_f32_f16 v8, v5, v12, v8
	;;#ASMEND
	ds_read_b128 v[2:5], v70 offset:16
	ds_read_b128 v[9:12], v68 offset:128
	s_waitcnt lgkmcnt(0)
	;;#ASMSTART
	v_dot2_f32_f16 v8, v2, v9, v8
	;;#ASMEND
	;;#ASMSTART
	v_dot2_f32_f16 v8, v3, v10, v8
	;;#ASMEND
	;;#ASMSTART
	v_dot2_f32_f16 v8, v4, v11, v8
	;;#ASMEND
	;;#ASMSTART
	v_dot2_f32_f16 v8, v5, v12, v8
	;;#ASMEND
	ds_read_b128 v[2:5], v70 offset:32
	ds_read_b128 v[9:12], v68 offset:144
	s_waitcnt lgkmcnt(0)
	;;#ASMSTART
	v_dot2_f32_f16 v8, v2, v9, v8
	;;#ASMEND
	;;#ASMSTART
	v_dot2_f32_f16 v8, v3, v10, v8
	;;#ASMEND
	;;#ASMSTART
	v_dot2_f32_f16 v8, v4, v11, v8
	;;#ASMEND
	;;#ASMSTART
	v_dot2_f32_f16 v8, v5, v12, v8
	;;#ASMEND
	ds_read_b128 v[2:5], v70 offset:48
	ds_read_b128 v[9:12], v68 offset:160
	s_waitcnt lgkmcnt(0)
	;;#ASMSTART
	v_dot2_f32_f16 v8, v2, v9, v8
	;;#ASMEND
	;;#ASMSTART
	v_dot2_f32_f16 v8, v3, v10, v8
	;;#ASMEND
	;;#ASMSTART
	v_dot2_f32_f16 v8, v4, v11, v8
	;;#ASMEND
	;;#ASMSTART
	v_dot2_f32_f16 v8, v5, v12, v8
	;;#ASMEND
	ds_read_b128 v[2:5], v70 offset:64
	ds_read_b128 v[9:12], v68 offset:176
	s_waitcnt lgkmcnt(0)
	;;#ASMSTART
	v_dot2_f32_f16 v8, v2, v9, v8
	;;#ASMEND
	;;#ASMSTART
	v_dot2_f32_f16 v8, v3, v10, v8
	;;#ASMEND
	;;#ASMSTART
	v_dot2_f32_f16 v8, v4, v11, v8
	;;#ASMEND
	;;#ASMSTART
	v_dot2_f32_f16 v8, v5, v12, v8
	;;#ASMEND
	ds_read_b128 v[2:5], v70 offset:80
	ds_read_b128 v[9:12], v68 offset:192
	s_waitcnt lgkmcnt(0)
	;;#ASMSTART
	v_dot2_f32_f16 v8, v2, v9, v8
	;;#ASMEND
	;;#ASMSTART
	v_dot2_f32_f16 v8, v3, v10, v8
	;;#ASMEND
	;;#ASMSTART
	v_dot2_f32_f16 v8, v4, v11, v8
	;;#ASMEND
	;;#ASMSTART
	v_dot2_f32_f16 v8, v5, v12, v8
	;;#ASMEND
	ds_read_b128 v[2:5], v70 offset:96
	ds_read_b128 v[9:12], v68 offset:208
	s_waitcnt lgkmcnt(0)
	;;#ASMSTART
	v_dot2_f32_f16 v8, v2, v9, v8
	;;#ASMEND
	;;#ASMSTART
	v_dot2_f32_f16 v8, v3, v10, v8
	;;#ASMEND
	;; [unrolled: 3-line block ×4, first 2 shown]
	s_cbranch_vccnz .LBB68_16
; %bb.15:                               ;   in Loop: Header=BB68_10 Depth=1
	v_add_nc_u32_e32 v2, s16, v43
	v_ashrrev_i32_e32 v3, 31, v2
	v_lshlrev_b64 v[2:3], 1, v[2:3]
	v_add_co_u32 v2, vcc_lo, s42, v2
	v_add_co_ci_u32_e64 v3, null, s43, v3, vcc_lo
	global_load_ushort v2, v[2:3], off
	s_waitcnt vmcnt(0)
	v_cvt_f32_f16_e32 v2, v2
	v_mul_f32_e32 v2, v67, v2
	s_branch .LBB68_17
.LBB68_16:                              ;   in Loop: Header=BB68_10 Depth=1
	v_mov_b32_e32 v2, 0
.LBB68_17:                              ;   in Loop: Header=BB68_10 Depth=1
	v_xor_b32_e32 v3, 16, v87
	v_add_f32_e32 v2, v8, v2
	v_max_f32_e32 v4, v90, v90
	s_mul_hi_i32 s37, s16, s18
	s_mul_i32 s36, s16, s18
	v_cmp_gt_i32_e32 vcc_lo, 32, v3
	v_add_f32_e32 v5, 0x40051340, v2
	s_lshl_b64 s[36:37], s[36:37], 2
	s_add_u32 s9, s14, s36
	v_cndmask_b32_e32 v3, v87, v3, vcc_lo
	v_max_f32_e32 v4, v4, v5
	v_xor_b32_e32 v5, 8, v87
	s_addc_u32 s10, s15, s37
	s_barrier
	v_lshlrev_b32_e32 v3, 2, v3
	buffer_gl0_inv
	v_cmp_gt_i32_e32 vcc_lo, 32, v5
	ds_bpermute_b32 v3, v3, v4
	v_cndmask_b32_e32 v5, v87, v5, vcc_lo
	v_lshlrev_b32_e32 v5, 2, v5
	s_waitcnt lgkmcnt(0)
	v_max_f32_e32 v3, v3, v3
	v_max_f32_e32 v3, v4, v3
	ds_bpermute_b32 v4, v5, v3
	v_xor_b32_e32 v5, 4, v87
	v_cmp_gt_i32_e32 vcc_lo, 32, v5
	v_cndmask_b32_e32 v5, v87, v5, vcc_lo
	v_lshlrev_b32_e32 v5, 2, v5
	s_waitcnt lgkmcnt(0)
	v_max_f32_e32 v4, v4, v4
	v_max_f32_e32 v3, v3, v4
	ds_bpermute_b32 v4, v5, v3
	v_xor_b32_e32 v5, 2, v87
	v_cmp_gt_i32_e32 vcc_lo, 32, v5
	v_cndmask_b32_e32 v5, v87, v5, vcc_lo
	v_lshlrev_b32_e32 v5, 2, v5
	s_waitcnt lgkmcnt(0)
	v_max_f32_e32 v4, v4, v4
	v_max_f32_e32 v3, v3, v4
	ds_bpermute_b32 v4, v5, v3
	v_xor_b32_e32 v5, 1, v87
	v_cmp_gt_i32_e32 vcc_lo, 32, v5
	v_cndmask_b32_e32 v5, v87, v5, vcc_lo
	v_lshlrev_b32_e32 v5, 2, v5
	s_waitcnt lgkmcnt(0)
	v_max_f32_e32 v4, v4, v4
	v_max_f32_e32 v3, v3, v4
	ds_bpermute_b32 v4, v5, v3
	s_waitcnt lgkmcnt(0)
	v_max_f32_e32 v4, v4, v4
	v_max_f32_e32 v71, v3, v4
	v_sub_f32_e32 v2, v2, v71
	v_mul_f32_e32 v3, 0x3fb8aa3b, v2
	v_cmp_ngt_f32_e32 vcc_lo, 0xc2ce8ed0, v2
	v_fma_f32 v4, 0x3fb8aa3b, v2, -v3
	v_rndne_f32_e32 v5, v3
	v_fmac_f32_e32 v4, 0x32a5705f, v2
	v_sub_f32_e32 v3, v3, v5
	v_add_f32_e32 v3, v3, v4
	v_cvt_i32_f32_e32 v4, v5
	v_exp_f32_e32 v3, v3
	v_ldexp_f32 v3, v3, v4
	v_cndmask_b32_e32 v3, 0, v3, vcc_lo
	v_cmp_nlt_f32_e32 vcc_lo, 0x42b17218, v2
	v_cndmask_b32_e32 v69, 0x7f800000, v3, vcc_lo
	v_cvt_f16_f32_e32 v2, v69
	ds_write_b16 v76, v2
	s_and_saveexec_b32 s36, s8
	s_cbranch_execz .LBB68_19
; %bb.18:                               ;   in Loop: Header=BB68_10 Depth=1
	v_add_co_u32 v2, vcc_lo, s9, v52
	v_add_co_ci_u32_e64 v3, null, s10, v53, vcc_lo
	v_add_co_u32 v2, vcc_lo, v2, v84
	v_add_co_ci_u32_e64 v3, null, 0, v3, vcc_lo
	global_load_dwordx4 v[2:5], v[2:3], off offset:192
	s_waitcnt vmcnt(0)
	ds_write_b128 v81, v[2:5]
.LBB68_19:                              ;   in Loop: Header=BB68_10 Depth=1
	s_or_b32 exec_lo, exec_lo, s36
	v_add_co_u32 v2, vcc_lo, s9, v54
	v_add_co_ci_u32_e64 v3, null, s10, v55, vcc_lo
	v_add_nc_u32_e32 v91, 0x800, v60
	v_add_co_u32 v2, vcc_lo, v2, v85
	v_add_co_ci_u32_e64 v3, null, 0, v3, vcc_lo
	v_add_co_u32 v4, vcc_lo, s9, v56
	v_add_co_ci_u32_e64 v5, null, s10, v57, vcc_lo
	;; [unrolled: 2-line block ×5, first 2 shown]
	s_clause 0x2
	global_load_dwordx4 v[2:5], v[2:3], off offset:128
	global_load_dwordx4 v[6:9], v[6:7], off
	global_load_dwordx4 v[10:13], v[10:11], off
	v_sub_f32_e32 v90, v90, v71
	s_or_b32 s10, s16, 16
	s_waitcnt vmcnt(2)
	ds_write_b128 v82, v[2:5]
	s_waitcnt vmcnt(1)
	ds_write_b128 v80, v[6:9]
	;; [unrolled: 2-line block ×3, first 2 shown]
	s_waitcnt lgkmcnt(0)
	s_barrier
	buffer_gl0_inv
	ds_read2_b64 v[38:41], v60 offset1:28
	ds_read_b128 v[26:29], v62
	ds_read_b128 v[6:9], v62 offset:16
	ds_read2_b64 v[34:37], v60 offset0:56 offset1:84
	ds_read2_b64 v[30:33], v60 offset0:112 offset1:140
	;; [unrolled: 1-line block ×7, first 2 shown]
	s_mul_hi_i32 s37, s10, s18
	s_mul_i32 s36, s10, s18
	v_cmp_nlt_f32_e64 s9, 0x42b17218, v90
	s_lshl_b64 s[36:37], s[36:37], 2
	v_cmp_ngt_f32_e32 vcc_lo, 0xc2ce8ed0, v90
	s_add_u32 s36, s14, s36
	s_addc_u32 s37, s15, s37
	s_waitcnt lgkmcnt(0)
	s_barrier
	buffer_gl0_inv
	s_and_saveexec_b32 s38, s8
	s_cbranch_execz .LBB68_21
; %bb.20:                               ;   in Loop: Header=BB68_10 Depth=1
	v_add_co_u32 v92, s10, s36, v52
	v_add_co_ci_u32_e64 v93, null, s37, v53, s10
	v_add_co_u32 v92, s10, v92, v84
	v_add_co_ci_u32_e64 v93, null, 0, v93, s10
	global_load_dwordx4 v[92:95], v[92:93], off offset:192
	s_waitcnt vmcnt(0)
	ds_write_b128 v81, v[92:95]
.LBB68_21:                              ;   in Loop: Header=BB68_10 Depth=1
	s_or_b32 exec_lo, exec_lo, s38
	v_add_co_u32 v92, s10, s36, v54
	v_add_co_ci_u32_e64 v93, null, s37, v55, s10
	v_mul_f32_e32 v104, 0x3fb8aa3b, v90
	v_add_co_u32 v92, s10, v92, v85
	v_add_co_ci_u32_e64 v93, null, 0, v93, s10
	v_add_co_u32 v94, s10, s36, v56
	v_add_co_ci_u32_e64 v95, null, s37, v57, s10
	;; [unrolled: 2-line block ×5, first 2 shown]
	s_clause 0x2
	global_load_dwordx4 v[92:95], v[92:93], off offset:128
	global_load_dwordx4 v[96:99], v[96:97], off
	global_load_dwordx4 v[100:103], v[100:101], off
	v_fma_f32 v105, 0x3fb8aa3b, v90, -v104
	v_rndne_f32_e32 v106, v104
	s_waitcnt vmcnt(2)
	ds_write_b128 v82, v[92:95]
	s_waitcnt vmcnt(1)
	ds_write_b128 v80, v[96:99]
	;; [unrolled: 2-line block ×3, first 2 shown]
	v_fmac_f32_e32 v105, 0x32a5705f, v90
	v_sub_f32_e32 v90, v104, v106
	v_cvt_i32_f32_e32 v104, v106
	s_waitcnt lgkmcnt(0)
	s_barrier
	buffer_gl0_inv
	v_add_f32_e32 v90, v90, v105
	v_exp_f32_e32 v90, v90
	v_ldexp_f32 v90, v90, v104
	v_mul_u32_u24_sdwa v104, v26, v88 dst_sel:DWORD dst_unused:UNUSED_PAD src0_sel:WORD_0 src1_sel:DWORD
	v_mul_u32_u24_sdwa v26, v26, v88 dst_sel:DWORD dst_unused:UNUSED_PAD src0_sel:WORD_1 src1_sel:DWORD
	v_cndmask_b32_e32 v90, 0, v90, vcc_lo
	v_pk_mul_f16 v38, v38, v104
	v_pk_mul_f16 v39, v39, v104
	v_cndmask_b32_e64 v90, 0x7f800000, v90, s9
	v_cvt_f16_f32_e32 v105, v90
	v_fmac_f32_e32 v69, v89, v90
	v_mul_u32_u24_sdwa v105, v105, v88 dst_sel:DWORD dst_unused:UNUSED_PAD src0_sel:WORD_0 src1_sel:DWORD
	v_pk_fma_f16 v38, v63, v105, v38
	v_pk_fma_f16 v39, v64, v105, v39
	v_mul_u32_u24_sdwa v63, v27, v88 dst_sel:DWORD dst_unused:UNUSED_PAD src0_sel:WORD_0 src1_sel:DWORD
	v_mul_u32_u24_sdwa v27, v27, v88 dst_sel:DWORD dst_unused:UNUSED_PAD src0_sel:WORD_1 src1_sel:DWORD
	v_pk_fma_f16 v38, v40, v26, v38
	v_pk_fma_f16 v26, v41, v26, v39
	v_pk_fma_f16 v34, v34, v63, v38
	v_pk_fma_f16 v26, v35, v63, v26
	v_mul_u32_u24_sdwa v38, v28, v88 dst_sel:DWORD dst_unused:UNUSED_PAD src0_sel:WORD_0 src1_sel:DWORD
	v_mul_u32_u24_sdwa v28, v28, v88 dst_sel:DWORD dst_unused:UNUSED_PAD src0_sel:WORD_1 src1_sel:DWORD
	v_pk_fma_f16 v34, v36, v27, v34
	v_pk_fma_f16 v26, v37, v27, v26
	;; [unrolled: 6-line block ×4, first 2 shown]
	v_pk_fma_f16 v18, v18, v27, v22
	v_pk_fma_f16 v19, v19, v27, v23
	v_mul_u32_u24_sdwa v22, v7, v88 dst_sel:DWORD dst_unused:UNUSED_PAD src0_sel:WORD_0 src1_sel:DWORD
	v_mul_u32_u24_sdwa v7, v7, v88 dst_sel:DWORD dst_unused:UNUSED_PAD src0_sel:WORD_1 src1_sel:DWORD
	v_mul_u32_u24_sdwa v23, v8, v88 dst_sel:DWORD dst_unused:UNUSED_PAD src0_sel:WORD_0 src1_sel:DWORD
	v_pk_fma_f16 v18, v20, v6, v18
	v_pk_fma_f16 v6, v21, v6, v19
	v_pk_fma_f16 v14, v14, v22, v18
	v_pk_fma_f16 v6, v15, v22, v6
	ds_read_b128 v[18:21], v62 offset:32
	v_mul_u32_u24_sdwa v22, v9, v88 dst_sel:DWORD dst_unused:UNUSED_PAD src0_sel:WORD_1 src1_sel:DWORD
	v_pk_fma_f16 v14, v16, v7, v14
	v_pk_fma_f16 v6, v17, v7, v6
	v_mul_u32_u24_sdwa v7, v8, v88 dst_sel:DWORD dst_unused:UNUSED_PAD src0_sel:WORD_1 src1_sel:DWORD
	v_pk_fma_f16 v8, v10, v23, v14
	ds_read2_b64 v[14:17], v60 offset1:28
	v_pk_fma_f16 v6, v11, v23, v6
	v_mul_u32_u24_sdwa v10, v9, v88 dst_sel:DWORD dst_unused:UNUSED_PAD src0_sel:WORD_0 src1_sel:DWORD
	v_pk_fma_f16 v8, v12, v7, v8
	v_pk_fma_f16 v11, v13, v7, v6
	;; [unrolled: 1-line block ×3, first 2 shown]
	ds_read2_b64 v[6:9], v60 offset0:56 offset1:84
	v_pk_fma_f16 v3, v3, v10, v11
	ds_read_b128 v[10:13], v62 offset:48
	s_waitcnt lgkmcnt(3)
	v_mul_u32_u24_sdwa v24, v18, v88 dst_sel:DWORD dst_unused:UNUSED_PAD src0_sel:WORD_0 src1_sel:DWORD
	v_pk_fma_f16 v23, v4, v22, v2
	v_mul_u32_u24_sdwa v18, v18, v88 dst_sel:DWORD dst_unused:UNUSED_PAD src0_sel:WORD_1 src1_sel:DWORD
	v_pk_fma_f16 v22, v5, v22, v3
	ds_read2_b64 v[2:5], v60 offset0:112 offset1:140
	s_waitcnt lgkmcnt(3)
	v_pk_fma_f16 v14, v14, v24, v23
	v_pk_fma_f16 v15, v15, v24, v22
	v_mul_u32_u24_sdwa v22, v19, v88 dst_sel:DWORD dst_unused:UNUSED_PAD src0_sel:WORD_0 src1_sel:DWORD
	v_mul_u32_u24_sdwa v19, v19, v88 dst_sel:DWORD dst_unused:UNUSED_PAD src0_sel:WORD_1 src1_sel:DWORD
	v_pk_fma_f16 v23, v16, v18, v14
	v_pk_fma_f16 v18, v17, v18, v15
	ds_read2_b64 v[14:17], v60 offset0:168 offset1:196
	s_waitcnt lgkmcnt(3)
	v_pk_fma_f16 v6, v6, v22, v23
	v_pk_fma_f16 v7, v7, v22, v18
	v_mul_u32_u24_sdwa v18, v20, v88 dst_sel:DWORD dst_unused:UNUSED_PAD src0_sel:WORD_0 src1_sel:DWORD
	v_mul_u32_u24_sdwa v20, v20, v88 dst_sel:DWORD dst_unused:UNUSED_PAD src0_sel:WORD_1 src1_sel:DWORD
	v_pk_fma_f16 v22, v8, v19, v6
	v_pk_fma_f16 v19, v9, v19, v7
	ds_read2_b64 v[6:9], v60 offset0:224 offset1:252
	s_waitcnt lgkmcnt(2)
	v_pk_fma_f16 v2, v2, v18, v22
	v_pk_fma_f16 v3, v3, v18, v19
	v_mul_u32_u24_sdwa v18, v21, v88 dst_sel:DWORD dst_unused:UNUSED_PAD src0_sel:WORD_0 src1_sel:DWORD
	v_mul_u32_u24_sdwa v21, v21, v88 dst_sel:DWORD dst_unused:UNUSED_PAD src0_sel:WORD_1 src1_sel:DWORD
	v_mul_u32_u24_sdwa v22, v11, v88 dst_sel:DWORD dst_unused:UNUSED_PAD src0_sel:WORD_0 src1_sel:DWORD
	v_pk_fma_f16 v19, v4, v20, v2
	v_pk_fma_f16 v20, v5, v20, v3
	ds_read2_b64 v[2:5], v91 offset0:24 offset1:52
	s_waitcnt lgkmcnt(2)
	v_pk_fma_f16 v14, v14, v18, v19
	v_pk_fma_f16 v15, v15, v18, v20
	v_mul_u32_u24_sdwa v18, v10, v88 dst_sel:DWORD dst_unused:UNUSED_PAD src0_sel:WORD_0 src1_sel:DWORD
	v_mul_u32_u24_sdwa v10, v10, v88 dst_sel:DWORD dst_unused:UNUSED_PAD src0_sel:WORD_1 src1_sel:DWORD
	v_pk_fma_f16 v19, v16, v21, v14
	v_pk_fma_f16 v20, v17, v21, v15
	ds_read2_b64 v[14:17], v91 offset0:80 offset1:108
	s_waitcnt lgkmcnt(2)
	v_pk_fma_f16 v6, v6, v18, v19
	v_pk_fma_f16 v7, v7, v18, v20
	ds_read2_b64 v[18:21], v91 offset0:136 offset1:164
	s_waitcnt lgkmcnt(0)
	s_barrier
	v_pk_fma_f16 v6, v8, v10, v6
	v_pk_fma_f16 v7, v9, v10, v7
	v_mul_u32_u24_sdwa v8, v11, v88 dst_sel:DWORD dst_unused:UNUSED_PAD src0_sel:WORD_1 src1_sel:DWORD
	buffer_gl0_inv
	s_load_dword s9, s[12:13], 0x4
	v_pk_fma_f16 v2, v2, v22, v6
	v_pk_fma_f16 v3, v3, v22, v7
	v_mul_u32_u24_sdwa v6, v12, v88 dst_sel:DWORD dst_unused:UNUSED_PAD src0_sel:WORD_0 src1_sel:DWORD
	v_pk_fma_f16 v2, v4, v8, v2
	v_pk_fma_f16 v3, v5, v8, v3
	v_mul_u32_u24_sdwa v4, v12, v88 dst_sel:DWORD dst_unused:UNUSED_PAD src0_sel:WORD_1 src1_sel:DWORD
	v_mul_u32_u24_sdwa v5, v13, v88 dst_sel:DWORD dst_unused:UNUSED_PAD src0_sel:WORD_0 src1_sel:DWORD
	v_pk_fma_f16 v2, v14, v6, v2
	v_pk_fma_f16 v3, v15, v6, v3
	v_pk_fma_f16 v2, v16, v4, v2
	v_pk_fma_f16 v3, v17, v4, v3
	v_mul_u32_u24_sdwa v4, v13, v88 dst_sel:DWORD dst_unused:UNUSED_PAD src0_sel:WORD_1 src1_sel:DWORD
	s_waitcnt lgkmcnt(0)
	s_lshl_b32 s9, s9, 5
	v_pk_fma_f16 v2, v18, v5, v2
	v_pk_fma_f16 v3, v19, v5, v3
	s_add_i32 s16, s9, s16
	s_cmp_lt_i32 s16, s11
	v_pk_fma_f16 v63, v20, v4, v2
	v_pk_fma_f16 v64, v21, v4, v3
	s_cbranch_scc0 .LBB68_24
; %bb.22:                               ;   in Loop: Header=BB68_10 Depth=1
	v_mov_b32_e32 v90, v71
	v_mov_b32_e32 v89, v69
	s_branch .LBB68_10
.LBB68_23:
	v_mov_b32_e32 v64, 0
	v_mov_b32_e32 v69, 0
	;; [unrolled: 1-line block ×4, first 2 shown]
.LBB68_24:
	s_cmp_gt_i32 s44, s16
	s_cbranch_scc1 .LBB68_27
; %bb.25:
	v_mbcnt_lo_u32_b32 v2, -1, 0
	v_mov_b32_e32 v52, 32
	v_xor_b32_e32 v47, 16, v2
	v_xor_b32_e32 v48, 8, v2
	;; [unrolled: 1-line block ×5, first 2 shown]
	s_cbranch_execz .LBB68_28
; %bb.26:
	v_mov_b32_e32 v33, v71
	v_mov_b32_e32 v61, v2
	s_branch .LBB68_42
.LBB68_27:
                                        ; implicit-def: $vgpr2
                                        ; implicit-def: $vgpr52
                                        ; implicit-def: $vgpr47
                                        ; implicit-def: $vgpr48
                                        ; implicit-def: $vgpr49
                                        ; implicit-def: $vgpr50
                                        ; implicit-def: $vgpr51
.LBB68_28:
	v_mul_lo_u32 v2, s22, v74
	s_mul_hi_i32 s9, s16, s22
	s_mul_i32 s8, s16, s22
	s_sub_i32 s17, s44, s16
	s_lshl_b64 s[12:13], s[8:9], 2
	v_cmp_gt_u32_e64 s9, 32, v74
	v_or_b32_e32 v6, 0x60, v70
	v_cmp_gt_i32_e64 s8, s17, v74
	v_ashrrev_i32_e32 v3, 31, v2
	s_add_u32 s23, s23, s12
	s_mov_b64 s[10:11], src_private_base
	s_addc_u32 s35, s35, s13
	v_lshlrev_b64 v[2:3], 2, v[2:3]
	s_and_saveexec_b32 s7, s9
	s_cbranch_execz .LBB68_30
; %bb.29:
	v_add_co_u32 v4, vcc_lo, s23, v2
	v_add_co_ci_u32_e64 v5, null, s35, v3, vcc_lo
	v_mov_b32_e32 v7, 0
	v_add_co_u32 v4, vcc_lo, 0x60, v4
	v_add_co_ci_u32_e64 v5, null, 0, v5, vcc_lo
	buffer_store_dword v7, off, s[0:3], 0
	buffer_store_dword v7, off, s[0:3], 0 offset:4
	buffer_store_dword v7, off, s[0:3], 0 offset:8
	;; [unrolled: 1-line block ×3, first 2 shown]
	v_cndmask_b32_e64 v4, 0, v4, s8
	v_cndmask_b32_e64 v5, s11, v5, s8
	flat_load_dwordx4 v[7:10], v[4:5]
	s_waitcnt vmcnt(0) lgkmcnt(0)
	ds_write_b128 v6, v[7:10]
.LBB68_30:
	s_or_b32 exec_lo, exec_lo, s7
	v_lshl_add_u32 v44, v1, 4, v73
	v_and_b32_e32 v4, 4, v65
	s_mov_b64 s[12:13], src_private_base
	v_lshl_add_u32 v43, v1, 3, v72
	v_mul_lo_u32 v7, s22, v44
	v_lshlrev_b32_e32 v46, 2, v4
	v_cmp_gt_i32_e64 s7, s17, v44
	v_mul_lo_u32 v19, s22, v43
	v_add_nc_u32_e32 v21, 16, v43
	v_lshl_or_b32 v25, v44, 7, v46
	v_ashrrev_i32_e32 v8, 31, v7
	v_ashrrev_i32_e32 v20, 31, v19
	v_lshlrev_b64 v[7:8], 2, v[7:8]
	v_add_co_u32 v5, vcc_lo, s23, v7
	v_add_co_ci_u32_e64 v7, null, s35, v8, vcc_lo
	v_add_co_u32 v8, vcc_lo, v5, v46
	v_add_co_ci_u32_e64 v9, null, 0, v7, vcc_lo
	v_mov_b32_e32 v7, 0
	v_add_co_u32 v5, vcc_lo, v8, 64
	v_add_co_ci_u32_e64 v10, null, 0, v9, vcc_lo
	buffer_store_dword v7, off, s[0:3], 0
	buffer_store_dword v7, off, s[0:3], 0 offset:4
	buffer_store_dword v7, off, s[0:3], 0 offset:8
	;; [unrolled: 1-line block ×3, first 2 shown]
	v_cndmask_b32_e64 v11, s13, v10, s7
	v_cndmask_b32_e64 v10, 0, v5, s7
	v_and_b32_e32 v5, 12, v65
	flat_load_dwordx4 v[12:15], v[10:11]
	v_lshlrev_b64 v[10:11], 2, v[19:20]
	v_lshlrev_b32_e32 v45, 2, v5
	buffer_store_dword v7, off, s[0:3], 0
	buffer_store_dword v7, off, s[0:3], 0 offset:4
	buffer_store_dword v7, off, s[0:3], 0 offset:8
	;; [unrolled: 1-line block ×3, first 2 shown]
	v_add_co_u32 v5, vcc_lo, s23, v10
	v_add_co_ci_u32_e64 v11, null, s35, v11, vcc_lo
	v_add_co_u32 v10, vcc_lo, v5, v45
	v_add_co_ci_u32_e64 v11, null, 0, v11, vcc_lo
	v_cmp_gt_i32_e32 vcc_lo, s17, v43
	v_cndmask_b32_e32 v17, s13, v11, vcc_lo
	v_cndmask_b32_e32 v16, 0, v10, vcc_lo
	s_waitcnt vmcnt(0) lgkmcnt(0)
	ds_write_b128 v25, v[12:15] offset:64
	flat_load_dwordx4 v[15:18], v[16:17]
	v_lshl_add_u32 v12, s22, 4, v19
	buffer_store_dword v7, off, s[0:3], 0
	buffer_store_dword v7, off, s[0:3], 0 offset:4
	buffer_store_dword v7, off, s[0:3], 0 offset:8
	;; [unrolled: 1-line block ×3, first 2 shown]
	v_ashrrev_i32_e32 v13, 31, v12
	v_lshlrev_b64 v[12:13], 2, v[12:13]
	v_add_co_u32 v5, s10, s23, v12
	v_add_co_ci_u32_e64 v12, null, s35, v13, s10
	v_add_co_u32 v13, s10, v5, v45
	v_add_co_ci_u32_e64 v14, null, 0, v12, s10
	v_cmp_gt_i32_e64 s10, s17, v21
	v_lshl_or_b32 v12, v43, 7, v45
	v_mov_b32_e32 v5, 0
	v_cndmask_b32_e64 v20, s13, v14, s10
	v_cndmask_b32_e64 v19, 0, v13, s10
	s_waitcnt vmcnt(0) lgkmcnt(0)
	ds_write_b128 v12, v[15:18]
	flat_load_dwordx4 v[16:19], v[19:20]
	v_lshl_or_b32 v15, v21, 7, v45
	s_waitcnt vmcnt(0) lgkmcnt(0)
	ds_write_b128 v15, v[16:19]
	s_waitcnt lgkmcnt(0)
	s_waitcnt_vscnt null, 0x0
	s_barrier
	buffer_gl0_inv
	ds_read_b128 v[16:19], v70
	ds_read_b128 v[20:23], v68
	s_waitcnt lgkmcnt(0)
	;;#ASMSTART
	v_dot2_f32_f16 v5, v16, v20, v5
	;;#ASMEND
	;;#ASMSTART
	v_dot2_f32_f16 v5, v17, v21, v5
	;;#ASMEND
	;;#ASMSTART
	v_dot2_f32_f16 v5, v18, v22, v5
	;;#ASMEND
	;;#ASMSTART
	v_dot2_f32_f16 v5, v19, v23, v5
	;;#ASMEND
	ds_read_b128 v[16:19], v70 offset:16
	ds_read_b128 v[20:23], v68 offset:16
	s_waitcnt lgkmcnt(0)
	;;#ASMSTART
	v_dot2_f32_f16 v5, v16, v20, v5
	;;#ASMEND
	;;#ASMSTART
	v_dot2_f32_f16 v5, v17, v21, v5
	;;#ASMEND
	;;#ASMSTART
	v_dot2_f32_f16 v5, v18, v22, v5
	;;#ASMEND
	;;#ASMSTART
	v_dot2_f32_f16 v5, v19, v23, v5
	;;#ASMEND
	ds_read_b128 v[16:19], v70 offset:32
	ds_read_b128 v[20:23], v68 offset:32
	s_waitcnt lgkmcnt(0)
	;;#ASMSTART
	v_dot2_f32_f16 v5, v16, v20, v5
	;;#ASMEND
	;;#ASMSTART
	v_dot2_f32_f16 v5, v17, v21, v5
	;;#ASMEND
	;;#ASMSTART
	v_dot2_f32_f16 v5, v18, v22, v5
	;;#ASMEND
	;;#ASMSTART
	v_dot2_f32_f16 v5, v19, v23, v5
	;;#ASMEND
	ds_read_b128 v[16:19], v70 offset:48
	ds_read_b128 v[20:23], v68 offset:48
	s_waitcnt lgkmcnt(0)
	;;#ASMSTART
	v_dot2_f32_f16 v5, v16, v20, v5
	;;#ASMEND
	;;#ASMSTART
	v_dot2_f32_f16 v5, v17, v21, v5
	;;#ASMEND
	;;#ASMSTART
	v_dot2_f32_f16 v5, v18, v22, v5
	;;#ASMEND
	;;#ASMSTART
	v_dot2_f32_f16 v5, v19, v23, v5
	;;#ASMEND
	ds_read_b128 v[16:19], v70 offset:64
	ds_read_b128 v[20:23], v68 offset:64
	s_waitcnt lgkmcnt(0)
	;;#ASMSTART
	v_dot2_f32_f16 v5, v16, v20, v5
	;;#ASMEND
	;;#ASMSTART
	v_dot2_f32_f16 v5, v17, v21, v5
	;;#ASMEND
	;;#ASMSTART
	v_dot2_f32_f16 v5, v18, v22, v5
	;;#ASMEND
	;;#ASMSTART
	v_dot2_f32_f16 v5, v19, v23, v5
	;;#ASMEND
	ds_read_b128 v[16:19], v70 offset:80
	ds_read_b128 v[20:23], v68 offset:80
	s_waitcnt lgkmcnt(0)
	;;#ASMSTART
	v_dot2_f32_f16 v5, v16, v20, v5
	;;#ASMEND
	;;#ASMSTART
	v_dot2_f32_f16 v5, v17, v21, v5
	;;#ASMEND
	;;#ASMSTART
	v_dot2_f32_f16 v5, v18, v22, v5
	;;#ASMEND
	;;#ASMSTART
	v_dot2_f32_f16 v5, v19, v23, v5
	;;#ASMEND
	ds_read_b128 v[17:20], v70 offset:96
	ds_read_b128 v[21:24], v68 offset:96
	v_or_b32_e32 v16, 64, v25
	s_waitcnt lgkmcnt(0)
	;;#ASMSTART
	v_dot2_f32_f16 v5, v17, v21, v5
	;;#ASMEND
	;;#ASMSTART
	v_dot2_f32_f16 v5, v18, v22, v5
	;;#ASMEND
	;; [unrolled: 3-line block ×4, first 2 shown]
	s_barrier
	buffer_gl0_inv
	s_and_saveexec_b32 s12, s9
	s_cbranch_execz .LBB68_32
; %bb.31:
	v_add_co_u32 v2, s9, s23, v2
	v_add_co_ci_u32_e64 v3, null, s35, v3, s9
	buffer_store_dword v7, off, s[0:3], 0
	buffer_store_dword v7, off, s[0:3], 0 offset:4
	buffer_store_dword v7, off, s[0:3], 0 offset:8
	;; [unrolled: 1-line block ×3, first 2 shown]
	v_add_co_u32 v2, s9, 0xd0, v2
	v_add_co_ci_u32_e64 v3, null, 0, v3, s9
	v_cndmask_b32_e64 v2, 0, v2, s8
	v_cndmask_b32_e64 v3, s11, v3, s8
	flat_load_dwordx4 v[17:20], v[2:3]
	s_waitcnt vmcnt(0) lgkmcnt(0)
	ds_write_b128 v6, v[17:20]
.LBB68_32:
	s_or_b32 exec_lo, exec_lo, s12
	v_add_co_u32 v2, s8, 0xb0, v8
	v_add_co_ci_u32_e64 v3, null, 0, v9, s8
	buffer_store_dword v7, off, s[0:3], 0
	buffer_store_dword v7, off, s[0:3], 0 offset:4
	buffer_store_dword v7, off, s[0:3], 0 offset:8
	;; [unrolled: 1-line block ×3, first 2 shown]
	v_cndmask_b32_e64 v2, 0, v2, s7
	s_mov_b32 s9, exec_lo
	v_cndmask_b32_e64 v3, s13, v3, s7
	flat_load_dwordx4 v[17:20], v[2:3]
	v_add_co_u32 v2, s8, 0x70, v10
	v_add_co_ci_u32_e64 v3, null, 0, v11, s8
	buffer_store_dword v7, off, s[0:3], 0
	buffer_store_dword v7, off, s[0:3], 0 offset:4
	buffer_store_dword v7, off, s[0:3], 0 offset:8
	;; [unrolled: 1-line block ×3, first 2 shown]
	v_cndmask_b32_e32 v2, 0, v2, vcc_lo
	v_cndmask_b32_e32 v3, s13, v3, vcc_lo
	s_waitcnt vmcnt(0) lgkmcnt(0)
	ds_write_b128 v16, v[17:20]
	flat_load_dwordx4 v[8:11], v[2:3]
	v_add_co_u32 v2, s8, 0x70, v13
	v_add_co_ci_u32_e64 v3, null, 0, v14, s8
	buffer_store_dword v7, off, s[0:3], 0
	buffer_store_dword v7, off, s[0:3], 0 offset:4
	buffer_store_dword v7, off, s[0:3], 0 offset:8
	;; [unrolled: 1-line block ×3, first 2 shown]
	v_cndmask_b32_e64 v2, 0, v2, s10
	v_cndmask_b32_e64 v3, s13, v3, s10
	s_waitcnt vmcnt(0) lgkmcnt(0)
	ds_write_b128 v12, v[8:11]
	flat_load_dwordx4 v[6:9], v[2:3]
	v_mov_b32_e32 v2, v71
	s_waitcnt vmcnt(0) lgkmcnt(0)
	ds_write_b128 v15, v[6:9]
	s_waitcnt lgkmcnt(0)
	s_waitcnt_vscnt null, 0x0
	s_barrier
	buffer_gl0_inv
	ds_read_b128 v[6:9], v70
	ds_read_b128 v[10:13], v68 offset:112
	s_waitcnt lgkmcnt(0)
	;;#ASMSTART
	v_dot2_f32_f16 v5, v6, v10, v5
	;;#ASMEND
	;;#ASMSTART
	v_dot2_f32_f16 v5, v7, v11, v5
	;;#ASMEND
	;;#ASMSTART
	v_dot2_f32_f16 v5, v8, v12, v5
	;;#ASMEND
	;;#ASMSTART
	v_dot2_f32_f16 v5, v9, v13, v5
	;;#ASMEND
	ds_read_b128 v[6:9], v70 offset:16
	ds_read_b128 v[10:13], v68 offset:128
	s_waitcnt lgkmcnt(0)
	;;#ASMSTART
	v_dot2_f32_f16 v5, v6, v10, v5
	;;#ASMEND
	;;#ASMSTART
	v_dot2_f32_f16 v5, v7, v11, v5
	;;#ASMEND
	;;#ASMSTART
	v_dot2_f32_f16 v5, v8, v12, v5
	;;#ASMEND
	;;#ASMSTART
	v_dot2_f32_f16 v5, v9, v13, v5
	;;#ASMEND
	ds_read_b128 v[6:9], v70 offset:32
	ds_read_b128 v[10:13], v68 offset:144
	s_waitcnt lgkmcnt(0)
	;;#ASMSTART
	v_dot2_f32_f16 v5, v6, v10, v5
	;;#ASMEND
	;;#ASMSTART
	v_dot2_f32_f16 v5, v7, v11, v5
	;;#ASMEND
	;;#ASMSTART
	v_dot2_f32_f16 v5, v8, v12, v5
	;;#ASMEND
	;;#ASMSTART
	v_dot2_f32_f16 v5, v9, v13, v5
	;;#ASMEND
	ds_read_b128 v[6:9], v70 offset:48
	ds_read_b128 v[10:13], v68 offset:160
	s_waitcnt lgkmcnt(0)
	;;#ASMSTART
	v_dot2_f32_f16 v5, v6, v10, v5
	;;#ASMEND
	;;#ASMSTART
	v_dot2_f32_f16 v5, v7, v11, v5
	;;#ASMEND
	;;#ASMSTART
	v_dot2_f32_f16 v5, v8, v12, v5
	;;#ASMEND
	;;#ASMSTART
	v_dot2_f32_f16 v5, v9, v13, v5
	;;#ASMEND
	ds_read_b128 v[6:9], v70 offset:64
	ds_read_b128 v[10:13], v68 offset:176
	s_waitcnt lgkmcnt(0)
	;;#ASMSTART
	v_dot2_f32_f16 v5, v6, v10, v5
	;;#ASMEND
	;;#ASMSTART
	v_dot2_f32_f16 v5, v7, v11, v5
	;;#ASMEND
	;;#ASMSTART
	v_dot2_f32_f16 v5, v8, v12, v5
	;;#ASMEND
	;;#ASMSTART
	v_dot2_f32_f16 v5, v9, v13, v5
	;;#ASMEND
	ds_read_b128 v[6:9], v70 offset:80
	ds_read_b128 v[10:13], v68 offset:192
	s_waitcnt lgkmcnt(0)
	;;#ASMSTART
	v_dot2_f32_f16 v5, v6, v10, v5
	;;#ASMEND
	;;#ASMSTART
	v_dot2_f32_f16 v5, v7, v11, v5
	;;#ASMEND
	;;#ASMSTART
	v_dot2_f32_f16 v5, v8, v12, v5
	;;#ASMEND
	;;#ASMSTART
	v_dot2_f32_f16 v5, v9, v13, v5
	;;#ASMEND
	ds_read_b128 v[6:9], v70 offset:96
	ds_read_b128 v[10:13], v68 offset:208
	s_waitcnt lgkmcnt(0)
	;;#ASMSTART
	v_dot2_f32_f16 v5, v6, v10, v5
	;;#ASMEND
	;;#ASMSTART
	v_dot2_f32_f16 v5, v7, v11, v5
	;;#ASMEND
	;; [unrolled: 3-line block ×4, first 2 shown]
	v_cmpx_gt_i32_e64 s17, v0
	s_cbranch_execz .LBB68_37
; %bb.33:
	s_cmp_eq_u64 s[42:43], 0
	s_cbranch_scc1 .LBB68_35
; %bb.34:
	v_mul_hi_u32 v2, s28, v42
	v_add_nc_u32_e32 v2, v42, v2
	v_lshrrev_b32_e32 v2, s29, v2
	v_mul_lo_u32 v2, v2, s30
	v_sub_nc_u32_e32 v2, v42, v2
	v_mul_lo_u32 v2, v2, s19
	v_add3_u32 v2, v2, v0, s16
	v_ashrrev_i32_e32 v3, 31, v2
	v_lshlrev_b64 v[2:3], 1, v[2:3]
	v_add_co_u32 v2, s8, s42, v2
	v_add_co_ci_u32_e64 v3, null, s43, v3, s8
	global_load_ushort v2, v[2:3], off
	s_waitcnt vmcnt(0)
	v_cvt_f32_f16_e32 v2, v2
	v_mul_f32_e32 v2, v67, v2
	s_branch .LBB68_36
.LBB68_35:
	v_mov_b32_e32 v2, 0
.LBB68_36:
	v_add_f32_e32 v5, v5, v2
	v_max_f32_e32 v3, v71, v71
	v_add_f32_e32 v2, 0x40051340, v5
	v_max_f32_e32 v2, v3, v2
.LBB68_37:
	s_or_b32 exec_lo, exec_lo, s9
	v_xor_b32_e32 v47, 16, v61
	v_xor_b32_e32 v48, 8, v61
	;; [unrolled: 1-line block ×5, first 2 shown]
	v_cmp_gt_i32_e64 s8, 32, v47
	v_cmp_gt_u32_e64 s9, s17, v0
	s_mul_hi_i32 s13, s16, s18
	s_mul_i32 s12, s16, s18
	v_mov_b32_e32 v52, 32
	v_cndmask_b32_e64 v3, v61, v47, s8
	v_cmp_gt_i32_e64 s8, 32, v48
	s_lshl_b64 s[12:13], s[12:13], 2
	s_mov_b64 s[10:11], src_private_base
	s_add_u32 s10, s14, s12
	v_lshlrev_b32_e32 v3, 2, v3
	v_cndmask_b32_e64 v6, v61, v48, s8
	v_cmp_gt_i32_e64 s8, 32, v49
	s_addc_u32 s19, s15, s13
	ds_bpermute_b32 v3, v3, v2
	v_max_f32_e32 v2, v2, v2
	v_lshlrev_b32_e32 v6, 2, v6
	s_barrier
	s_waitcnt lgkmcnt(0)
	buffer_gl0_inv
	v_max_f32_e32 v3, v3, v3
	v_max_f32_e32 v2, v2, v3
	ds_bpermute_b32 v3, v6, v2
	v_cndmask_b32_e64 v6, v61, v49, s8
	v_cmp_gt_i32_e64 s8, 32, v50
	v_lshlrev_b32_e32 v6, 2, v6
	s_waitcnt lgkmcnt(0)
	v_max_f32_e32 v3, v3, v3
	v_max_f32_e32 v2, v2, v3
	ds_bpermute_b32 v3, v6, v2
	v_cndmask_b32_e64 v6, v61, v50, s8
	v_cmp_gt_i32_e64 s8, 32, v51
	v_lshlrev_b32_e32 v6, 2, v6
	s_waitcnt lgkmcnt(0)
	v_max_f32_e32 v3, v3, v3
	v_max_f32_e32 v2, v2, v3
	ds_bpermute_b32 v3, v6, v2
	v_cndmask_b32_e64 v6, v61, v51, s8
	v_lshlrev_b32_e32 v6, 2, v6
	s_waitcnt lgkmcnt(0)
	v_max_f32_e32 v3, v3, v3
	v_max_f32_e32 v2, v2, v3
	ds_bpermute_b32 v3, v6, v2
	s_waitcnt lgkmcnt(0)
	v_max_f32_e32 v3, v3, v3
	v_max_f32_e32 v33, v2, v3
	v_sub_f32_e32 v3, v5, v33
	v_mul_f32_e32 v2, 0x3fb8aa3b, v3
	v_cmp_ngt_f32_e64 s8, 0xc2ce8ed0, v3
	v_fma_f32 v5, 0x3fb8aa3b, v3, -v2
	v_rndne_f32_e32 v6, v2
	v_fmac_f32_e32 v5, 0x32a5705f, v3
	v_sub_f32_e32 v2, v2, v6
	v_add_f32_e32 v2, v2, v5
	v_cvt_i32_f32_e32 v5, v6
	v_mul_u32_u24_e32 v6, 0xe0, v44
	v_exp_f32_e32 v2, v2
	v_lshl_or_b32 v4, v4, 2, v6
	v_add_nc_u32_e32 v58, 0xc0, v4
	v_ldexp_f32 v2, v2, v5
	v_cndmask_b32_e64 v5, 0, v2, s8
	v_cmp_nlt_f32_e64 s8, 0x42b17218, v3
	v_mul_lo_u32 v2, s18, v44
	v_cndmask_b32_e64 v3, 0x7f800000, v5, s8
	v_lshl_add_u32 v5, v0, 1, v62
	v_cmp_gt_u32_e64 s8, 16, v44
	v_cndmask_b32_e64 v53, 0, v3, s9
	v_ashrrev_i32_e32 v3, 31, v2
	v_cvt_f16_f32_e32 v4, v53
	v_lshlrev_b64 v[34:35], 2, v[2:3]
	ds_write_b16 v5, v4
	s_and_saveexec_b32 s12, s8
	s_cbranch_execz .LBB68_39
; %bb.38:
	v_add_co_u32 v2, s9, s10, v34
	v_add_co_ci_u32_e64 v3, null, s19, v35, s9
	v_mov_b32_e32 v4, 0
	v_add_co_u32 v2, s9, v2, v46
	v_add_co_ci_u32_e64 v3, null, 0, v3, s9
	buffer_store_dword v4, off, s[0:3], 0
	buffer_store_dword v4, off, s[0:3], 0 offset:4
	buffer_store_dword v4, off, s[0:3], 0 offset:8
	;; [unrolled: 1-line block ×3, first 2 shown]
	v_add_co_u32 v2, s9, 0xc0, v2
	v_add_co_ci_u32_e64 v3, null, 0, v3, s9
	v_cndmask_b32_e64 v2, 0, v2, s7
	v_cndmask_b32_e64 v3, s11, v3, s7
	flat_load_dwordx4 v[2:5], v[2:3]
	s_waitcnt vmcnt(0) lgkmcnt(0)
	ds_write_b128 v58, v[2:5]
.LBB68_39:
	s_or_b32 exec_lo, exec_lo, s12
	v_mul_lo_u32 v2, s18, v43
	s_mov_b64 s[12:13], src_private_base
	v_mov_b32_e32 v57, 0
	v_lshl_add_u32 v66, v1, 2, v66
	v_and_b32_e32 v1, 28, v65
	buffer_store_dword v57, off, s[0:3], 0
	buffer_store_dword v57, off, s[0:3], 0 offset:4
	buffer_store_dword v57, off, s[0:3], 0 offset:8
	;; [unrolled: 1-line block ×3, first 2 shown]
	v_ashrrev_i32_e32 v3, 31, v2
	v_mul_lo_u32 v6, s18, v66
	v_lshlrev_b32_e32 v59, 2, v1
	v_mad_u32_u24 v9, 0xe0, v43, v45
	v_add_nc_u32_e32 v67, 8, v66
	v_lshlrev_b64 v[36:37], 2, v[2:3]
	v_mov_b32_e32 v55, 0x10001
	v_mad_u32_u24 v65, 0xe0, v66, v59
	v_add_nc_u32_e32 v56, 0x800, v60
	v_ashrrev_i32_e32 v7, 31, v6
	v_add_nc_u32_e32 v87, 0x80, v9
	v_add_co_u32 v2, s7, s10, v36
	v_add_co_ci_u32_e64 v3, null, s19, v37, s7
	v_lshlrev_b64 v[38:39], 2, v[6:7]
	v_add_co_u32 v2, s7, v2, v45
	v_add_co_ci_u32_e64 v3, null, 0, v3, s7
	v_add_nc_u32_e32 v70, 0x700, v65
	v_add_co_u32 v2, s7, 0x80, v2
	v_add_co_ci_u32_e64 v3, null, 0, v3, s7
	s_or_b32 s7, s16, 16
	v_cndmask_b32_e32 v2, 0, v2, vcc_lo
	v_cndmask_b32_e32 v3, s13, v3, vcc_lo
	v_add_co_u32 v1, vcc_lo, s10, v38
	v_add_co_ci_u32_e64 v7, null, s19, v39, vcc_lo
	flat_load_dwordx4 v[2:5], v[2:3]
	v_add_co_u32 v1, vcc_lo, v1, v59
	v_add_co_ci_u32_e64 v7, null, 0, v7, vcc_lo
	v_cmp_gt_i32_e32 vcc_lo, s17, v66
	buffer_store_dword v57, off, s[0:3], 0
	buffer_store_dword v57, off, s[0:3], 0 offset:4
	buffer_store_dword v57, off, s[0:3], 0 offset:8
	buffer_store_dword v57, off, s[0:3], 0 offset:12
	v_cndmask_b32_e32 v8, s13, v7, vcc_lo
	v_cndmask_b32_e32 v7, 0, v1, vcc_lo
	s_waitcnt vmcnt(0) lgkmcnt(0)
	ds_write_b128 v9, v[2:5] offset:128
	flat_load_dwordx4 v[1:4], v[7:8]
	v_lshl_add_u32 v5, s18, 3, v6
	buffer_store_dword v57, off, s[0:3], 0
	buffer_store_dword v57, off, s[0:3], 0 offset:4
	buffer_store_dword v57, off, s[0:3], 0 offset:8
	buffer_store_dword v57, off, s[0:3], 0 offset:12
	v_ashrrev_i32_e32 v6, 31, v5
	v_lshlrev_b64 v[40:41], 2, v[5:6]
	v_add_co_u32 v5, vcc_lo, s10, v40
	v_add_co_ci_u32_e64 v6, null, s19, v41, vcc_lo
	s_mul_hi_i32 s19, s7, s18
	v_add_co_u32 v5, vcc_lo, v5, v59
	v_add_co_ci_u32_e64 v6, null, 0, v6, vcc_lo
	v_cmp_gt_i32_e32 vcc_lo, s17, v67
	s_mul_i32 s18, s7, s18
	s_lshl_b64 s[18:19], s[18:19], 2
	v_cndmask_b32_e32 v6, s13, v6, vcc_lo
	v_cndmask_b32_e32 v5, 0, v5, vcc_lo
	s_add_u32 s7, s14, s18
	s_addc_u32 s9, s15, s19
	s_add_i32 s17, s17, -16
	s_waitcnt vmcnt(0) lgkmcnt(0)
	ds_write_b128 v65, v[1:4]
	flat_load_dwordx4 v[1:4], v[5:6]
	v_sub_f32_e32 v5, v71, v33
	v_mul_f32_e32 v6, 0x3fb8aa3b, v5
	v_cmp_ngt_f32_e32 vcc_lo, 0xc2ce8ed0, v5
	v_fma_f32 v7, 0x3fb8aa3b, v5, -v6
	v_rndne_f32_e32 v8, v6
	v_fmac_f32_e32 v7, 0x32a5705f, v5
	v_sub_f32_e32 v6, v6, v8
	v_add_f32_e32 v6, v6, v7
	v_cvt_i32_f32_e32 v7, v8
	v_exp_f32_e32 v6, v6
	v_ldexp_f32 v6, v6, v7
	v_cndmask_b32_e32 v6, 0, v6, vcc_lo
	v_cmp_nlt_f32_e32 vcc_lo, 0x42b17218, v5
	v_cndmask_b32_e32 v54, 0x7f800000, v6, vcc_lo
	s_waitcnt vmcnt(0) lgkmcnt(0)
	ds_write_b128 v65, v[1:4] offset:1792
	v_cvt_f16_f32_e32 v1, v54
	s_waitcnt lgkmcnt(0)
	s_waitcnt_vscnt null, 0x0
	s_barrier
	buffer_gl0_inv
	ds_read_b128 v[71:74], v62
	ds_read_b128 v[88:91], v62 offset:16
	v_mul_u32_u24_sdwa v75, v1, v55 dst_sel:DWORD dst_unused:UNUSED_PAD src0_sel:WORD_0 src1_sel:DWORD
	ds_read2_b64 v[29:32], v60 offset1:28
	ds_read2_b64 v[25:28], v60 offset0:56 offset1:84
	ds_read2_b64 v[21:24], v60 offset0:112 offset1:140
	;; [unrolled: 1-line block ×7, first 2 shown]
	s_waitcnt lgkmcnt(0)
	s_barrier
	buffer_gl0_inv
	v_mul_u32_u24_sdwa v86, v71, v55 dst_sel:DWORD dst_unused:UNUSED_PAD src0_sel:WORD_0 src1_sel:DWORD
	v_mul_u32_u24_sdwa v85, v71, v55 dst_sel:DWORD dst_unused:UNUSED_PAD src0_sel:WORD_1 src1_sel:DWORD
	v_mul_u32_u24_sdwa v84, v72, v55 dst_sel:DWORD dst_unused:UNUSED_PAD src0_sel:WORD_0 src1_sel:DWORD
	v_mul_u32_u24_sdwa v83, v72, v55 dst_sel:DWORD dst_unused:UNUSED_PAD src0_sel:WORD_1 src1_sel:DWORD
	;; [unrolled: 2-line block ×8, first 2 shown]
	s_and_saveexec_b32 s10, s8
	s_cbranch_execz .LBB68_41
; %bb.40:
	v_add_co_u32 v34, vcc_lo, s7, v34
	v_add_co_ci_u32_e64 v35, null, s9, v35, vcc_lo
	buffer_store_dword v57, off, s[0:3], 0
	buffer_store_dword v57, off, s[0:3], 0 offset:4
	buffer_store_dword v57, off, s[0:3], 0 offset:8
	;; [unrolled: 1-line block ×3, first 2 shown]
	v_add_co_u32 v34, vcc_lo, v34, v46
	v_add_co_ci_u32_e64 v35, null, 0, v35, vcc_lo
	v_add_co_u32 v34, vcc_lo, 0xc0, v34
	v_add_co_ci_u32_e64 v35, null, 0, v35, vcc_lo
	v_cmp_gt_i32_e32 vcc_lo, s17, v44
	v_cndmask_b32_e32 v35, s11, v35, vcc_lo
	v_cndmask_b32_e32 v34, 0, v34, vcc_lo
	flat_load_dwordx4 v[88:91], v[34:35]
	s_waitcnt vmcnt(0) lgkmcnt(0)
	ds_write_b128 v58, v[88:91]
.LBB68_41:
	s_or_b32 exec_lo, exec_lo, s10
	v_add_co_u32 v34, vcc_lo, s7, v36
	v_add_co_ci_u32_e64 v35, null, s9, v37, vcc_lo
	buffer_store_dword v57, off, s[0:3], 0
	buffer_store_dword v57, off, s[0:3], 0 offset:4
	buffer_store_dword v57, off, s[0:3], 0 offset:8
	buffer_store_dword v57, off, s[0:3], 0 offset:12
	v_add_co_u32 v34, vcc_lo, v34, v45
	v_add_co_ci_u32_e64 v35, null, 0, v35, vcc_lo
	v_pk_mul_f16 v29, v29, v86
	v_add_co_u32 v34, vcc_lo, 0x80, v34
	v_add_co_ci_u32_e64 v35, null, 0, v35, vcc_lo
	v_cmp_gt_i32_e32 vcc_lo, s17, v43
	v_pk_mul_f16 v30, v30, v86
	v_pk_fma_f16 v29, v63, v75, v29
	v_fmac_f32_e32 v53, v69, v54
	v_cndmask_b32_e32 v35, s13, v35, vcc_lo
	v_cndmask_b32_e32 v34, 0, v34, vcc_lo
	v_add_co_u32 v38, vcc_lo, s7, v38
	v_add_co_ci_u32_e64 v39, null, s9, v39, vcc_lo
	flat_load_dwordx4 v[34:37], v[34:35]
	v_add_co_u32 v38, vcc_lo, v38, v59
	v_add_co_ci_u32_e64 v39, null, 0, v39, vcc_lo
	v_cmp_gt_i32_e32 vcc_lo, s17, v66
	buffer_store_dword v57, off, s[0:3], 0
	buffer_store_dword v57, off, s[0:3], 0 offset:4
	buffer_store_dword v57, off, s[0:3], 0 offset:8
	;; [unrolled: 1-line block ×3, first 2 shown]
	v_pk_fma_f16 v30, v64, v75, v30
	v_pk_fma_f16 v29, v31, v85, v29
	v_mov_b32_e32 v69, v53
	v_cndmask_b32_e32 v39, s13, v39, vcc_lo
	v_cndmask_b32_e32 v38, 0, v38, vcc_lo
	v_pk_fma_f16 v30, v32, v85, v30
	v_pk_fma_f16 v25, v25, v84, v29
	v_pk_fma_f16 v26, v26, v84, v30
	v_pk_fma_f16 v25, v27, v83, v25
	v_pk_fma_f16 v26, v28, v83, v26
	v_pk_fma_f16 v21, v21, v82, v25
	v_pk_fma_f16 v22, v22, v82, v26
	v_pk_fma_f16 v21, v23, v81, v21
	v_pk_fma_f16 v22, v24, v81, v22
	v_pk_fma_f16 v17, v17, v80, v21
	v_pk_fma_f16 v18, v18, v80, v22
	v_pk_fma_f16 v17, v19, v79, v17
	v_pk_fma_f16 v18, v20, v79, v18
	v_pk_fma_f16 v13, v13, v78, v17
	v_pk_fma_f16 v14, v14, v78, v18
	v_pk_fma_f16 v13, v15, v77, v13
	v_pk_fma_f16 v14, v16, v77, v14
	v_pk_fma_f16 v9, v9, v76, v13
	v_pk_fma_f16 v10, v10, v76, v14
	v_pk_fma_f16 v9, v11, v74, v9
	v_pk_fma_f16 v17, v12, v74, v10
	v_pk_fma_f16 v5, v5, v73, v9
	v_pk_fma_f16 v6, v6, v73, v17
	v_pk_fma_f16 v5, v7, v72, v5
	v_pk_fma_f16 v17, v8, v72, v6
	v_pk_fma_f16 v1, v1, v71, v5
	v_pk_fma_f16 v2, v2, v71, v17
	v_pk_fma_f16 v21, v3, v68, v1
	v_pk_fma_f16 v23, v4, v68, v2
	s_waitcnt vmcnt(0) lgkmcnt(0)
	ds_write_b128 v87, v[34:37]
	flat_load_dwordx4 v[34:37], v[38:39]
	v_add_co_u32 v38, vcc_lo, s7, v40
	v_add_co_ci_u32_e64 v39, null, s9, v41, vcc_lo
	buffer_store_dword v57, off, s[0:3], 0
	buffer_store_dword v57, off, s[0:3], 0 offset:4
	buffer_store_dword v57, off, s[0:3], 0 offset:8
	;; [unrolled: 1-line block ×3, first 2 shown]
	v_add_co_u32 v38, vcc_lo, v38, v59
	v_add_co_ci_u32_e64 v39, null, 0, v39, vcc_lo
	v_cmp_gt_i32_e32 vcc_lo, s17, v67
	v_cndmask_b32_e32 v39, s13, v39, vcc_lo
	v_cndmask_b32_e32 v38, 0, v38, vcc_lo
	s_waitcnt vmcnt(0) lgkmcnt(0)
	ds_write_b128 v65, v[34:37]
	flat_load_dwordx4 v[34:37], v[38:39]
	s_waitcnt vmcnt(0) lgkmcnt(0)
	ds_write_b128 v70, v[34:37]
	s_waitcnt lgkmcnt(0)
	s_waitcnt_vscnt null, 0x0
	s_barrier
	buffer_gl0_inv
	ds_read_b128 v[13:16], v62 offset:32
	ds_read_b128 v[17:20], v62 offset:48
	ds_read2_b64 v[9:12], v60 offset1:28
	ds_read2_b64 v[5:8], v60 offset0:56 offset1:84
	ds_read2_b64 v[1:4], v60 offset0:112 offset1:140
	s_waitcnt lgkmcnt(4)
	v_mul_u32_u24_sdwa v22, v13, v55 dst_sel:DWORD dst_unused:UNUSED_PAD src0_sel:WORD_0 src1_sel:DWORD
	v_mul_u32_u24_sdwa v13, v13, v55 dst_sel:DWORD dst_unused:UNUSED_PAD src0_sel:WORD_1 src1_sel:DWORD
	s_waitcnt lgkmcnt(2)
	v_pk_fma_f16 v9, v9, v22, v21
	v_pk_fma_f16 v10, v10, v22, v23
	v_mul_u32_u24_sdwa v21, v14, v55 dst_sel:DWORD dst_unused:UNUSED_PAD src0_sel:WORD_0 src1_sel:DWORD
	v_mul_u32_u24_sdwa v14, v14, v55 dst_sel:DWORD dst_unused:UNUSED_PAD src0_sel:WORD_1 src1_sel:DWORD
	v_pk_fma_f16 v22, v11, v13, v9
	v_pk_fma_f16 v13, v12, v13, v10
	ds_read2_b64 v[9:12], v60 offset0:168 offset1:196
	s_waitcnt lgkmcnt(2)
	v_pk_fma_f16 v5, v5, v21, v22
	v_pk_fma_f16 v6, v6, v21, v13
	v_mul_u32_u24_sdwa v13, v15, v55 dst_sel:DWORD dst_unused:UNUSED_PAD src0_sel:WORD_0 src1_sel:DWORD
	v_mul_u32_u24_sdwa v15, v15, v55 dst_sel:DWORD dst_unused:UNUSED_PAD src0_sel:WORD_1 src1_sel:DWORD
	v_pk_fma_f16 v21, v7, v14, v5
	v_pk_fma_f16 v14, v8, v14, v6
	ds_read2_b64 v[5:8], v60 offset0:224 offset1:252
	;; [unrolled: 8-line block ×3, first 2 shown]
	s_waitcnt lgkmcnt(2)
	v_pk_fma_f16 v9, v9, v13, v14
	v_pk_fma_f16 v10, v10, v13, v15
	v_mul_u32_u24_sdwa v13, v17, v55 dst_sel:DWORD dst_unused:UNUSED_PAD src0_sel:WORD_0 src1_sel:DWORD
	v_pk_fma_f16 v14, v11, v16, v9
	v_pk_fma_f16 v15, v12, v16, v10
	ds_read2_b64 v[9:12], v56 offset0:80 offset1:108
	v_mul_u32_u24_sdwa v16, v17, v55 dst_sel:DWORD dst_unused:UNUSED_PAD src0_sel:WORD_1 src1_sel:DWORD
	s_waitcnt lgkmcnt(2)
	v_pk_fma_f16 v5, v5, v13, v14
	v_pk_fma_f16 v6, v6, v13, v15
	v_mul_u32_u24_sdwa v13, v18, v55 dst_sel:DWORD dst_unused:UNUSED_PAD src0_sel:WORD_0 src1_sel:DWORD
	v_pk_fma_f16 v14, v7, v16, v5
	v_pk_fma_f16 v15, v8, v16, v6
	ds_read2_b64 v[5:8], v56 offset0:136 offset1:164
	v_mul_u32_u24_sdwa v16, v18, v55 dst_sel:DWORD dst_unused:UNUSED_PAD src0_sel:WORD_1 src1_sel:DWORD
	s_waitcnt lgkmcnt(0)
	v_pk_fma_f16 v1, v1, v13, v14
	v_pk_fma_f16 v2, v2, v13, v15
	v_mul_u32_u24_sdwa v13, v19, v55 dst_sel:DWORD dst_unused:UNUSED_PAD src0_sel:WORD_0 src1_sel:DWORD
	s_barrier
	buffer_gl0_inv
	v_pk_fma_f16 v1, v3, v16, v1
	v_pk_fma_f16 v2, v4, v16, v2
	v_mul_u32_u24_sdwa v3, v19, v55 dst_sel:DWORD dst_unused:UNUSED_PAD src0_sel:WORD_1 src1_sel:DWORD
	v_mul_u32_u24_sdwa v4, v20, v55 dst_sel:DWORD dst_unused:UNUSED_PAD src0_sel:WORD_0 src1_sel:DWORD
	v_pk_fma_f16 v1, v9, v13, v1
	v_pk_fma_f16 v2, v10, v13, v2
	;; [unrolled: 1-line block ×4, first 2 shown]
	v_mul_u32_u24_sdwa v3, v20, v55 dst_sel:DWORD dst_unused:UNUSED_PAD src0_sel:WORD_1 src1_sel:DWORD
	v_pk_fma_f16 v1, v5, v4, v1
	v_pk_fma_f16 v2, v6, v4, v2
	;; [unrolled: 1-line block ×4, first 2 shown]
.LBB68_42:
	v_cmp_lt_i32_e32 vcc_lo, v47, v52
	s_cmp_eq_u64 s[20:21], 0
	s_cselect_b32 s7, -1, 0
	s_cmp_lg_u32 s34, 0
	v_cndmask_b32_e32 v1, v61, v47, vcc_lo
	v_cmp_lt_i32_e32 vcc_lo, v48, v52
	s_cselect_b32 s8, -1, 0
	s_or_b32 s7, s8, s7
	v_lshlrev_b32_e32 v1, 2, v1
	v_cndmask_b32_e32 v2, v61, v48, vcc_lo
	v_cmp_lt_i32_e32 vcc_lo, v49, v52
	ds_bpermute_b32 v1, v1, v69
	v_lshlrev_b32_e32 v2, 2, v2
	v_cndmask_b32_e32 v3, v61, v49, vcc_lo
	v_cmp_lt_i32_e32 vcc_lo, v50, v52
	v_lshlrev_b32_e32 v3, 2, v3
	s_waitcnt lgkmcnt(0)
	v_add_f32_e32 v1, v69, v1
	ds_bpermute_b32 v2, v2, v1
	s_waitcnt lgkmcnt(0)
	v_add_f32_e32 v1, v1, v2
	ds_bpermute_b32 v2, v3, v1
	v_cndmask_b32_e32 v3, v61, v50, vcc_lo
	v_cmp_lt_i32_e32 vcc_lo, v51, v52
	v_lshlrev_b32_e32 v3, 2, v3
	s_waitcnt lgkmcnt(0)
	v_add_f32_e32 v1, v1, v2
	ds_bpermute_b32 v2, v3, v1
	v_cndmask_b32_e32 v3, v61, v51, vcc_lo
	s_and_b32 vcc_lo, exec_lo, s7
	v_lshlrev_b32_e32 v3, 2, v3
	s_waitcnt lgkmcnt(0)
	v_add_f32_e32 v1, v1, v2
	ds_bpermute_b32 v2, v3, v1
	s_waitcnt lgkmcnt(0)
	v_add_f32_e32 v34, v1, v2
	s_cbranch_vccnz .LBB68_44
; %bb.43:
	s_lshl_b64 s[8:9], s[40:41], 2
	v_mov_b32_e32 v1, 0
	s_add_u32 s8, s20, s8
	s_addc_u32 s9, s21, s9
	v_max_f32_e32 v2, v33, v33
	global_load_dword v1, v1, s[8:9]
	s_waitcnt vmcnt(0)
	v_max_f32_e32 v3, v1, v1
	v_max_f32_e32 v2, v2, v3
	v_sub_f32_e32 v3, v33, v2
	v_sub_f32_e32 v1, v1, v2
	v_mov_b32_e32 v33, v2
	v_mul_f32_e32 v4, 0x3fb8aa3b, v3
	v_mul_f32_e32 v5, 0x3fb8aa3b, v1
	v_cmp_ngt_f32_e32 vcc_lo, 0xc2ce8ed0, v3
	v_fma_f32 v6, 0x3fb8aa3b, v3, -v4
	v_rndne_f32_e32 v7, v4
	v_fma_f32 v8, 0x3fb8aa3b, v1, -v5
	v_rndne_f32_e32 v9, v5
	v_fmac_f32_e32 v6, 0x32a5705f, v3
	v_sub_f32_e32 v4, v4, v7
	v_fmac_f32_e32 v8, 0x32a5705f, v1
	v_sub_f32_e32 v5, v5, v9
	v_add_f32_e32 v4, v4, v6
	v_cvt_i32_f32_e32 v6, v7
	v_add_f32_e32 v5, v5, v8
	v_cvt_i32_f32_e32 v7, v9
	v_exp_f32_e32 v4, v4
	v_exp_f32_e32 v5, v5
	v_ldexp_f32 v4, v4, v6
	v_ldexp_f32 v5, v5, v7
	v_cndmask_b32_e32 v4, 0, v4, vcc_lo
	v_cmp_ngt_f32_e32 vcc_lo, 0xc2ce8ed0, v1
	v_cndmask_b32_e32 v5, 0, v5, vcc_lo
	v_cmp_nlt_f32_e32 vcc_lo, 0x42b17218, v3
	v_cndmask_b32_e32 v3, 0x7f800000, v4, vcc_lo
	v_cmp_nlt_f32_e32 vcc_lo, 0x42b17218, v1
	v_mov_b32_e32 v4, 0x10001
	v_cndmask_b32_e32 v1, 0x7f800000, v5, vcc_lo
	v_cvt_f16_f32_e32 v5, v3
	v_fmac_f32_e32 v1, v34, v3
	v_mul_u32_u24_sdwa v3, v5, v4 dst_sel:DWORD dst_unused:UNUSED_PAD src0_sel:WORD_0 src1_sel:DWORD
	v_mov_b32_e32 v34, v1
	v_pk_mul_f16 v63, v63, v3
	v_pk_mul_f16 v64, v64, v3
.LBB68_44:
	s_mov_b32 s7, exec_lo
	v_cmpx_gt_i32_e64 s30, v42
	s_cbranch_execz .LBB68_49
; %bb.45:
	s_load_dword s4, s[4:5], 0xd4
	v_mad_u64_u32 v[1:2], null, s33, s30, v[42:43]
	v_mad_u64_u32 v[1:2], null, v1, s31, s[40:41]
	s_waitcnt lgkmcnt(0)
	v_mad_u64_u32 v[1:2], null, s4, v1, s[34:35]
	s_cmp_lg_u32 s4, 1
	s_cselect_b32 s4, -1, 0
	s_and_saveexec_b32 s5, s6
	s_cbranch_execz .LBB68_47
; %bb.46:
	v_div_scale_f32 v2, null, v34, v34, 1.0
	v_div_scale_f32 v5, vcc_lo, 1.0, v34, 1.0
	v_cvt_f32_f16_sdwa v8, v64 dst_sel:DWORD dst_unused:UNUSED_PAD src0_sel:WORD_1
	v_rcp_f32_e32 v3, v2
	v_cvt_f32_f16_sdwa v10, v63 dst_sel:DWORD dst_unused:UNUSED_PAD src0_sel:WORD_1
	v_cvt_f32_f16_e32 v11, v63
	v_fma_f32 v4, -v2, v3, 1.0
	v_fmac_f32_e32 v3, v4, v3
	v_mul_f32_e32 v4, v5, v3
	v_fma_f32 v6, -v2, v4, v5
	v_fmac_f32_e32 v4, v6, v3
	v_fma_f32 v2, -v2, v4, v5
	v_div_fmas_f32 v2, v2, v3, v4
	v_mul_lo_u32 v4, 0x70, v1
	v_mov_b32_e32 v3, 0
	v_div_fixup_f32 v5, v2, v34, 1.0
	v_lshl_add_u32 v2, v0, 2, v4
	v_cndmask_b32_e64 v9, v5, 1.0, s4
	v_cvt_f32_f16_e32 v4, v64
	v_lshlrev_b64 v[6:7], 2, v[2:3]
	v_mul_f32_e32 v5, v9, v8
	v_mul_f32_e32 v4, v9, v4
	;; [unrolled: 1-line block ×4, first 2 shown]
	v_add_co_u32 v6, vcc_lo, s24, v6
	v_add_co_ci_u32_e64 v7, null, s25, v7, vcc_lo
	global_store_dwordx4 v[6:7], v[2:5], off
.LBB68_47:
	s_or_b32 exec_lo, exec_lo, s5
	v_cmp_eq_u32_e32 vcc_lo, 0, v0
	s_and_b32 s4, vcc_lo, s4
	s_and_b32 exec_lo, exec_lo, s4
	s_cbranch_execz .LBB68_49
; %bb.48:
	v_ashrrev_i32_e32 v2, 31, v1
	v_lshlrev_b64 v[0:1], 3, v[1:2]
	v_add_co_u32 v0, vcc_lo, s26, v0
	v_add_co_ci_u32_e64 v1, null, s27, v1, vcc_lo
	global_store_dwordx2 v[0:1], v[33:34], off
.LBB68_49:
	s_endpgm
	.section	.rodata,"a",@progbits
	.p2align	6, 0x0
	.amdhsa_kernel _ZL15flash_attn_tileILi112ELi112ELi2ELi1ELb0EEvPKcS1_S1_S1_S1_PKiPfP15HIP_vector_typeIfLj2EEffffjfiS5_IjLj3EEiiiiiiiiiiiliiliiiiil
		.amdhsa_group_segment_fixed_size 4736
		.amdhsa_private_segment_fixed_size 32
		.amdhsa_kernarg_size 464
		.amdhsa_user_sgpr_count 8
		.amdhsa_user_sgpr_private_segment_buffer 1
		.amdhsa_user_sgpr_dispatch_ptr 0
		.amdhsa_user_sgpr_queue_ptr 0
		.amdhsa_user_sgpr_kernarg_segment_ptr 1
		.amdhsa_user_sgpr_dispatch_id 0
		.amdhsa_user_sgpr_flat_scratch_init 1
		.amdhsa_user_sgpr_private_segment_size 0
		.amdhsa_wavefront_size32 1
		.amdhsa_uses_dynamic_stack 0
		.amdhsa_system_sgpr_private_segment_wavefront_offset 1
		.amdhsa_system_sgpr_workgroup_id_x 1
		.amdhsa_system_sgpr_workgroup_id_y 1
		.amdhsa_system_sgpr_workgroup_id_z 1
		.amdhsa_system_sgpr_workgroup_info 0
		.amdhsa_system_vgpr_workitem_id 1
		.amdhsa_next_free_vgpr 107
		.amdhsa_next_free_sgpr 52
		.amdhsa_reserve_vcc 1
		.amdhsa_reserve_flat_scratch 1
		.amdhsa_float_round_mode_32 0
		.amdhsa_float_round_mode_16_64 0
		.amdhsa_float_denorm_mode_32 3
		.amdhsa_float_denorm_mode_16_64 3
		.amdhsa_dx10_clamp 1
		.amdhsa_ieee_mode 1
		.amdhsa_fp16_overflow 0
		.amdhsa_workgroup_processor_mode 1
		.amdhsa_memory_ordered 1
		.amdhsa_forward_progress 1
		.amdhsa_shared_vgpr_count 0
		.amdhsa_exception_fp_ieee_invalid_op 0
		.amdhsa_exception_fp_denorm_src 0
		.amdhsa_exception_fp_ieee_div_zero 0
		.amdhsa_exception_fp_ieee_overflow 0
		.amdhsa_exception_fp_ieee_underflow 0
		.amdhsa_exception_fp_ieee_inexact 0
		.amdhsa_exception_int_div_zero 0
	.end_amdhsa_kernel
	.section	.text._ZL15flash_attn_tileILi112ELi112ELi2ELi1ELb0EEvPKcS1_S1_S1_S1_PKiPfP15HIP_vector_typeIfLj2EEffffjfiS5_IjLj3EEiiiiiiiiiiiliiliiiiil,"axG",@progbits,_ZL15flash_attn_tileILi112ELi112ELi2ELi1ELb0EEvPKcS1_S1_S1_S1_PKiPfP15HIP_vector_typeIfLj2EEffffjfiS5_IjLj3EEiiiiiiiiiiiliiliiiiil,comdat
.Lfunc_end68:
	.size	_ZL15flash_attn_tileILi112ELi112ELi2ELi1ELb0EEvPKcS1_S1_S1_S1_PKiPfP15HIP_vector_typeIfLj2EEffffjfiS5_IjLj3EEiiiiiiiiiiiliiliiiiil, .Lfunc_end68-_ZL15flash_attn_tileILi112ELi112ELi2ELi1ELb0EEvPKcS1_S1_S1_S1_PKiPfP15HIP_vector_typeIfLj2EEffffjfiS5_IjLj3EEiiiiiiiiiiiliiliiiiil
                                        ; -- End function
	.set _ZL15flash_attn_tileILi112ELi112ELi2ELi1ELb0EEvPKcS1_S1_S1_S1_PKiPfP15HIP_vector_typeIfLj2EEffffjfiS5_IjLj3EEiiiiiiiiiiiliiliiiiil.num_vgpr, 107
	.set _ZL15flash_attn_tileILi112ELi112ELi2ELi1ELb0EEvPKcS1_S1_S1_S1_PKiPfP15HIP_vector_typeIfLj2EEffffjfiS5_IjLj3EEiiiiiiiiiiiliiliiiiil.num_agpr, 0
	.set _ZL15flash_attn_tileILi112ELi112ELi2ELi1ELb0EEvPKcS1_S1_S1_S1_PKiPfP15HIP_vector_typeIfLj2EEffffjfiS5_IjLj3EEiiiiiiiiiiiliiliiiiil.numbered_sgpr, 52
	.set _ZL15flash_attn_tileILi112ELi112ELi2ELi1ELb0EEvPKcS1_S1_S1_S1_PKiPfP15HIP_vector_typeIfLj2EEffffjfiS5_IjLj3EEiiiiiiiiiiiliiliiiiil.num_named_barrier, 0
	.set _ZL15flash_attn_tileILi112ELi112ELi2ELi1ELb0EEvPKcS1_S1_S1_S1_PKiPfP15HIP_vector_typeIfLj2EEffffjfiS5_IjLj3EEiiiiiiiiiiiliiliiiiil.private_seg_size, 32
	.set _ZL15flash_attn_tileILi112ELi112ELi2ELi1ELb0EEvPKcS1_S1_S1_S1_PKiPfP15HIP_vector_typeIfLj2EEffffjfiS5_IjLj3EEiiiiiiiiiiiliiliiiiil.uses_vcc, 1
	.set _ZL15flash_attn_tileILi112ELi112ELi2ELi1ELb0EEvPKcS1_S1_S1_S1_PKiPfP15HIP_vector_typeIfLj2EEffffjfiS5_IjLj3EEiiiiiiiiiiiliiliiiiil.uses_flat_scratch, 1
	.set _ZL15flash_attn_tileILi112ELi112ELi2ELi1ELb0EEvPKcS1_S1_S1_S1_PKiPfP15HIP_vector_typeIfLj2EEffffjfiS5_IjLj3EEiiiiiiiiiiiliiliiiiil.has_dyn_sized_stack, 0
	.set _ZL15flash_attn_tileILi112ELi112ELi2ELi1ELb0EEvPKcS1_S1_S1_S1_PKiPfP15HIP_vector_typeIfLj2EEffffjfiS5_IjLj3EEiiiiiiiiiiiliiliiiiil.has_recursion, 0
	.set _ZL15flash_attn_tileILi112ELi112ELi2ELi1ELb0EEvPKcS1_S1_S1_S1_PKiPfP15HIP_vector_typeIfLj2EEffffjfiS5_IjLj3EEiiiiiiiiiiiliiliiiiil.has_indirect_call, 0
	.section	.AMDGPU.csdata,"",@progbits
; Kernel info:
; codeLenInByte = 12440
; TotalNumSgprs: 54
; NumVgprs: 107
; ScratchSize: 32
; MemoryBound: 0
; FloatMode: 240
; IeeeMode: 1
; LDSByteSize: 4736 bytes/workgroup (compile time only)
; SGPRBlocks: 0
; VGPRBlocks: 13
; NumSGPRsForWavesPerEU: 54
; NumVGPRsForWavesPerEU: 107
; Occupancy: 9
; WaveLimiterHint : 1
; COMPUTE_PGM_RSRC2:SCRATCH_EN: 1
; COMPUTE_PGM_RSRC2:USER_SGPR: 8
; COMPUTE_PGM_RSRC2:TRAP_HANDLER: 0
; COMPUTE_PGM_RSRC2:TGID_X_EN: 1
; COMPUTE_PGM_RSRC2:TGID_Y_EN: 1
; COMPUTE_PGM_RSRC2:TGID_Z_EN: 1
; COMPUTE_PGM_RSRC2:TIDIG_COMP_CNT: 1
	.section	.text._ZL33flash_attn_stream_k_fixup_uniformILi112ELi2ELi1EEvPfPK15HIP_vector_typeIfLj2EEiiiiiiS1_IjLj3EES5_S5_,"axG",@progbits,_ZL33flash_attn_stream_k_fixup_uniformILi112ELi2ELi1EEvPfPK15HIP_vector_typeIfLj2EEiiiiiiS1_IjLj3EES5_S5_,comdat
	.globl	_ZL33flash_attn_stream_k_fixup_uniformILi112ELi2ELi1EEvPfPK15HIP_vector_typeIfLj2EEiiiiiiS1_IjLj3EES5_S5_ ; -- Begin function _ZL33flash_attn_stream_k_fixup_uniformILi112ELi2ELi1EEvPfPK15HIP_vector_typeIfLj2EEiiiiiiS1_IjLj3EES5_S5_
	.p2align	8
	.type	_ZL33flash_attn_stream_k_fixup_uniformILi112ELi2ELi1EEvPfPK15HIP_vector_typeIfLj2EEiiiiiiS1_IjLj3EES5_S5_,@function
_ZL33flash_attn_stream_k_fixup_uniformILi112ELi2ELi1EEvPfPK15HIP_vector_typeIfLj2EEiiiiiiS1_IjLj3EES5_S5_: ; @_ZL33flash_attn_stream_k_fixup_uniformILi112ELi2ELi1EEvPfPK15HIP_vector_typeIfLj2EEiiiiiiS1_IjLj3EES5_S5_
; %bb.0:
	s_clause 0x2
	s_load_dwordx8 s[12:19], s[4:5], 0x1c
	s_load_dwordx4 s[20:23], s[4:5], 0x3c
	s_load_dwordx2 s[10:11], s[4:5], 0x10
	s_waitcnt lgkmcnt(0)
	s_mul_hi_u32 s0, s15, s6
	s_add_i32 s0, s6, s0
	s_lshr_b32 s0, s0, s16
	s_mul_i32 s1, s0, s17
	s_sub_i32 s1, s6, s1
	s_mul_hi_u32 s2, s1, s18
	s_add_i32 s2, s1, s2
	s_lshr_b32 s9, s2, s19
	s_mul_i32 s2, s9, s20
	s_sub_i32 s1, s1, s2
	;; [unrolled: 5-line block ×3, first 2 shown]
	s_lshl_b32 s1, s15, 1
	s_add_i32 s1, s1, s7
	s_cmp_lt_i32 s1, s10
	s_cselect_b32 s1, -1, 0
	s_add_i32 s16, s16, s8
	s_cmp_lt_i32 s16, s13
	s_cselect_b32 s2, -1, 0
	s_and_b32 s1, s1, s2
	s_andn2_b32 vcc_lo, exec_lo, s1
	s_cbranch_vccnz .LBB69_6
; %bb.1:
	s_mul_i32 s10, s0, s10
	s_load_dwordx4 s[0:3], s[4:5], 0x0
	s_add_i32 s4, s10, s7
	s_mul_i32 s9, s9, s13
	s_mul_i32 s4, s4, s11
	s_add_i32 s5, s16, s9
	s_mul_i32 s9, s11, s15
	s_add_i32 s4, s5, s4
	s_mulk_i32 s9, 0xe0
	s_mulk_i32 s4, 0x70
	s_add_i32 s8, s7, s8
	v_add3_u32 v1, s4, s9, v0
	s_mul_i32 s4, s14, s6
	s_add_i32 s9, s4, s14
	v_ashrrev_i32_e32 v2, 31, v1
	v_lshlrev_b64 v[1:2], 2, v[1:2]
	s_waitcnt lgkmcnt(0)
	v_add_co_u32 v1, vcc_lo, s0, v1
	v_add_co_ci_u32_e64 v2, null, s1, v2, vcc_lo
	s_lshl_b32 s0, s9, 1
	s_add_i32 s0, s8, s0
	global_load_dword v5, v[1:2], off
	s_add_i32 s0, s0, -2
	s_ashr_i32 s1, s0, 31
	s_lshl_b64 s[0:1], s[0:1], 3
	s_add_u32 s0, s2, s0
	s_addc_u32 s1, s3, s1
	s_add_i32 s5, s9, -2
	s_load_dword s10, s[0:1], 0x4
	s_cmp_lt_i32 s5, s4
	s_cbranch_scc1 .LBB69_4
; %bb.2:
	s_load_dword s11, s[0:1], 0x0
	s_lshl_b32 s0, s12, 3
	s_waitcnt lgkmcnt(0)
	v_mov_b32_e32 v6, s10
	s_ashr_i32 s1, s0, 31
	s_lshl_b64 s[0:1], s[0:1], 2
	s_add_u32 s5, s2, s0
	s_addc_u32 s7, s3, s1
	s_add_i32 s6, s6, 1
	s_mul_i32 s1, s8, 0x70
	s_mul_i32 s0, s14, s6
	s_lshl_b32 s6, s0, 1
	s_mulk_i32 s0, 0xe0
	s_add_i32 s6, s8, s6
	s_add_i32 s1, s1, s0
	s_lshl_b32 s0, s12, 1
	v_add3_u32 v3, s1, v0, 0xfffffe40
	s_add_i32 s0, s6, s0
	v_mov_b32_e32 v0, s11
	s_add_i32 s6, s9, -1
	s_add_i32 s0, s0, -4
.LBB69_3:                               ; =>This Inner Loop Header: Depth=1
	v_ashrrev_i32_e32 v4, 31, v3
	s_ashr_i32 s1, s0, 31
	s_lshl_b64 s[8:9], s[0:1], 3
	s_add_u32 s8, s2, s8
	v_lshlrev_b64 v[7:8], 2, v[3:4]
	s_addc_u32 s9, s3, s9
	v_add_nc_u32_e32 v3, 0xffffff20, v3
	s_add_i32 s6, s6, -1
	s_add_i32 s0, s0, -2
	s_cmp_le_i32 s6, s4
	v_add_co_u32 v7, vcc_lo, s5, v7
	v_add_co_ci_u32_e64 v8, null, s7, v8, vcc_lo
	s_load_dwordx2 s[8:9], s[8:9], 0x0
	global_load_dword v4, v[7:8], off
	v_max_f32_e32 v7, v0, v0
	s_waitcnt lgkmcnt(0)
	v_max_f32_e64 v8, s8, s8
	v_max_f32_e32 v7, v7, v8
	v_sub_f32_e32 v8, s8, v7
	v_sub_f32_e32 v0, v0, v7
	v_mul_f32_e32 v9, 0x3fb8aa3b, v8
	v_mul_f32_e32 v12, 0x3fb8aa3b, v0
	v_cmp_ngt_f32_e32 vcc_lo, 0xc2ce8ed0, v8
	v_fma_f32 v10, 0x3fb8aa3b, v8, -v9
	v_rndne_f32_e32 v11, v9
	v_fma_f32 v13, 0x3fb8aa3b, v0, -v12
	v_rndne_f32_e32 v14, v12
	v_fmac_f32_e32 v10, 0x32a5705f, v8
	v_sub_f32_e32 v9, v9, v11
	v_fmac_f32_e32 v13, 0x32a5705f, v0
	v_cvt_i32_f32_e32 v11, v11
	v_add_f32_e32 v9, v9, v10
	v_sub_f32_e32 v10, v12, v14
	v_exp_f32_e32 v9, v9
	v_add_f32_e32 v10, v10, v13
	v_exp_f32_e32 v10, v10
	v_ldexp_f32 v9, v9, v11
	v_cvt_i32_f32_e32 v11, v14
	v_cndmask_b32_e32 v9, 0, v9, vcc_lo
	v_cmp_nlt_f32_e32 vcc_lo, 0x42b17218, v8
	v_ldexp_f32 v10, v10, v11
	v_mov_b32_e32 v11, v6
	v_cndmask_b32_e32 v9, 0x7f800000, v9, vcc_lo
	v_cmp_ngt_f32_e32 vcc_lo, 0xc2ce8ed0, v0
	v_cndmask_b32_e32 v10, 0, v10, vcc_lo
	v_cmp_le_f32_e32 vcc_lo, 0xc1a00000, v8
	v_cndmask_b32_e32 v8, 0, v9, vcc_lo
	v_cmp_nlt_f32_e32 vcc_lo, 0x42b17218, v0
	s_waitcnt vmcnt(1)
	v_mov_b32_e32 v9, v5
	v_cndmask_b32_e32 v5, 0x7f800000, v10, vcc_lo
	v_mul_f32_e32 v10, s9, v8
	v_cmp_le_f32_e32 vcc_lo, 0xc1a00000, v0
	v_mov_b32_e32 v0, v7
	v_mov_b32_e32 v6, v10
	v_cndmask_b32_e32 v12, 0, v5, vcc_lo
	v_fmac_f32_e32 v6, v11, v12
	s_waitcnt vmcnt(0)
	v_mul_f32_e32 v5, v4, v8
	v_fmac_f32_e32 v5, v9, v12
	s_cbranch_scc0 .LBB69_3
	s_branch .LBB69_5
.LBB69_4:
	s_waitcnt lgkmcnt(0)
	v_mov_b32_e32 v6, s10
.LBB69_5:
	s_waitcnt vmcnt(0)
	v_div_scale_f32 v0, null, v6, v6, v5
	v_rcp_f32_e32 v3, v0
	v_fma_f32 v4, -v0, v3, 1.0
	v_fmac_f32_e32 v3, v4, v3
	v_div_scale_f32 v4, vcc_lo, v5, v6, v5
	v_mul_f32_e32 v7, v4, v3
	v_fma_f32 v8, -v0, v7, v4
	v_fmac_f32_e32 v7, v8, v3
	v_fma_f32 v0, -v0, v7, v4
	v_div_fmas_f32 v0, v0, v3, v7
	v_div_fixup_f32 v0, v0, v6, v5
	global_store_dword v[1:2], v0, off
.LBB69_6:
	s_endpgm
	.section	.rodata,"a",@progbits
	.p2align	6, 0x0
	.amdhsa_kernel _ZL33flash_attn_stream_k_fixup_uniformILi112ELi2ELi1EEvPfPK15HIP_vector_typeIfLj2EEiiiiiiS1_IjLj3EES5_S5_
		.amdhsa_group_segment_fixed_size 0
		.amdhsa_private_segment_fixed_size 0
		.amdhsa_kernarg_size 76
		.amdhsa_user_sgpr_count 6
		.amdhsa_user_sgpr_private_segment_buffer 1
		.amdhsa_user_sgpr_dispatch_ptr 0
		.amdhsa_user_sgpr_queue_ptr 0
		.amdhsa_user_sgpr_kernarg_segment_ptr 1
		.amdhsa_user_sgpr_dispatch_id 0
		.amdhsa_user_sgpr_flat_scratch_init 0
		.amdhsa_user_sgpr_private_segment_size 0
		.amdhsa_wavefront_size32 1
		.amdhsa_uses_dynamic_stack 0
		.amdhsa_system_sgpr_private_segment_wavefront_offset 0
		.amdhsa_system_sgpr_workgroup_id_x 1
		.amdhsa_system_sgpr_workgroup_id_y 1
		.amdhsa_system_sgpr_workgroup_id_z 1
		.amdhsa_system_sgpr_workgroup_info 0
		.amdhsa_system_vgpr_workitem_id 0
		.amdhsa_next_free_vgpr 15
		.amdhsa_next_free_sgpr 24
		.amdhsa_reserve_vcc 1
		.amdhsa_reserve_flat_scratch 0
		.amdhsa_float_round_mode_32 0
		.amdhsa_float_round_mode_16_64 0
		.amdhsa_float_denorm_mode_32 3
		.amdhsa_float_denorm_mode_16_64 3
		.amdhsa_dx10_clamp 1
		.amdhsa_ieee_mode 1
		.amdhsa_fp16_overflow 0
		.amdhsa_workgroup_processor_mode 1
		.amdhsa_memory_ordered 1
		.amdhsa_forward_progress 1
		.amdhsa_shared_vgpr_count 0
		.amdhsa_exception_fp_ieee_invalid_op 0
		.amdhsa_exception_fp_denorm_src 0
		.amdhsa_exception_fp_ieee_div_zero 0
		.amdhsa_exception_fp_ieee_overflow 0
		.amdhsa_exception_fp_ieee_underflow 0
		.amdhsa_exception_fp_ieee_inexact 0
		.amdhsa_exception_int_div_zero 0
	.end_amdhsa_kernel
	.section	.text._ZL33flash_attn_stream_k_fixup_uniformILi112ELi2ELi1EEvPfPK15HIP_vector_typeIfLj2EEiiiiiiS1_IjLj3EES5_S5_,"axG",@progbits,_ZL33flash_attn_stream_k_fixup_uniformILi112ELi2ELi1EEvPfPK15HIP_vector_typeIfLj2EEiiiiiiS1_IjLj3EES5_S5_,comdat
.Lfunc_end69:
	.size	_ZL33flash_attn_stream_k_fixup_uniformILi112ELi2ELi1EEvPfPK15HIP_vector_typeIfLj2EEiiiiiiS1_IjLj3EES5_S5_, .Lfunc_end69-_ZL33flash_attn_stream_k_fixup_uniformILi112ELi2ELi1EEvPfPK15HIP_vector_typeIfLj2EEiiiiiiS1_IjLj3EES5_S5_
                                        ; -- End function
	.set _ZL33flash_attn_stream_k_fixup_uniformILi112ELi2ELi1EEvPfPK15HIP_vector_typeIfLj2EEiiiiiiS1_IjLj3EES5_S5_.num_vgpr, 15
	.set _ZL33flash_attn_stream_k_fixup_uniformILi112ELi2ELi1EEvPfPK15HIP_vector_typeIfLj2EEiiiiiiS1_IjLj3EES5_S5_.num_agpr, 0
	.set _ZL33flash_attn_stream_k_fixup_uniformILi112ELi2ELi1EEvPfPK15HIP_vector_typeIfLj2EEiiiiiiS1_IjLj3EES5_S5_.numbered_sgpr, 24
	.set _ZL33flash_attn_stream_k_fixup_uniformILi112ELi2ELi1EEvPfPK15HIP_vector_typeIfLj2EEiiiiiiS1_IjLj3EES5_S5_.num_named_barrier, 0
	.set _ZL33flash_attn_stream_k_fixup_uniformILi112ELi2ELi1EEvPfPK15HIP_vector_typeIfLj2EEiiiiiiS1_IjLj3EES5_S5_.private_seg_size, 0
	.set _ZL33flash_attn_stream_k_fixup_uniformILi112ELi2ELi1EEvPfPK15HIP_vector_typeIfLj2EEiiiiiiS1_IjLj3EES5_S5_.uses_vcc, 1
	.set _ZL33flash_attn_stream_k_fixup_uniformILi112ELi2ELi1EEvPfPK15HIP_vector_typeIfLj2EEiiiiiiS1_IjLj3EES5_S5_.uses_flat_scratch, 0
	.set _ZL33flash_attn_stream_k_fixup_uniformILi112ELi2ELi1EEvPfPK15HIP_vector_typeIfLj2EEiiiiiiS1_IjLj3EES5_S5_.has_dyn_sized_stack, 0
	.set _ZL33flash_attn_stream_k_fixup_uniformILi112ELi2ELi1EEvPfPK15HIP_vector_typeIfLj2EEiiiiiiS1_IjLj3EES5_S5_.has_recursion, 0
	.set _ZL33flash_attn_stream_k_fixup_uniformILi112ELi2ELi1EEvPfPK15HIP_vector_typeIfLj2EEiiiiiiS1_IjLj3EES5_S5_.has_indirect_call, 0
	.section	.AMDGPU.csdata,"",@progbits
; Kernel info:
; codeLenInByte = 828
; TotalNumSgprs: 26
; NumVgprs: 15
; ScratchSize: 0
; MemoryBound: 0
; FloatMode: 240
; IeeeMode: 1
; LDSByteSize: 0 bytes/workgroup (compile time only)
; SGPRBlocks: 0
; VGPRBlocks: 1
; NumSGPRsForWavesPerEU: 26
; NumVGPRsForWavesPerEU: 15
; Occupancy: 16
; WaveLimiterHint : 0
; COMPUTE_PGM_RSRC2:SCRATCH_EN: 0
; COMPUTE_PGM_RSRC2:USER_SGPR: 6
; COMPUTE_PGM_RSRC2:TRAP_HANDLER: 0
; COMPUTE_PGM_RSRC2:TGID_X_EN: 1
; COMPUTE_PGM_RSRC2:TGID_Y_EN: 1
; COMPUTE_PGM_RSRC2:TGID_Z_EN: 1
; COMPUTE_PGM_RSRC2:TIDIG_COMP_CNT: 0
	.section	.text._ZL33flash_attn_stream_k_fixup_generalILi112ELi2ELi1EEvPfPK15HIP_vector_typeIfLj2EEiiiiS1_IjLj3EES5_S5_S5_,"axG",@progbits,_ZL33flash_attn_stream_k_fixup_generalILi112ELi2ELi1EEvPfPK15HIP_vector_typeIfLj2EEiiiiS1_IjLj3EES5_S5_S5_,comdat
	.globl	_ZL33flash_attn_stream_k_fixup_generalILi112ELi2ELi1EEvPfPK15HIP_vector_typeIfLj2EEiiiiS1_IjLj3EES5_S5_S5_ ; -- Begin function _ZL33flash_attn_stream_k_fixup_generalILi112ELi2ELi1EEvPfPK15HIP_vector_typeIfLj2EEiiiiS1_IjLj3EES5_S5_S5_
	.p2align	8
	.type	_ZL33flash_attn_stream_k_fixup_generalILi112ELi2ELi1EEvPfPK15HIP_vector_typeIfLj2EEiiiiS1_IjLj3EES5_S5_S5_,@function
_ZL33flash_attn_stream_k_fixup_generalILi112ELi2ELi1EEvPfPK15HIP_vector_typeIfLj2EEiiiiS1_IjLj3EES5_S5_S5_: ; @_ZL33flash_attn_stream_k_fixup_generalILi112ELi2ELi1EEvPfPK15HIP_vector_typeIfLj2EEiiiiS1_IjLj3EES5_S5_S5_
; %bb.0:
	s_clause 0x1
	s_load_dwordx4 s[0:3], s[4:5], 0x10
	s_load_dword s9, s[4:5], 0x50
	s_mov_b32 s16, 0
	s_waitcnt lgkmcnt(0)
	s_mul_hi_i32 s17, s3, s6
	s_mul_i32 s18, s3, s6
	s_cmp_lg_u64 s[16:17], 0
	s_cbranch_scc0 .LBB70_21
; %bb.1:
	s_add_u32 s10, s9, 0
	s_addc_u32 s11, 0, 0
	s_xor_b64 s[10:11], s[10:11], 0
	v_cvt_f32_u32_e32 v1, s10
	v_cvt_f32_u32_e32 v2, s11
	s_sub_u32 s14, 0, s10
	s_subb_u32 s15, 0, s11
	v_fmamk_f32 v1, v2, 0x4f800000, v1
	v_rcp_f32_e32 v1, v1
	v_mul_f32_e32 v1, 0x5f7ffffc, v1
	v_mul_f32_e32 v2, 0x2f800000, v1
	v_trunc_f32_e32 v2, v2
	v_fmamk_f32 v1, v2, 0xcf800000, v1
	v_cvt_u32_f32_e32 v2, v2
	v_cvt_u32_f32_e32 v1, v1
	v_readfirstlane_b32 s12, v2
	v_readfirstlane_b32 s13, v1
	s_mul_i32 s19, s14, s12
	s_mul_hi_u32 s21, s14, s13
	s_mul_i32 s20, s15, s13
	s_add_i32 s19, s21, s19
	s_mul_i32 s22, s14, s13
	s_add_i32 s19, s19, s20
	s_mul_hi_u32 s21, s13, s22
	s_mul_i32 s24, s13, s19
	s_mul_hi_u32 s23, s12, s22
	s_mul_i32 s20, s12, s22
	s_mul_hi_u32 s22, s13, s19
	s_add_u32 s21, s21, s24
	s_addc_u32 s22, 0, s22
	s_mul_hi_u32 s25, s12, s19
	s_add_u32 s20, s21, s20
	s_mul_i32 s19, s12, s19
	s_addc_u32 s20, s22, s23
	s_addc_u32 s21, s25, 0
	s_add_u32 s19, s20, s19
	s_addc_u32 s20, 0, s21
	s_add_u32 s13, s13, s19
	s_cselect_b32 s19, -1, 0
	s_mul_hi_u32 s21, s14, s13
	s_cmp_lg_u32 s19, 0
	s_mul_i32 s19, s14, s13
	s_addc_u32 s12, s12, s20
	s_mul_i32 s15, s15, s13
	s_mul_i32 s14, s14, s12
	s_mul_hi_u32 s20, s13, s19
	s_add_i32 s14, s21, s14
	s_mul_hi_u32 s21, s12, s19
	s_add_i32 s14, s14, s15
	s_mul_i32 s15, s12, s19
	s_mul_i32 s23, s13, s14
	s_mul_hi_u32 s22, s13, s14
	s_add_u32 s20, s20, s23
	s_addc_u32 s22, 0, s22
	s_mul_hi_u32 s19, s12, s14
	s_add_u32 s15, s20, s15
	s_mul_i32 s14, s12, s14
	s_addc_u32 s15, s22, s21
	s_addc_u32 s19, s19, 0
	s_add_u32 s14, s15, s14
	s_addc_u32 s15, 0, s19
	s_add_u32 s19, s13, s14
	s_cselect_b32 s13, -1, 0
	s_cmp_lg_u32 s13, 0
	s_addc_u32 s20, s12, s15
	s_ashr_i32 s12, s17, 31
	s_add_u32 s14, s18, s12
	s_mov_b32 s13, s12
	s_addc_u32 s15, s17, s12
	s_xor_b64 s[14:15], s[14:15], s[12:13]
	s_mul_i32 s21, s14, s20
	s_mul_hi_u32 s22, s14, s19
	s_mul_hi_u32 s17, s14, s20
	;; [unrolled: 1-line block ×3, first 2 shown]
	s_mul_i32 s19, s15, s19
	s_add_u32 s21, s22, s21
	s_addc_u32 s17, 0, s17
	s_mul_hi_u32 s23, s15, s20
	s_add_u32 s19, s21, s19
	s_mul_i32 s20, s15, s20
	s_addc_u32 s17, s17, s24
	s_addc_u32 s19, s23, 0
	s_add_u32 s17, s17, s20
	s_addc_u32 s19, 0, s19
	s_mul_hi_u32 s20, s10, s17
	s_mul_i32 s21, s10, s19
	s_mul_i32 s22, s11, s17
	s_add_i32 s20, s20, s21
	s_mul_i32 s21, s10, s17
	s_add_i32 s20, s20, s22
	s_sub_i32 s22, s15, s20
	s_sub_u32 s14, s14, s21
	s_cselect_b32 s21, -1, 0
	s_cmp_lg_u32 s21, 0
	s_subb_u32 s22, s22, s11
	s_sub_u32 s23, s14, s10
	s_cselect_b32 s24, -1, 0
	s_cmp_lg_u32 s24, 0
	s_subb_u32 s22, s22, 0
	s_cmp_ge_u32 s22, s11
	s_cselect_b32 s24, -1, 0
	s_cmp_ge_u32 s23, s10
	s_cselect_b32 s23, -1, 0
	s_cmp_eq_u32 s22, s11
	s_cselect_b32 s22, s23, s24
	s_add_u32 s23, s17, 1
	s_addc_u32 s24, s19, 0
	s_add_u32 s25, s17, 2
	s_addc_u32 s26, s19, 0
	s_cmp_lg_u32 s22, 0
	s_cselect_b32 s22, s25, s23
	s_cselect_b32 s23, s26, s24
	s_cmp_lg_u32 s21, 0
	s_subb_u32 s15, s15, s20
	s_cmp_ge_u32 s15, s11
	s_cselect_b32 s20, -1, 0
	s_cmp_ge_u32 s14, s10
	s_cselect_b32 s10, -1, 0
	s_cmp_eq_u32 s15, s11
	s_cselect_b32 s10, s10, s20
	s_cmp_lg_u32 s10, 0
	s_cselect_b32 s11, s23, s19
	s_cselect_b32 s10, s22, s17
	s_xor_b64 s[12:13], s[12:13], 0
	s_xor_b64 s[10:11], s[10:11], s[12:13]
	s_sub_u32 s10, s10, s12
	s_load_dwordx4 s[12:15], s[4:5], 0x44
	s_andn2_b32 vcc_lo, exec_lo, s16
	s_cbranch_vccnz .LBB70_3
.LBB70_2:
	v_cvt_f32_u32_e32 v1, s9
	s_sub_i32 s11, 0, s9
	v_rcp_iflag_f32_e32 v1, v1
	v_mul_f32_e32 v1, 0x4f7ffffe, v1
	v_cvt_u32_f32_e32 v1, v1
	v_readfirstlane_b32 s10, v1
	s_mul_i32 s11, s11, s10
	s_mul_hi_u32 s11, s10, s11
	s_add_i32 s10, s10, s11
	s_mul_hi_u32 s10, s18, s10
	s_mul_i32 s11, s10, s9
	s_waitcnt lgkmcnt(0)
	s_add_i32 s15, s10, 1
	s_sub_i32 s11, s18, s11
	s_sub_i32 s16, s11, s9
	s_cmp_ge_u32 s11, s9
	s_cselect_b32 s10, s15, s10
	s_cselect_b32 s11, s16, s11
	s_add_i32 s15, s10, 1
	s_cmp_ge_u32 s11, s9
	s_cselect_b32 s10, s15, s10
.LBB70_3:
	s_add_i32 s11, s6, 1
	s_mov_b32 s16, 0
	s_mul_hi_i32 s17, s3, s11
	s_mul_i32 s11, s3, s11
	s_cmp_lg_u64 s[16:17], 0
	s_cbranch_scc0 .LBB70_22
; %bb.4:
	s_add_u32 s18, s9, 0
	s_addc_u32 s19, 0, 0
	s_xor_b64 s[18:19], s[18:19], 0
	v_cvt_f32_u32_e32 v1, s18
	v_cvt_f32_u32_e32 v2, s19
	s_sub_u32 s21, 0, s18
	s_subb_u32 s22, 0, s19
	v_fmamk_f32 v1, v2, 0x4f800000, v1
	v_rcp_f32_e32 v1, v1
	v_mul_f32_e32 v1, 0x5f7ffffc, v1
	v_mul_f32_e32 v2, 0x2f800000, v1
	v_trunc_f32_e32 v2, v2
	v_fmamk_f32 v1, v2, 0xcf800000, v1
	v_cvt_u32_f32_e32 v2, v2
	v_cvt_u32_f32_e32 v1, v1
	s_waitcnt lgkmcnt(0)
	v_readfirstlane_b32 s15, v2
	v_readfirstlane_b32 s20, v1
	s_mul_i32 s23, s21, s15
	s_mul_hi_u32 s25, s21, s20
	s_mul_i32 s24, s22, s20
	s_add_i32 s23, s25, s23
	s_mul_i32 s26, s21, s20
	s_add_i32 s23, s23, s24
	s_mul_hi_u32 s25, s20, s26
	s_mul_i32 s28, s20, s23
	s_mul_hi_u32 s27, s15, s26
	s_mul_i32 s24, s15, s26
	s_mul_hi_u32 s26, s20, s23
	s_add_u32 s25, s25, s28
	s_addc_u32 s26, 0, s26
	s_mul_hi_u32 s29, s15, s23
	s_add_u32 s24, s25, s24
	s_mul_i32 s23, s15, s23
	s_addc_u32 s24, s26, s27
	s_addc_u32 s25, s29, 0
	s_add_u32 s23, s24, s23
	s_addc_u32 s24, 0, s25
	s_add_u32 s20, s20, s23
	s_cselect_b32 s23, -1, 0
	s_mul_hi_u32 s25, s21, s20
	s_cmp_lg_u32 s23, 0
	s_mul_i32 s23, s21, s20
	s_addc_u32 s15, s15, s24
	s_mul_i32 s22, s22, s20
	s_mul_i32 s21, s21, s15
	s_mul_hi_u32 s24, s20, s23
	s_add_i32 s21, s25, s21
	s_mul_hi_u32 s25, s15, s23
	s_add_i32 s21, s21, s22
	s_mul_i32 s22, s15, s23
	s_mul_i32 s27, s20, s21
	s_mul_hi_u32 s26, s20, s21
	s_add_u32 s24, s24, s27
	s_addc_u32 s26, 0, s26
	s_mul_hi_u32 s23, s15, s21
	s_add_u32 s22, s24, s22
	s_mul_i32 s21, s15, s21
	s_addc_u32 s22, s26, s25
	s_addc_u32 s23, s23, 0
	s_add_u32 s21, s22, s21
	s_addc_u32 s22, 0, s23
	s_add_u32 s24, s20, s21
	s_cselect_b32 s20, -1, 0
	s_cmp_lg_u32 s20, 0
	s_addc_u32 s15, s15, s22
	s_ashr_i32 s20, s17, 31
	s_add_u32 s22, s11, s20
	s_mov_b32 s21, s20
	s_addc_u32 s23, s17, s20
	s_xor_b64 s[22:23], s[22:23], s[20:21]
	s_mul_i32 s25, s22, s15
	s_mul_hi_u32 s26, s22, s24
	s_mul_hi_u32 s17, s22, s15
	;; [unrolled: 1-line block ×3, first 2 shown]
	s_mul_i32 s24, s23, s24
	s_add_u32 s25, s26, s25
	s_addc_u32 s17, 0, s17
	s_mul_hi_u32 s27, s23, s15
	s_add_u32 s24, s25, s24
	s_mul_i32 s15, s23, s15
	s_addc_u32 s17, s17, s28
	s_addc_u32 s24, s27, 0
	s_add_u32 s15, s17, s15
	s_addc_u32 s17, 0, s24
	s_mul_hi_u32 s24, s18, s15
	s_mul_i32 s25, s18, s17
	s_mul_i32 s26, s19, s15
	s_add_i32 s24, s24, s25
	s_mul_i32 s25, s18, s15
	s_add_i32 s24, s24, s26
	s_sub_i32 s26, s23, s24
	s_sub_u32 s22, s22, s25
	s_cselect_b32 s25, -1, 0
	s_cmp_lg_u32 s25, 0
	s_subb_u32 s26, s26, s19
	s_sub_u32 s27, s22, s18
	s_cselect_b32 s28, -1, 0
	s_cmp_lg_u32 s28, 0
	s_subb_u32 s26, s26, 0
	s_cmp_ge_u32 s26, s19
	s_cselect_b32 s28, -1, 0
	s_cmp_ge_u32 s27, s18
	s_cselect_b32 s27, -1, 0
	s_cmp_eq_u32 s26, s19
	s_cselect_b32 s26, s27, s28
	s_add_u32 s27, s15, 1
	s_addc_u32 s28, s17, 0
	s_add_u32 s29, s15, 2
	s_addc_u32 s30, s17, 0
	s_cmp_lg_u32 s26, 0
	s_cselect_b32 s26, s29, s27
	s_cselect_b32 s27, s30, s28
	s_cmp_lg_u32 s25, 0
	s_subb_u32 s23, s23, s24
	s_cmp_ge_u32 s23, s19
	s_cselect_b32 s24, -1, 0
	s_cmp_ge_u32 s22, s18
	s_cselect_b32 s18, -1, 0
	s_cmp_eq_u32 s23, s19
	s_cselect_b32 s18, s18, s24
	s_cmp_lg_u32 s18, 0
	s_cselect_b32 s19, s27, s17
	s_cselect_b32 s18, s26, s15
	s_xor_b64 s[20:21], s[20:21], 0
	s_xor_b64 s[18:19], s[18:19], s[20:21]
	s_sub_u32 s18, s18, s20
	s_andn2_b32 vcc_lo, exec_lo, s16
	s_cbranch_vccnz .LBB70_6
.LBB70_5:
	v_cvt_f32_u32_e32 v1, s9
	s_sub_i32 s16, 0, s9
	v_rcp_iflag_f32_e32 v1, v1
	v_mul_f32_e32 v1, 0x4f7ffffe, v1
	v_cvt_u32_f32_e32 v1, v1
	s_waitcnt lgkmcnt(0)
	v_readfirstlane_b32 s15, v1
	s_mul_i32 s16, s16, s15
	s_mul_hi_u32 s16, s15, s16
	s_add_i32 s15, s15, s16
	s_mul_hi_u32 s15, s11, s15
	s_mul_i32 s16, s15, s9
	s_sub_i32 s11, s11, s16
	s_add_i32 s16, s15, 1
	s_sub_i32 s17, s11, s9
	s_cmp_ge_u32 s11, s9
	s_cselect_b32 s15, s16, s15
	s_cselect_b32 s11, s17, s11
	s_add_i32 s16, s15, 1
	s_cmp_ge_u32 s11, s9
	s_cselect_b32 s18, s16, s15
.LBB70_6:
	s_cmp_eq_u32 s10, s18
	s_waitcnt lgkmcnt(0)
	s_mul_hi_u32 s11, s10, s12
	s_cselect_b32 s15, -1, 0
	s_add_i32 s11, s11, s10
	s_lshr_b32 s11, s11, s13
	s_mul_i32 s16, s11, s14
	s_cmp_eq_u32 s16, s10
	s_mul_hi_u32 s16, s18, s12
	s_cselect_b32 s17, -1, 0
	s_add_i32 s16, s16, s18
	s_lshr_b32 s16, s16, s13
	s_cmp_eq_u32 s11, s16
	s_mul_i32 s16, s16, s14
	s_cselect_b32 s19, -1, 0
	s_cmp_lg_u32 s16, s18
	s_cselect_b32 s16, -1, 0
	s_or_b32 s15, s15, s17
	s_and_b32 s16, s19, s16
	s_or_b32 s15, s15, s16
	s_and_b32 vcc_lo, exec_lo, s15
	s_cbranch_vccnz .LBB70_24
; %bb.7:
	s_clause 0x1
	s_load_dwordx8 s[20:27], s[4:5], 0x20
	s_load_dword s16, s[4:5], 0x40
	s_waitcnt lgkmcnt(0)
	s_mul_hi_u32 s15, s10, s20
	s_add_i32 s15, s15, s10
	s_lshr_b32 s15, s15, s21
	s_mul_i32 s17, s15, s22
	s_sub_i32 s17, s10, s17
	s_mul_hi_u32 s18, s17, s23
	s_add_i32 s18, s17, s18
	s_lshr_b32 s21, s18, s24
	s_mul_i32 s18, s21, s25
	s_sub_i32 s17, s17, s18
	;; [unrolled: 5-line block ×3, first 2 shown]
	s_mul_hi_u32 s17, s16, s12
	s_add_i32 s16, s16, s17
	s_lshr_b32 s20, s16, s13
	s_lshl_b32 s16, s20, 1
	s_add_i32 s16, s16, s7
	s_cmp_lt_i32 s16, s0
	s_cselect_b32 s16, -1, 0
	s_add_i32 s22, s22, s8
	s_cmp_lt_i32 s22, s2
	s_cselect_b32 s17, -1, 0
	s_and_b32 s16, s16, s17
	s_andn2_b32 vcc_lo, exec_lo, s16
	s_cbranch_vccnz .LBB70_24
; %bb.8:
	s_load_dwordx4 s[16:19], s[4:5], 0x0
	s_mov_b32 s4, 0
	s_lshl_b32 s24, s9, 3
	s_mov_b32 s25, s4
	s_add_i32 s8, s7, s8
	s_lshl_b64 s[24:25], s[24:25], 2
	s_mul_i32 s0, s15, s0
	s_mul_i32 s21, s21, s2
	v_cvt_f32_u32_e32 v3, s9
	v_rcp_iflag_f32_e32 v3, v3
	s_waitcnt lgkmcnt(0)
	s_add_u32 s2, s18, s24
	s_addc_u32 s15, s19, s25
	s_add_i32 s0, s0, s7
	s_add_i32 s5, s22, s21
	s_mul_i32 s0, s0, s1
	s_mul_i32 s1, s1, s20
	s_add_i32 s0, s5, s0
	s_mulk_i32 s1, 0xe0
	s_mulk_i32 s0, 0x70
	v_mul_f32_e32 v7, 0x4f7ffffe, v3
	v_add3_u32 v1, s1, s0, v0
	s_lshl_b32 s0, s6, 1
	s_add_i32 s0, s0, s8
	v_ashrrev_i32_e32 v2, 31, v1
	s_ashr_i32 s1, s0, 31
	s_lshl_b64 s[0:1], s[0:1], 3
	v_lshlrev_b64 v[1:2], 2, v[1:2]
	s_add_u32 s0, s18, s0
	s_addc_u32 s1, s19, s1
	s_load_dwordx2 s[0:1], s[0:1], 0x0
	v_add_co_u32 v1, vcc_lo, s16, v1
	v_add_co_ci_u32_e64 v2, null, s17, v2, vcc_lo
	s_add_i32 s17, s6, -1
	v_mad_u64_u32 v[3:4], null, 0x70, s8, v[0:1]
	global_load_dword v5, v[1:2], off
	v_cvt_u32_f32_e32 v0, v7
	s_sub_i32 s16, 0, s9
	s_waitcnt lgkmcnt(0)
	v_mov_b32_e32 v4, s1
	v_mov_b32_e32 v6, s0
.LBB70_9:                               ; =>This Inner Loop Header: Depth=1
	s_mul_hi_i32 s5, s17, s3
	s_mul_i32 s6, s17, s3
	s_cmp_lg_u64 s[4:5], 0
	s_mov_b32 s7, -1
                                        ; implicit-def: $sgpr0_sgpr1
	s_cbranch_scc0 .LBB70_11
; %bb.10:                               ;   in Loop: Header=BB70_9 Depth=1
	s_add_u32 s0, s9, 0
	s_addc_u32 s1, 0, 0
	s_xor_b64 s[0:1], s[0:1], 0
	v_cvt_f32_u32_e32 v7, s0
	v_cvt_f32_u32_e32 v8, s1
	s_sub_u32 s21, 0, s0
	s_subb_u32 s22, 0, s1
	v_fmac_f32_e32 v7, 0x4f800000, v8
	v_rcp_f32_e32 v7, v7
	v_mul_f32_e32 v7, 0x5f7ffffc, v7
	v_mul_f32_e32 v8, 0x2f800000, v7
	v_trunc_f32_e32 v8, v8
	v_fmac_f32_e32 v7, 0xcf800000, v8
	v_cvt_u32_f32_e32 v8, v8
	v_cvt_u32_f32_e32 v7, v7
	v_readfirstlane_b32 s7, v8
	v_readfirstlane_b32 s20, v7
	s_mul_i32 s23, s21, s7
	s_mul_hi_u32 s25, s21, s20
	s_mul_i32 s24, s22, s20
	s_add_i32 s23, s25, s23
	s_mul_i32 s26, s21, s20
	s_add_i32 s23, s23, s24
	s_mul_hi_u32 s25, s20, s26
	s_mul_i32 s28, s20, s23
	s_mul_hi_u32 s27, s7, s26
	s_mul_i32 s24, s7, s26
	s_mul_hi_u32 s26, s20, s23
	s_add_u32 s25, s25, s28
	s_addc_u32 s26, 0, s26
	s_mul_hi_u32 s29, s7, s23
	s_add_u32 s24, s25, s24
	s_mul_i32 s23, s7, s23
	s_addc_u32 s24, s26, s27
	s_addc_u32 s25, s29, 0
	s_add_u32 s23, s24, s23
	s_addc_u32 s24, 0, s25
	s_add_u32 s20, s20, s23
	s_cselect_b32 s23, -1, 0
	s_mul_hi_u32 s25, s21, s20
	s_cmp_lg_u32 s23, 0
	s_mul_i32 s23, s21, s20
	s_addc_u32 s7, s7, s24
	s_mul_i32 s22, s22, s20
	s_mul_i32 s21, s21, s7
	s_mul_hi_u32 s24, s20, s23
	s_add_i32 s21, s25, s21
	s_mul_hi_u32 s25, s7, s23
	s_add_i32 s21, s21, s22
	s_mul_i32 s22, s7, s23
	s_mul_i32 s27, s20, s21
	s_mul_hi_u32 s26, s20, s21
	s_add_u32 s24, s24, s27
	s_addc_u32 s26, 0, s26
	s_mul_hi_u32 s23, s7, s21
	s_add_u32 s22, s24, s22
	s_mul_i32 s21, s7, s21
	s_addc_u32 s22, s26, s25
	s_addc_u32 s23, s23, 0
	s_add_u32 s21, s22, s21
	s_addc_u32 s22, 0, s23
	s_add_u32 s24, s20, s21
	s_cselect_b32 s20, -1, 0
	s_cmp_lg_u32 s20, 0
	s_addc_u32 s7, s7, s22
	s_ashr_i32 s20, s5, 31
	s_add_u32 s22, s6, s20
	s_mov_b32 s21, s20
	s_addc_u32 s23, s5, s20
	s_xor_b64 s[22:23], s[22:23], s[20:21]
	s_mul_i32 s25, s22, s7
	s_mul_hi_u32 s26, s22, s24
	s_mul_hi_u32 s5, s22, s7
	;; [unrolled: 1-line block ×3, first 2 shown]
	s_mul_i32 s24, s23, s24
	s_add_u32 s25, s26, s25
	s_addc_u32 s5, 0, s5
	s_mul_hi_u32 s27, s23, s7
	s_add_u32 s24, s25, s24
	s_mul_i32 s7, s23, s7
	s_addc_u32 s5, s5, s28
	s_addc_u32 s24, s27, 0
	s_add_u32 s5, s5, s7
	s_addc_u32 s7, 0, s24
	s_mul_hi_u32 s24, s0, s5
	s_mul_i32 s25, s0, s7
	s_mul_i32 s26, s1, s5
	s_add_i32 s24, s24, s25
	s_mul_i32 s25, s0, s5
	s_add_i32 s24, s24, s26
	s_sub_i32 s26, s23, s24
	s_sub_u32 s22, s22, s25
	s_cselect_b32 s25, -1, 0
	s_cmp_lg_u32 s25, 0
	s_subb_u32 s26, s26, s1
	s_sub_u32 s27, s22, s0
	s_cselect_b32 s28, -1, 0
	s_cmp_lg_u32 s28, 0
	s_subb_u32 s26, s26, 0
	s_cmp_ge_u32 s26, s1
	s_cselect_b32 s28, -1, 0
	s_cmp_ge_u32 s27, s0
	s_cselect_b32 s27, -1, 0
	s_cmp_eq_u32 s26, s1
	s_cselect_b32 s26, s27, s28
	s_add_u32 s27, s5, 1
	s_addc_u32 s28, s7, 0
	s_add_u32 s29, s5, 2
	s_addc_u32 s30, s7, 0
	s_cmp_lg_u32 s26, 0
	s_cselect_b32 s26, s29, s27
	s_cselect_b32 s27, s30, s28
	s_cmp_lg_u32 s25, 0
	s_subb_u32 s23, s23, s24
	s_cmp_ge_u32 s23, s1
	s_cselect_b32 s24, -1, 0
	s_cmp_ge_u32 s22, s0
	s_cselect_b32 s0, -1, 0
	s_cmp_eq_u32 s23, s1
	s_cselect_b32 s0, s0, s24
	s_cmp_lg_u32 s0, 0
	s_cselect_b32 s1, s27, s7
	s_cselect_b32 s0, s26, s5
	s_xor_b64 s[20:21], s[20:21], 0
	s_mov_b32 s7, 0
	s_xor_b64 s[0:1], s[0:1], s[20:21]
	s_sub_u32 s0, s0, s20
.LBB70_11:                              ;   in Loop: Header=BB70_9 Depth=1
	s_andn2_b32 vcc_lo, exec_lo, s7
	s_cbranch_vccnz .LBB70_13
; %bb.12:                               ;   in Loop: Header=BB70_9 Depth=1
	v_readfirstlane_b32 s0, v0
	s_mul_i32 s1, s16, s0
	s_mul_hi_u32 s1, s0, s1
	s_add_i32 s0, s0, s1
	s_mul_hi_u32 s0, s6, s0
	s_mul_i32 s1, s0, s9
	s_add_i32 s5, s0, 1
	s_sub_i32 s1, s6, s1
	s_sub_i32 s6, s1, s9
	s_cmp_ge_u32 s1, s9
	s_cselect_b32 s0, s5, s0
	s_cselect_b32 s1, s6, s1
	s_add_i32 s5, s0, 1
	s_cmp_ge_u32 s1, s9
	s_cselect_b32 s0, s5, s0
.LBB70_13:                              ;   in Loop: Header=BB70_9 Depth=1
	s_cmp_lg_u32 s10, s0
	s_mov_b32 s6, -1
                                        ; implicit-def: $sgpr5
                                        ; implicit-def: $vgpr8
                                        ; implicit-def: $vgpr7
                                        ; implicit-def: $vgpr9
                                        ; implicit-def: $sgpr1
                                        ; implicit-def: $sgpr20
	s_cbranch_scc0 .LBB70_18
; %bb.14:                               ;   in Loop: Header=BB70_9 Depth=1
	s_add_i32 s1, s17, s9
	s_mov_b32 s7, s4
	s_lshl_b32 s1, s1, 1
	s_mov_b32 s20, s10
	s_add_i32 s6, s1, s8
	s_mul_hi_u32 s1, s0, s12
	s_lshl_b64 s[6:7], s[6:7], 3
	s_add_u32 s6, s18, s6
	s_addc_u32 s7, s19, s7
	s_add_i32 s1, s1, s0
	s_lshr_b32 s1, s1, s13
	s_mul_i32 s5, s1, s14
	s_cmp_eq_u32 s5, s0
	s_cselect_b32 s5, -1, 0
	s_cmp_lt_u32 s1, s11
	s_cselect_b32 s1, -1, 0
	s_or_b32 s1, s1, s5
	s_mov_b32 s5, -1
	s_and_b32 vcc_lo, exec_lo, s1
	s_mov_b32 s1, s17
	s_cbranch_vccnz .LBB70_16
; %bb.15:                               ;   in Loop: Header=BB70_9 Depth=1
	s_add_i32 s1, s17, -1
	s_mov_b32 s5, 0
	s_mov_b32 s20, s0
.LBB70_16:                              ;   in Loop: Header=BB70_9 Depth=1
	v_mad_u64_u32 v[7:8], null, 0xe0, s17, v[3:4]
	s_load_dwordx2 s[6:7], s[6:7], 0x0
	v_ashrrev_i32_e32 v8, 31, v7
	v_lshlrev_b64 v[7:8], 2, v[7:8]
	v_add_co_u32 v7, vcc_lo, s2, v7
	v_add_co_ci_u32_e64 v8, null, s15, v8, vcc_lo
	s_waitcnt lgkmcnt(0)
	v_max_f32_e64 v9, s6, s6
	global_load_dword v8, v[7:8], off
	v_max_f32_e32 v7, v6, v6
	v_max_f32_e32 v7, v7, v9
	v_sub_f32_e32 v9, s6, v7
	v_sub_f32_e32 v10, v6, v7
	v_mul_f32_e32 v11, 0x3fb8aa3b, v9
	v_mul_f32_e32 v12, 0x3fb8aa3b, v10
	v_cmp_ngt_f32_e32 vcc_lo, 0xc2ce8ed0, v9
	v_fma_f32 v13, 0x3fb8aa3b, v9, -v11
	v_rndne_f32_e32 v14, v11
	v_fma_f32 v15, 0x3fb8aa3b, v10, -v12
	v_rndne_f32_e32 v16, v12
	v_fmac_f32_e32 v13, 0x32a5705f, v9
	v_sub_f32_e32 v11, v11, v14
	v_fmac_f32_e32 v15, 0x32a5705f, v10
	v_sub_f32_e32 v12, v12, v16
	v_add_f32_e32 v11, v11, v13
	v_cvt_i32_f32_e32 v13, v14
	v_add_f32_e32 v12, v12, v15
	v_cvt_i32_f32_e32 v14, v16
	v_exp_f32_e32 v11, v11
	v_exp_f32_e32 v12, v12
	v_ldexp_f32 v11, v11, v13
	v_ldexp_f32 v12, v12, v14
	v_cndmask_b32_e32 v11, 0, v11, vcc_lo
	v_cmp_ngt_f32_e32 vcc_lo, 0xc2ce8ed0, v10
	v_cndmask_b32_e32 v12, 0, v12, vcc_lo
	v_cmp_nlt_f32_e32 vcc_lo, 0x42b17218, v9
	v_cndmask_b32_e32 v11, 0x7f800000, v11, vcc_lo
	v_cmp_nlt_f32_e32 vcc_lo, 0x42b17218, v10
	v_cndmask_b32_e32 v12, 0x7f800000, v12, vcc_lo
	v_cmp_le_f32_e32 vcc_lo, 0xc1a00000, v9
	v_cndmask_b32_e32 v9, 0, v11, vcc_lo
	v_cmp_le_f32_e32 vcc_lo, 0xc1a00000, v10
	v_cndmask_b32_e32 v10, 0, v12, vcc_lo
	s_waitcnt vmcnt(0)
	v_mul_f32_e32 v8, v8, v9
	v_mul_f32_e32 v9, s7, v9
	v_fmac_f32_e32 v8, v5, v10
	v_fmac_f32_e32 v9, v4, v10
	s_cbranch_execz .LBB70_19
.LBB70_17:                              ;   in Loop: Header=BB70_9 Depth=1
	s_andn2_b32 vcc_lo, exec_lo, s5
	s_cbranch_vccnz .LBB70_20
	s_branch .LBB70_23
.LBB70_18:                              ;   in Loop: Header=BB70_9 Depth=1
	s_andn2_b32 vcc_lo, exec_lo, s6
	s_cbranch_vccnz .LBB70_17
.LBB70_19:                              ;   in Loop: Header=BB70_9 Depth=1
	v_mov_b32_e32 v9, v4
	v_mov_b32_e32 v7, v6
	s_waitcnt vmcnt(0)
	v_mov_b32_e32 v8, v5
	s_add_i32 s1, s17, -1
	s_mov_b32 s20, s10
	s_cbranch_execz .LBB70_23
.LBB70_20:                              ;   in Loop: Header=BB70_9 Depth=1
	v_mov_b32_e32 v4, v9
	v_mov_b32_e32 v6, v7
	s_waitcnt vmcnt(0)
	v_mov_b32_e32 v5, v8
	s_mov_b32 s10, s20
	s_mov_b32 s17, s1
	s_branch .LBB70_9
.LBB70_21:
                                        ; implicit-def: $sgpr10_sgpr11
	s_load_dwordx4 s[12:15], s[4:5], 0x44
	s_branch .LBB70_2
.LBB70_22:
                                        ; implicit-def: $sgpr18_sgpr19
	s_branch .LBB70_5
.LBB70_23:
	v_div_scale_f32 v0, null, v9, v9, v8
	v_rcp_f32_e32 v3, v0
	v_fma_f32 v4, -v0, v3, 1.0
	v_fmac_f32_e32 v3, v4, v3
	v_div_scale_f32 v4, vcc_lo, v8, v9, v8
	s_waitcnt vmcnt(0)
	v_mul_f32_e32 v5, v4, v3
	v_fma_f32 v6, -v0, v5, v4
	v_fmac_f32_e32 v5, v6, v3
	v_fma_f32 v0, -v0, v5, v4
	v_div_fmas_f32 v0, v0, v3, v5
	v_div_fixup_f32 v0, v0, v9, v8
	global_store_dword v[1:2], v0, off
.LBB70_24:
	s_endpgm
	.section	.rodata,"a",@progbits
	.p2align	6, 0x0
	.amdhsa_kernel _ZL33flash_attn_stream_k_fixup_generalILi112ELi2ELi1EEvPfPK15HIP_vector_typeIfLj2EEiiiiS1_IjLj3EES5_S5_S5_
		.amdhsa_group_segment_fixed_size 0
		.amdhsa_private_segment_fixed_size 0
		.amdhsa_kernarg_size 336
		.amdhsa_user_sgpr_count 6
		.amdhsa_user_sgpr_private_segment_buffer 1
		.amdhsa_user_sgpr_dispatch_ptr 0
		.amdhsa_user_sgpr_queue_ptr 0
		.amdhsa_user_sgpr_kernarg_segment_ptr 1
		.amdhsa_user_sgpr_dispatch_id 0
		.amdhsa_user_sgpr_flat_scratch_init 0
		.amdhsa_user_sgpr_private_segment_size 0
		.amdhsa_wavefront_size32 1
		.amdhsa_uses_dynamic_stack 0
		.amdhsa_system_sgpr_private_segment_wavefront_offset 0
		.amdhsa_system_sgpr_workgroup_id_x 1
		.amdhsa_system_sgpr_workgroup_id_y 1
		.amdhsa_system_sgpr_workgroup_id_z 1
		.amdhsa_system_sgpr_workgroup_info 0
		.amdhsa_system_vgpr_workitem_id 0
		.amdhsa_next_free_vgpr 17
		.amdhsa_next_free_sgpr 31
		.amdhsa_reserve_vcc 1
		.amdhsa_reserve_flat_scratch 0
		.amdhsa_float_round_mode_32 0
		.amdhsa_float_round_mode_16_64 0
		.amdhsa_float_denorm_mode_32 3
		.amdhsa_float_denorm_mode_16_64 3
		.amdhsa_dx10_clamp 1
		.amdhsa_ieee_mode 1
		.amdhsa_fp16_overflow 0
		.amdhsa_workgroup_processor_mode 1
		.amdhsa_memory_ordered 1
		.amdhsa_forward_progress 1
		.amdhsa_shared_vgpr_count 0
		.amdhsa_exception_fp_ieee_invalid_op 0
		.amdhsa_exception_fp_denorm_src 0
		.amdhsa_exception_fp_ieee_div_zero 0
		.amdhsa_exception_fp_ieee_overflow 0
		.amdhsa_exception_fp_ieee_underflow 0
		.amdhsa_exception_fp_ieee_inexact 0
		.amdhsa_exception_int_div_zero 0
	.end_amdhsa_kernel
	.section	.text._ZL33flash_attn_stream_k_fixup_generalILi112ELi2ELi1EEvPfPK15HIP_vector_typeIfLj2EEiiiiS1_IjLj3EES5_S5_S5_,"axG",@progbits,_ZL33flash_attn_stream_k_fixup_generalILi112ELi2ELi1EEvPfPK15HIP_vector_typeIfLj2EEiiiiS1_IjLj3EES5_S5_S5_,comdat
.Lfunc_end70:
	.size	_ZL33flash_attn_stream_k_fixup_generalILi112ELi2ELi1EEvPfPK15HIP_vector_typeIfLj2EEiiiiS1_IjLj3EES5_S5_S5_, .Lfunc_end70-_ZL33flash_attn_stream_k_fixup_generalILi112ELi2ELi1EEvPfPK15HIP_vector_typeIfLj2EEiiiiS1_IjLj3EES5_S5_S5_
                                        ; -- End function
	.set _ZL33flash_attn_stream_k_fixup_generalILi112ELi2ELi1EEvPfPK15HIP_vector_typeIfLj2EEiiiiS1_IjLj3EES5_S5_S5_.num_vgpr, 17
	.set _ZL33flash_attn_stream_k_fixup_generalILi112ELi2ELi1EEvPfPK15HIP_vector_typeIfLj2EEiiiiS1_IjLj3EES5_S5_S5_.num_agpr, 0
	.set _ZL33flash_attn_stream_k_fixup_generalILi112ELi2ELi1EEvPfPK15HIP_vector_typeIfLj2EEiiiiS1_IjLj3EES5_S5_S5_.numbered_sgpr, 31
	.set _ZL33flash_attn_stream_k_fixup_generalILi112ELi2ELi1EEvPfPK15HIP_vector_typeIfLj2EEiiiiS1_IjLj3EES5_S5_S5_.num_named_barrier, 0
	.set _ZL33flash_attn_stream_k_fixup_generalILi112ELi2ELi1EEvPfPK15HIP_vector_typeIfLj2EEiiiiS1_IjLj3EES5_S5_S5_.private_seg_size, 0
	.set _ZL33flash_attn_stream_k_fixup_generalILi112ELi2ELi1EEvPfPK15HIP_vector_typeIfLj2EEiiiiS1_IjLj3EES5_S5_S5_.uses_vcc, 1
	.set _ZL33flash_attn_stream_k_fixup_generalILi112ELi2ELi1EEvPfPK15HIP_vector_typeIfLj2EEiiiiS1_IjLj3EES5_S5_S5_.uses_flat_scratch, 0
	.set _ZL33flash_attn_stream_k_fixup_generalILi112ELi2ELi1EEvPfPK15HIP_vector_typeIfLj2EEiiiiS1_IjLj3EES5_S5_S5_.has_dyn_sized_stack, 0
	.set _ZL33flash_attn_stream_k_fixup_generalILi112ELi2ELi1EEvPfPK15HIP_vector_typeIfLj2EEiiiiS1_IjLj3EES5_S5_S5_.has_recursion, 0
	.set _ZL33flash_attn_stream_k_fixup_generalILi112ELi2ELi1EEvPfPK15HIP_vector_typeIfLj2EEiiiiS1_IjLj3EES5_S5_S5_.has_indirect_call, 0
	.section	.AMDGPU.csdata,"",@progbits
; Kernel info:
; codeLenInByte = 2940
; TotalNumSgprs: 33
; NumVgprs: 17
; ScratchSize: 0
; MemoryBound: 0
; FloatMode: 240
; IeeeMode: 1
; LDSByteSize: 0 bytes/workgroup (compile time only)
; SGPRBlocks: 0
; VGPRBlocks: 2
; NumSGPRsForWavesPerEU: 33
; NumVGPRsForWavesPerEU: 17
; Occupancy: 16
; WaveLimiterHint : 0
; COMPUTE_PGM_RSRC2:SCRATCH_EN: 0
; COMPUTE_PGM_RSRC2:USER_SGPR: 6
; COMPUTE_PGM_RSRC2:TRAP_HANDLER: 0
; COMPUTE_PGM_RSRC2:TGID_X_EN: 1
; COMPUTE_PGM_RSRC2:TGID_Y_EN: 1
; COMPUTE_PGM_RSRC2:TGID_Z_EN: 1
; COMPUTE_PGM_RSRC2:TIDIG_COMP_CNT: 0
	.text
	.p2align	2                               ; -- Begin function __ockl_printf_append_string_n
	.type	__ockl_printf_append_string_n,@function
__ockl_printf_append_string_n:          ; @__ockl_printf_append_string_n
; %bb.0:
	s_waitcnt vmcnt(0) expcnt(0) lgkmcnt(0)
	v_mov_b32_e32 v3, v0
	v_mbcnt_lo_u32_b32 v36, -1, 0
	s_getpc_b64 s[4:5]
	s_add_u32 s4, s4, __FUNCTION__._ZL15flash_attn_tileILi112ELi112ELi8ELi8ELb1EEvPKcS1_S1_S1_S1_PKiPfP15HIP_vector_typeIfLj2EEffffjfiS5_IjLj3EEiiiiiiiiiiiliiliiiiil@rel32@lo+4
	s_addc_u32 s5, s5, __FUNCTION__._ZL15flash_attn_tileILi112ELi112ELi8ELi8ELb1EEvPKcS1_S1_S1_S1_PKiPfP15HIP_vector_typeIfLj2EEffffjfiS5_IjLj3EEiiiiiiiiiiiliiliiiiil@rel32@hi+12
	s_cmp_lg_u64 s[4:5], 0
	s_cbranch_scc0 .LBB71_87
; %bb.1:
	s_load_dwordx2 s[6:7], s[8:9], 0x50
	v_and_b32_e32 v0, -3, v3
	s_getpc_b64 s[4:5]
	s_add_u32 s4, s4, __FUNCTION__._ZL15flash_attn_tileILi112ELi112ELi8ELi8ELb1EEvPKcS1_S1_S1_S1_PKiPfP15HIP_vector_typeIfLj2EEffffjfiS5_IjLj3EEiiiiiiiiiiiliiliiiiil@rel32@lo+4
	s_addc_u32 s5, s5, __FUNCTION__._ZL15flash_attn_tileILi112ELi112ELi8ELi8ELb1EEvPKcS1_S1_S1_S1_PKiPfP15HIP_vector_typeIfLj2EEffffjfiS5_IjLj3EEiiiiiiiiiiiliiliiiiil@rel32@hi+12
	v_mov_b32_e32 v7, v1
	v_mov_b32_e32 v31, s5
	v_and_b32_e32 v2, 2, v3
	v_mov_b32_e32 v11, 0
	v_mov_b32_e32 v30, s4
	;; [unrolled: 1-line block ×5, first 2 shown]
	s_mov_b32 s15, 0
	s_mov_b32 s14, 0
	s_branch .LBB71_3
.LBB71_2:                               ;   in Loop: Header=BB71_3 Depth=1
	s_or_b32 exec_lo, exec_lo, s12
	v_sub_co_u32 v4, vcc_lo, v4, v32
	v_sub_co_ci_u32_e64 v5, null, v5, v33, vcc_lo
	v_add_co_u32 v30, s4, v30, v32
	v_add_co_ci_u32_e64 v31, null, v31, v33, s4
	v_cmp_eq_u64_e32 vcc_lo, 0, v[4:5]
	s_or_b32 s14, vcc_lo, s14
	s_andn2_b32 exec_lo, exec_lo, s14
	s_cbranch_execz .LBB71_85
.LBB71_3:                               ; =>This Loop Header: Depth=1
                                        ;     Child Loop BB71_6 Depth 2
                                        ;     Child Loop BB71_14 Depth 2
                                        ;     Child Loop BB71_22 Depth 2
                                        ;     Child Loop BB71_30 Depth 2
                                        ;     Child Loop BB71_38 Depth 2
                                        ;     Child Loop BB71_46 Depth 2
                                        ;     Child Loop BB71_54 Depth 2
                                        ;     Child Loop BB71_62 Depth 2
                                        ;     Child Loop BB71_70 Depth 2
                                        ;     Child Loop BB71_79 Depth 2
                                        ;     Child Loop BB71_84 Depth 2
	v_cmp_gt_u64_e32 vcc_lo, 56, v[4:5]
	s_mov_b32 s5, exec_lo
	v_cndmask_b32_e32 v33, 0, v5, vcc_lo
	v_cndmask_b32_e32 v32, 56, v4, vcc_lo
	v_add_co_u32 v16, vcc_lo, v30, 8
	v_add_co_ci_u32_e64 v17, null, 0, v31, vcc_lo
	v_cmpx_gt_u64_e32 8, v[4:5]
	s_xor_b32 s5, exec_lo, s5
	s_cbranch_execz .LBB71_9
; %bb.4:                                ;   in Loop: Header=BB71_3 Depth=1
	v_mov_b32_e32 v8, 0
	v_mov_b32_e32 v9, 0
	s_mov_b32 s12, exec_lo
	v_cmpx_ne_u64_e32 0, v[4:5]
	s_cbranch_execz .LBB71_8
; %bb.5:                                ;   in Loop: Header=BB71_3 Depth=1
	v_lshlrev_b64 v[14:15], 3, v[32:33]
	v_mov_b32_e32 v8, 0
	v_mov_b32_e32 v15, v30
	;; [unrolled: 1-line block ×4, first 2 shown]
	s_mov_b64 s[10:11], 0
	s_mov_b32 s13, 0
	.p2align	6
.LBB71_6:                               ;   Parent Loop BB71_3 Depth=1
                                        ; =>  This Inner Loop Header: Depth=2
	global_load_ubyte v0, v[15:16], off
	v_mov_b32_e32 v18, s15
	v_add_co_u32 v15, vcc_lo, v15, 1
	v_add_co_ci_u32_e64 v16, null, 0, v16, vcc_lo
	s_waitcnt vmcnt(0)
	v_and_b32_e32 v17, 0xffff, v0
	v_lshlrev_b64 v[17:18], s10, v[17:18]
	s_add_u32 s10, s10, 8
	s_addc_u32 s11, s11, 0
	v_cmp_eq_u32_e64 s4, s10, v14
	v_or_b32_e32 v9, v18, v9
	v_or_b32_e32 v8, v17, v8
	s_or_b32 s13, s4, s13
	s_andn2_b32 exec_lo, exec_lo, s13
	s_cbranch_execnz .LBB71_6
; %bb.7:                                ;   in Loop: Header=BB71_3 Depth=1
	s_or_b32 exec_lo, exec_lo, s13
.LBB71_8:                               ;   in Loop: Header=BB71_3 Depth=1
	s_or_b32 exec_lo, exec_lo, s12
	v_mov_b32_e32 v16, v30
	v_mov_b32_e32 v17, v31
.LBB71_9:                               ;   in Loop: Header=BB71_3 Depth=1
	s_or_saveexec_b32 s4, s5
	v_mov_b32_e32 v0, 0
	s_xor_b32 exec_lo, exec_lo, s4
	s_cbranch_execz .LBB71_11
; %bb.10:                               ;   in Loop: Header=BB71_3 Depth=1
	global_load_dwordx2 v[8:9], v[30:31], off
	v_add_nc_u32_e32 v0, -8, v32
.LBB71_11:                              ;   in Loop: Header=BB71_3 Depth=1
	s_or_b32 exec_lo, exec_lo, s4
	v_add_co_u32 v18, s4, v16, 8
	v_add_co_ci_u32_e64 v19, null, 0, v17, s4
                                        ; implicit-def: $vgpr14_vgpr15
	s_mov_b32 s4, exec_lo
	v_cmpx_gt_u32_e32 8, v0
	s_xor_b32 s12, exec_lo, s4
	s_cbranch_execz .LBB71_17
; %bb.12:                               ;   in Loop: Header=BB71_3 Depth=1
	v_mov_b32_e32 v14, 0
	v_mov_b32_e32 v15, 0
	s_mov_b32 s13, exec_lo
	v_cmpx_ne_u32_e32 0, v0
	s_cbranch_execz .LBB71_16
; %bb.13:                               ;   in Loop: Header=BB71_3 Depth=1
	v_mov_b32_e32 v14, 0
	v_mov_b32_e32 v15, 0
	s_mov_b64 s[4:5], 0
	s_mov_b32 s16, 0
	s_mov_b64 s[10:11], 0
	.p2align	6
.LBB71_14:                              ;   Parent Loop BB71_3 Depth=1
                                        ; =>  This Inner Loop Header: Depth=2
	v_add_co_u32 v18, vcc_lo, v16, s10
	v_add_co_ci_u32_e64 v19, null, s11, v17, vcc_lo
	s_add_u32 s10, s10, 1
	s_addc_u32 s11, s11, 0
	v_cmp_eq_u32_e32 vcc_lo, s10, v0
	global_load_ubyte v10, v[18:19], off
	v_mov_b32_e32 v19, s15
	s_waitcnt vmcnt(0)
	v_and_b32_e32 v18, 0xffff, v10
	v_lshlrev_b64 v[18:19], s4, v[18:19]
	s_add_u32 s4, s4, 8
	s_addc_u32 s5, s5, 0
	s_or_b32 s16, vcc_lo, s16
	v_or_b32_e32 v15, v19, v15
	v_or_b32_e32 v14, v18, v14
	s_andn2_b32 exec_lo, exec_lo, s16
	s_cbranch_execnz .LBB71_14
; %bb.15:                               ;   in Loop: Header=BB71_3 Depth=1
	s_or_b32 exec_lo, exec_lo, s16
.LBB71_16:                              ;   in Loop: Header=BB71_3 Depth=1
	s_or_b32 exec_lo, exec_lo, s13
	v_mov_b32_e32 v19, v17
	v_mov_b32_e32 v18, v16
                                        ; implicit-def: $vgpr0
.LBB71_17:                              ;   in Loop: Header=BB71_3 Depth=1
	s_or_saveexec_b32 s4, s12
	v_mov_b32_e32 v10, 0
	s_xor_b32 exec_lo, exec_lo, s4
	s_cbranch_execz .LBB71_19
; %bb.18:                               ;   in Loop: Header=BB71_3 Depth=1
	global_load_dwordx2 v[14:15], v[16:17], off
	v_add_nc_u32_e32 v10, -8, v0
.LBB71_19:                              ;   in Loop: Header=BB71_3 Depth=1
	s_or_b32 exec_lo, exec_lo, s4
	v_add_co_u32 v20, s4, v18, 8
	v_add_co_ci_u32_e64 v21, null, 0, v19, s4
	s_mov_b32 s4, exec_lo
	v_cmpx_gt_u32_e32 8, v10
	s_xor_b32 s12, exec_lo, s4
	s_cbranch_execz .LBB71_25
; %bb.20:                               ;   in Loop: Header=BB71_3 Depth=1
	v_mov_b32_e32 v16, 0
	v_mov_b32_e32 v17, 0
	s_mov_b32 s13, exec_lo
	v_cmpx_ne_u32_e32 0, v10
	s_cbranch_execz .LBB71_24
; %bb.21:                               ;   in Loop: Header=BB71_3 Depth=1
	v_mov_b32_e32 v16, 0
	v_mov_b32_e32 v17, 0
	s_mov_b64 s[4:5], 0
	s_mov_b32 s16, 0
	s_mov_b64 s[10:11], 0
	.p2align	6
.LBB71_22:                              ;   Parent Loop BB71_3 Depth=1
                                        ; =>  This Inner Loop Header: Depth=2
	v_add_co_u32 v20, vcc_lo, v18, s10
	v_add_co_ci_u32_e64 v21, null, s11, v19, vcc_lo
	s_add_u32 s10, s10, 1
	s_addc_u32 s11, s11, 0
	v_cmp_eq_u32_e32 vcc_lo, s10, v10
	global_load_ubyte v0, v[20:21], off
	v_mov_b32_e32 v21, s15
	s_waitcnt vmcnt(0)
	v_and_b32_e32 v20, 0xffff, v0
	v_lshlrev_b64 v[20:21], s4, v[20:21]
	s_add_u32 s4, s4, 8
	s_addc_u32 s5, s5, 0
	s_or_b32 s16, vcc_lo, s16
	v_or_b32_e32 v17, v21, v17
	v_or_b32_e32 v16, v20, v16
	s_andn2_b32 exec_lo, exec_lo, s16
	s_cbranch_execnz .LBB71_22
; %bb.23:                               ;   in Loop: Header=BB71_3 Depth=1
	s_or_b32 exec_lo, exec_lo, s16
.LBB71_24:                              ;   in Loop: Header=BB71_3 Depth=1
	s_or_b32 exec_lo, exec_lo, s13
	v_mov_b32_e32 v21, v19
	v_mov_b32_e32 v20, v18
                                        ; implicit-def: $vgpr10
.LBB71_25:                              ;   in Loop: Header=BB71_3 Depth=1
	s_or_saveexec_b32 s4, s12
	v_mov_b32_e32 v0, 0
	s_xor_b32 exec_lo, exec_lo, s4
	s_cbranch_execz .LBB71_27
; %bb.26:                               ;   in Loop: Header=BB71_3 Depth=1
	global_load_dwordx2 v[16:17], v[18:19], off
	v_add_nc_u32_e32 v0, -8, v10
.LBB71_27:                              ;   in Loop: Header=BB71_3 Depth=1
	s_or_b32 exec_lo, exec_lo, s4
	v_add_co_u32 v22, s4, v20, 8
	v_add_co_ci_u32_e64 v23, null, 0, v21, s4
                                        ; implicit-def: $vgpr18_vgpr19
	s_mov_b32 s4, exec_lo
	v_cmpx_gt_u32_e32 8, v0
	s_xor_b32 s12, exec_lo, s4
	s_cbranch_execz .LBB71_33
; %bb.28:                               ;   in Loop: Header=BB71_3 Depth=1
	v_mov_b32_e32 v18, 0
	v_mov_b32_e32 v19, 0
	s_mov_b32 s13, exec_lo
	v_cmpx_ne_u32_e32 0, v0
	s_cbranch_execz .LBB71_32
; %bb.29:                               ;   in Loop: Header=BB71_3 Depth=1
	v_mov_b32_e32 v18, 0
	v_mov_b32_e32 v19, 0
	s_mov_b64 s[4:5], 0
	s_mov_b32 s16, 0
	s_mov_b64 s[10:11], 0
	.p2align	6
.LBB71_30:                              ;   Parent Loop BB71_3 Depth=1
                                        ; =>  This Inner Loop Header: Depth=2
	v_add_co_u32 v22, vcc_lo, v20, s10
	v_add_co_ci_u32_e64 v23, null, s11, v21, vcc_lo
	s_add_u32 s10, s10, 1
	s_addc_u32 s11, s11, 0
	v_cmp_eq_u32_e32 vcc_lo, s10, v0
	global_load_ubyte v10, v[22:23], off
	v_mov_b32_e32 v23, s15
	s_waitcnt vmcnt(0)
	v_and_b32_e32 v22, 0xffff, v10
	v_lshlrev_b64 v[22:23], s4, v[22:23]
	s_add_u32 s4, s4, 8
	s_addc_u32 s5, s5, 0
	s_or_b32 s16, vcc_lo, s16
	v_or_b32_e32 v19, v23, v19
	v_or_b32_e32 v18, v22, v18
	s_andn2_b32 exec_lo, exec_lo, s16
	s_cbranch_execnz .LBB71_30
; %bb.31:                               ;   in Loop: Header=BB71_3 Depth=1
	s_or_b32 exec_lo, exec_lo, s16
.LBB71_32:                              ;   in Loop: Header=BB71_3 Depth=1
	s_or_b32 exec_lo, exec_lo, s13
	v_mov_b32_e32 v23, v21
	v_mov_b32_e32 v22, v20
                                        ; implicit-def: $vgpr0
.LBB71_33:                              ;   in Loop: Header=BB71_3 Depth=1
	s_or_saveexec_b32 s4, s12
	v_mov_b32_e32 v10, 0
	s_xor_b32 exec_lo, exec_lo, s4
	s_cbranch_execz .LBB71_35
; %bb.34:                               ;   in Loop: Header=BB71_3 Depth=1
	global_load_dwordx2 v[18:19], v[20:21], off
	v_add_nc_u32_e32 v10, -8, v0
.LBB71_35:                              ;   in Loop: Header=BB71_3 Depth=1
	s_or_b32 exec_lo, exec_lo, s4
	v_add_co_u32 v24, s4, v22, 8
	v_add_co_ci_u32_e64 v25, null, 0, v23, s4
	s_mov_b32 s4, exec_lo
	v_cmpx_gt_u32_e32 8, v10
	s_xor_b32 s12, exec_lo, s4
	s_cbranch_execz .LBB71_41
; %bb.36:                               ;   in Loop: Header=BB71_3 Depth=1
	v_mov_b32_e32 v20, 0
	v_mov_b32_e32 v21, 0
	s_mov_b32 s13, exec_lo
	v_cmpx_ne_u32_e32 0, v10
	s_cbranch_execz .LBB71_40
; %bb.37:                               ;   in Loop: Header=BB71_3 Depth=1
	v_mov_b32_e32 v20, 0
	v_mov_b32_e32 v21, 0
	s_mov_b64 s[4:5], 0
	s_mov_b32 s16, 0
	s_mov_b64 s[10:11], 0
	.p2align	6
.LBB71_38:                              ;   Parent Loop BB71_3 Depth=1
                                        ; =>  This Inner Loop Header: Depth=2
	v_add_co_u32 v24, vcc_lo, v22, s10
	v_add_co_ci_u32_e64 v25, null, s11, v23, vcc_lo
	s_add_u32 s10, s10, 1
	s_addc_u32 s11, s11, 0
	v_cmp_eq_u32_e32 vcc_lo, s10, v10
	global_load_ubyte v0, v[24:25], off
	v_mov_b32_e32 v25, s15
	s_waitcnt vmcnt(0)
	v_and_b32_e32 v24, 0xffff, v0
	v_lshlrev_b64 v[24:25], s4, v[24:25]
	s_add_u32 s4, s4, 8
	s_addc_u32 s5, s5, 0
	s_or_b32 s16, vcc_lo, s16
	v_or_b32_e32 v21, v25, v21
	v_or_b32_e32 v20, v24, v20
	s_andn2_b32 exec_lo, exec_lo, s16
	s_cbranch_execnz .LBB71_38
; %bb.39:                               ;   in Loop: Header=BB71_3 Depth=1
	s_or_b32 exec_lo, exec_lo, s16
.LBB71_40:                              ;   in Loop: Header=BB71_3 Depth=1
	s_or_b32 exec_lo, exec_lo, s13
	v_mov_b32_e32 v25, v23
	v_mov_b32_e32 v24, v22
                                        ; implicit-def: $vgpr10
.LBB71_41:                              ;   in Loop: Header=BB71_3 Depth=1
	s_or_saveexec_b32 s4, s12
	v_mov_b32_e32 v0, 0
	s_xor_b32 exec_lo, exec_lo, s4
	s_cbranch_execz .LBB71_43
; %bb.42:                               ;   in Loop: Header=BB71_3 Depth=1
	global_load_dwordx2 v[20:21], v[22:23], off
	v_add_nc_u32_e32 v0, -8, v10
.LBB71_43:                              ;   in Loop: Header=BB71_3 Depth=1
	s_or_b32 exec_lo, exec_lo, s4
	v_add_co_u32 v26, s4, v24, 8
	v_add_co_ci_u32_e64 v27, null, 0, v25, s4
                                        ; implicit-def: $vgpr22_vgpr23
	s_mov_b32 s4, exec_lo
	v_cmpx_gt_u32_e32 8, v0
	s_xor_b32 s12, exec_lo, s4
	s_cbranch_execz .LBB71_49
; %bb.44:                               ;   in Loop: Header=BB71_3 Depth=1
	v_mov_b32_e32 v22, 0
	v_mov_b32_e32 v23, 0
	s_mov_b32 s13, exec_lo
	v_cmpx_ne_u32_e32 0, v0
	s_cbranch_execz .LBB71_48
; %bb.45:                               ;   in Loop: Header=BB71_3 Depth=1
	v_mov_b32_e32 v22, 0
	v_mov_b32_e32 v23, 0
	s_mov_b64 s[4:5], 0
	s_mov_b32 s16, 0
	s_mov_b64 s[10:11], 0
	.p2align	6
.LBB71_46:                              ;   Parent Loop BB71_3 Depth=1
                                        ; =>  This Inner Loop Header: Depth=2
	v_add_co_u32 v26, vcc_lo, v24, s10
	v_add_co_ci_u32_e64 v27, null, s11, v25, vcc_lo
	s_add_u32 s10, s10, 1
	s_addc_u32 s11, s11, 0
	v_cmp_eq_u32_e32 vcc_lo, s10, v0
	global_load_ubyte v10, v[26:27], off
	v_mov_b32_e32 v27, s15
	s_waitcnt vmcnt(0)
	v_and_b32_e32 v26, 0xffff, v10
	v_lshlrev_b64 v[26:27], s4, v[26:27]
	s_add_u32 s4, s4, 8
	s_addc_u32 s5, s5, 0
	s_or_b32 s16, vcc_lo, s16
	v_or_b32_e32 v23, v27, v23
	v_or_b32_e32 v22, v26, v22
	s_andn2_b32 exec_lo, exec_lo, s16
	s_cbranch_execnz .LBB71_46
; %bb.47:                               ;   in Loop: Header=BB71_3 Depth=1
	s_or_b32 exec_lo, exec_lo, s16
.LBB71_48:                              ;   in Loop: Header=BB71_3 Depth=1
	s_or_b32 exec_lo, exec_lo, s13
	v_mov_b32_e32 v27, v25
	v_mov_b32_e32 v26, v24
                                        ; implicit-def: $vgpr0
.LBB71_49:                              ;   in Loop: Header=BB71_3 Depth=1
	s_or_saveexec_b32 s4, s12
	v_mov_b32_e32 v10, 0
	s_xor_b32 exec_lo, exec_lo, s4
	s_cbranch_execz .LBB71_51
; %bb.50:                               ;   in Loop: Header=BB71_3 Depth=1
	global_load_dwordx2 v[22:23], v[24:25], off
	v_add_nc_u32_e32 v10, -8, v0
.LBB71_51:                              ;   in Loop: Header=BB71_3 Depth=1
	s_or_b32 exec_lo, exec_lo, s4
	s_mov_b32 s4, exec_lo
	v_cmpx_gt_u32_e32 8, v10
	s_xor_b32 s10, exec_lo, s4
	s_cbranch_execz .LBB71_57
; %bb.52:                               ;   in Loop: Header=BB71_3 Depth=1
	v_mov_b32_e32 v24, 0
	v_mov_b32_e32 v25, 0
	s_mov_b32 s11, exec_lo
	v_cmpx_ne_u32_e32 0, v10
	s_cbranch_execz .LBB71_56
; %bb.53:                               ;   in Loop: Header=BB71_3 Depth=1
	v_mov_b32_e32 v24, 0
	v_mov_b32_e32 v25, 0
	s_mov_b64 s[4:5], 0
	s_mov_b32 s12, 0
	.p2align	6
.LBB71_54:                              ;   Parent Loop BB71_3 Depth=1
                                        ; =>  This Inner Loop Header: Depth=2
	global_load_ubyte v0, v[26:27], off
	v_mov_b32_e32 v29, s15
	v_add_nc_u32_e32 v10, -1, v10
	v_add_co_u32 v26, vcc_lo, v26, 1
	v_add_co_ci_u32_e64 v27, null, 0, v27, vcc_lo
	v_cmp_eq_u32_e32 vcc_lo, 0, v10
	s_waitcnt vmcnt(0)
	v_and_b32_e32 v28, 0xffff, v0
	v_lshlrev_b64 v[28:29], s4, v[28:29]
	s_add_u32 s4, s4, 8
	s_addc_u32 s5, s5, 0
	s_or_b32 s12, vcc_lo, s12
	v_or_b32_e32 v25, v29, v25
	v_or_b32_e32 v24, v28, v24
	s_andn2_b32 exec_lo, exec_lo, s12
	s_cbranch_execnz .LBB71_54
; %bb.55:                               ;   in Loop: Header=BB71_3 Depth=1
	s_or_b32 exec_lo, exec_lo, s12
.LBB71_56:                              ;   in Loop: Header=BB71_3 Depth=1
	s_or_b32 exec_lo, exec_lo, s11
                                        ; implicit-def: $vgpr26_vgpr27
.LBB71_57:                              ;   in Loop: Header=BB71_3 Depth=1
	s_andn2_saveexec_b32 s4, s10
	s_cbranch_execz .LBB71_59
; %bb.58:                               ;   in Loop: Header=BB71_3 Depth=1
	global_load_dwordx2 v[24:25], v[26:27], off
.LBB71_59:                              ;   in Loop: Header=BB71_3 Depth=1
	s_or_b32 exec_lo, exec_lo, s4
	v_readfirstlane_b32 s4, v36
	v_mov_b32_e32 v34, 0
	v_mov_b32_e32 v35, 0
	v_cmp_eq_u32_e64 s4, s4, v36
	s_and_saveexec_b32 s5, s4
	s_cbranch_execz .LBB71_65
; %bb.60:                               ;   in Loop: Header=BB71_3 Depth=1
	s_waitcnt lgkmcnt(0)
	global_load_dwordx2 v[28:29], v11, s[6:7] offset:24 glc dlc
	s_waitcnt vmcnt(0)
	buffer_gl1_inv
	buffer_gl0_inv
	s_clause 0x1
	global_load_dwordx2 v[26:27], v11, s[6:7] offset:40
	global_load_dwordx2 v[34:35], v11, s[6:7]
	s_mov_b32 s10, exec_lo
	s_waitcnt vmcnt(1)
	v_and_b32_e32 v0, v27, v29
	v_and_b32_e32 v10, v26, v28
	v_mul_lo_u32 v0, v0, 24
	v_mul_hi_u32 v26, v10, 24
	v_mul_lo_u32 v10, v10, 24
	v_add_nc_u32_e32 v0, v26, v0
	s_waitcnt vmcnt(0)
	v_add_co_u32 v26, vcc_lo, v34, v10
	v_add_co_ci_u32_e64 v27, null, v35, v0, vcc_lo
	global_load_dwordx2 v[26:27], v[26:27], off glc dlc
	s_waitcnt vmcnt(0)
	global_atomic_cmpswap_x2 v[34:35], v11, v[26:29], s[6:7] offset:24 glc
	s_waitcnt vmcnt(0)
	buffer_gl1_inv
	buffer_gl0_inv
	v_cmpx_ne_u64_e64 v[34:35], v[28:29]
	s_cbranch_execz .LBB71_64
; %bb.61:                               ;   in Loop: Header=BB71_3 Depth=1
	s_mov_b32 s11, 0
	.p2align	6
.LBB71_62:                              ;   Parent Loop BB71_3 Depth=1
                                        ; =>  This Inner Loop Header: Depth=2
	s_sleep 1
	s_clause 0x1
	global_load_dwordx2 v[26:27], v11, s[6:7] offset:40
	global_load_dwordx2 v[37:38], v11, s[6:7]
	v_mov_b32_e32 v28, v34
	v_mov_b32_e32 v29, v35
	s_waitcnt vmcnt(1)
	v_and_b32_e32 v0, v26, v28
	v_and_b32_e32 v10, v27, v29
	s_waitcnt vmcnt(0)
	v_mad_u64_u32 v[34:35], null, v0, 24, v[37:38]
	v_mov_b32_e32 v0, v35
	v_mad_u64_u32 v[26:27], null, v10, 24, v[0:1]
	v_mov_b32_e32 v35, v26
	global_load_dwordx2 v[26:27], v[34:35], off glc dlc
	s_waitcnt vmcnt(0)
	global_atomic_cmpswap_x2 v[34:35], v11, v[26:29], s[6:7] offset:24 glc
	s_waitcnt vmcnt(0)
	buffer_gl1_inv
	buffer_gl0_inv
	v_cmp_eq_u64_e32 vcc_lo, v[34:35], v[28:29]
	s_or_b32 s11, vcc_lo, s11
	s_andn2_b32 exec_lo, exec_lo, s11
	s_cbranch_execnz .LBB71_62
; %bb.63:                               ;   in Loop: Header=BB71_3 Depth=1
	s_or_b32 exec_lo, exec_lo, s11
.LBB71_64:                              ;   in Loop: Header=BB71_3 Depth=1
	s_or_b32 exec_lo, exec_lo, s10
.LBB71_65:                              ;   in Loop: Header=BB71_3 Depth=1
	s_or_b32 exec_lo, exec_lo, s5
	s_waitcnt lgkmcnt(0)
	s_clause 0x1
	global_load_dwordx2 v[37:38], v11, s[6:7] offset:40
	global_load_dwordx4 v[26:29], v11, s[6:7]
	v_readfirstlane_b32 s11, v35
	v_readfirstlane_b32 s10, v34
	s_mov_b32 s5, exec_lo
	s_waitcnt vmcnt(1)
	v_readfirstlane_b32 s12, v37
	v_readfirstlane_b32 s13, v38
	s_and_b64 s[12:13], s[12:13], s[10:11]
	s_mul_i32 s16, s13, 24
	s_mul_hi_u32 s17, s12, 24
	s_mul_i32 s18, s12, 24
	s_add_i32 s17, s17, s16
	s_waitcnt vmcnt(0)
	v_add_co_u32 v34, vcc_lo, v26, s18
	v_add_co_ci_u32_e64 v35, null, s17, v27, vcc_lo
	s_and_saveexec_b32 s16, s4
	s_cbranch_execz .LBB71_67
; %bb.66:                               ;   in Loop: Header=BB71_3 Depth=1
	v_mov_b32_e32 v10, s5
	global_store_dwordx4 v[34:35], v[10:13], off offset:8
.LBB71_67:                              ;   in Loop: Header=BB71_3 Depth=1
	s_or_b32 exec_lo, exec_lo, s16
	v_cmp_gt_u64_e32 vcc_lo, 57, v[4:5]
	s_lshl_b64 s[12:13], s[12:13], 12
	v_and_b32_e32 v6, 0xffffff1f, v6
	v_lshl_add_u32 v37, v32, 2, 28
	v_cndmask_b32_e32 v10, 0, v2, vcc_lo
	v_add_co_u32 v0, vcc_lo, v28, s12
	v_add_co_ci_u32_e64 v28, null, s13, v29, vcc_lo
	v_or_b32_e32 v6, v6, v10
	v_lshlrev_b32_e32 v29, 6, v36
	v_readfirstlane_b32 s12, v0
	v_readfirstlane_b32 s13, v28
	v_and_or_b32 v6, 0x1e0, v37, v6
	global_store_dwordx4 v29, v[14:17], s[12:13] offset:16
	global_store_dwordx4 v29, v[6:9], s[12:13]
	global_store_dwordx4 v29, v[18:21], s[12:13] offset:32
	global_store_dwordx4 v29, v[22:25], s[12:13] offset:48
	s_and_saveexec_b32 s5, s4
	s_cbranch_execz .LBB71_75
; %bb.68:                               ;   in Loop: Header=BB71_3 Depth=1
	s_clause 0x1
	global_load_dwordx2 v[18:19], v11, s[6:7] offset:32 glc dlc
	global_load_dwordx2 v[6:7], v11, s[6:7] offset:40
	v_mov_b32_e32 v16, s10
	v_mov_b32_e32 v17, s11
	s_waitcnt vmcnt(0)
	v_readfirstlane_b32 s12, v6
	v_readfirstlane_b32 s13, v7
	s_and_b64 s[12:13], s[12:13], s[10:11]
	s_mul_i32 s13, s13, 24
	s_mul_hi_u32 s16, s12, 24
	s_mul_i32 s12, s12, 24
	s_add_i32 s16, s16, s13
	v_add_co_u32 v14, vcc_lo, v26, s12
	v_add_co_ci_u32_e64 v15, null, s16, v27, vcc_lo
	s_mov_b32 s12, exec_lo
	global_store_dwordx2 v[14:15], v[18:19], off
	s_waitcnt_vscnt null, 0x0
	global_atomic_cmpswap_x2 v[8:9], v11, v[16:19], s[6:7] offset:32 glc
	s_waitcnt vmcnt(0)
	v_cmpx_ne_u64_e64 v[8:9], v[18:19]
	s_cbranch_execz .LBB71_71
; %bb.69:                               ;   in Loop: Header=BB71_3 Depth=1
	s_mov_b32 s13, 0
.LBB71_70:                              ;   Parent Loop BB71_3 Depth=1
                                        ; =>  This Inner Loop Header: Depth=2
	v_mov_b32_e32 v6, s10
	v_mov_b32_e32 v7, s11
	s_sleep 1
	global_store_dwordx2 v[14:15], v[8:9], off
	s_waitcnt_vscnt null, 0x0
	global_atomic_cmpswap_x2 v[6:7], v11, v[6:9], s[6:7] offset:32 glc
	s_waitcnt vmcnt(0)
	v_cmp_eq_u64_e32 vcc_lo, v[6:7], v[8:9]
	v_mov_b32_e32 v9, v7
	v_mov_b32_e32 v8, v6
	s_or_b32 s13, vcc_lo, s13
	s_andn2_b32 exec_lo, exec_lo, s13
	s_cbranch_execnz .LBB71_70
.LBB71_71:                              ;   in Loop: Header=BB71_3 Depth=1
	s_or_b32 exec_lo, exec_lo, s12
	global_load_dwordx2 v[6:7], v11, s[6:7] offset:16
	s_mov_b32 s13, exec_lo
	s_mov_b32 s12, exec_lo
	v_mbcnt_lo_u32_b32 v8, s13, 0
	v_cmpx_eq_u32_e32 0, v8
	s_cbranch_execz .LBB71_73
; %bb.72:                               ;   in Loop: Header=BB71_3 Depth=1
	s_bcnt1_i32_b32 s13, s13
	v_mov_b32_e32 v10, s13
	s_waitcnt vmcnt(0)
	global_atomic_add_x2 v[6:7], v[10:11], off offset:8
.LBB71_73:                              ;   in Loop: Header=BB71_3 Depth=1
	s_or_b32 exec_lo, exec_lo, s12
	s_waitcnt vmcnt(0)
	global_load_dwordx2 v[8:9], v[6:7], off offset:16
	s_waitcnt vmcnt(0)
	v_cmp_eq_u64_e32 vcc_lo, 0, v[8:9]
	s_cbranch_vccnz .LBB71_75
; %bb.74:                               ;   in Loop: Header=BB71_3 Depth=1
	global_load_dword v10, v[6:7], off offset:24
	s_waitcnt vmcnt(0)
	v_readfirstlane_b32 s12, v10
	s_waitcnt_vscnt null, 0x0
	global_store_dwordx2 v[8:9], v[10:11], off
	s_and_b32 m0, s12, 0x7fffff
	s_sendmsg sendmsg(MSG_INTERRUPT)
.LBB71_75:                              ;   in Loop: Header=BB71_3 Depth=1
	s_or_b32 exec_lo, exec_lo, s5
	v_add_co_u32 v6, vcc_lo, v0, v29
	v_add_co_ci_u32_e64 v7, null, 0, v28, vcc_lo
	s_branch .LBB71_79
	.p2align	6
.LBB71_76:                              ;   in Loop: Header=BB71_79 Depth=2
	s_or_b32 exec_lo, exec_lo, s5
	v_readfirstlane_b32 s5, v0
	s_cmp_eq_u32 s5, 0
	s_cbranch_scc1 .LBB71_78
; %bb.77:                               ;   in Loop: Header=BB71_79 Depth=2
	s_sleep 1
	s_cbranch_execnz .LBB71_79
	s_branch .LBB71_81
	.p2align	6
.LBB71_78:                              ;   in Loop: Header=BB71_3 Depth=1
	s_branch .LBB71_81
.LBB71_79:                              ;   Parent Loop BB71_3 Depth=1
                                        ; =>  This Inner Loop Header: Depth=2
	v_mov_b32_e32 v0, 1
	s_and_saveexec_b32 s5, s4
	s_cbranch_execz .LBB71_76
; %bb.80:                               ;   in Loop: Header=BB71_79 Depth=2
	global_load_dword v0, v[34:35], off offset:20 glc dlc
	s_waitcnt vmcnt(0)
	buffer_gl1_inv
	buffer_gl0_inv
	v_and_b32_e32 v0, 1, v0
	s_branch .LBB71_76
.LBB71_81:                              ;   in Loop: Header=BB71_3 Depth=1
	global_load_dwordx2 v[6:7], v[6:7], off
	s_and_saveexec_b32 s12, s4
	s_cbranch_execz .LBB71_2
; %bb.82:                               ;   in Loop: Header=BB71_3 Depth=1
	s_clause 0x2
	global_load_dwordx2 v[8:9], v11, s[6:7] offset:40
	global_load_dwordx2 v[18:19], v11, s[6:7] offset:24 glc dlc
	global_load_dwordx2 v[14:15], v11, s[6:7]
	s_waitcnt vmcnt(2)
	v_readfirstlane_b32 s16, v8
	v_readfirstlane_b32 s17, v9
	s_add_u32 s13, s16, 1
	s_addc_u32 s18, s17, 0
	s_add_u32 s4, s13, s10
	s_addc_u32 s5, s18, s11
	s_cmp_eq_u64 s[4:5], 0
	s_cselect_b32 s5, s18, s5
	s_cselect_b32 s4, s13, s4
	v_mov_b32_e32 v17, s5
	s_and_b64 s[10:11], s[4:5], s[16:17]
	v_mov_b32_e32 v16, s4
	s_mul_i32 s11, s11, 24
	s_mul_hi_u32 s13, s10, 24
	s_mul_i32 s10, s10, 24
	s_add_i32 s13, s13, s11
	s_waitcnt vmcnt(0)
	v_add_co_u32 v8, vcc_lo, v14, s10
	v_add_co_ci_u32_e64 v9, null, s13, v15, vcc_lo
	global_store_dwordx2 v[8:9], v[18:19], off
	s_waitcnt_vscnt null, 0x0
	global_atomic_cmpswap_x2 v[16:17], v11, v[16:19], s[6:7] offset:24 glc
	s_waitcnt vmcnt(0)
	v_cmp_ne_u64_e32 vcc_lo, v[16:17], v[18:19]
	s_and_b32 exec_lo, exec_lo, vcc_lo
	s_cbranch_execz .LBB71_2
; %bb.83:                               ;   in Loop: Header=BB71_3 Depth=1
	s_mov_b32 s10, 0
.LBB71_84:                              ;   Parent Loop BB71_3 Depth=1
                                        ; =>  This Inner Loop Header: Depth=2
	v_mov_b32_e32 v14, s4
	v_mov_b32_e32 v15, s5
	s_sleep 1
	global_store_dwordx2 v[8:9], v[16:17], off
	s_waitcnt_vscnt null, 0x0
	global_atomic_cmpswap_x2 v[14:15], v11, v[14:17], s[6:7] offset:24 glc
	s_waitcnt vmcnt(0)
	v_cmp_eq_u64_e32 vcc_lo, v[14:15], v[16:17]
	v_mov_b32_e32 v17, v15
	v_mov_b32_e32 v16, v14
	s_or_b32 s10, vcc_lo, s10
	s_andn2_b32 exec_lo, exec_lo, s10
	s_cbranch_execnz .LBB71_84
	s_branch .LBB71_2
.LBB71_85:
	s_or_b32 exec_lo, exec_lo, s14
.LBB71_86:
	s_waitcnt vmcnt(0)
	v_mov_b32_e32 v0, v6
	v_mov_b32_e32 v1, v7
	s_waitcnt lgkmcnt(0)
	s_setpc_b64 s[30:31]
.LBB71_87:
                                        ; implicit-def: $vgpr6_vgpr7
	s_cbranch_execz .LBB71_86
; %bb.88:
	s_load_dwordx2 s[6:7], s[8:9], 0x50
	v_readfirstlane_b32 s4, v36
	v_mov_b32_e32 v8, 0
	v_mov_b32_e32 v9, 0
	v_cmp_eq_u32_e64 s4, s4, v36
	s_and_saveexec_b32 s5, s4
	s_cbranch_execz .LBB71_94
; %bb.89:
	v_mov_b32_e32 v0, 0
	s_mov_b32 s8, exec_lo
	s_waitcnt lgkmcnt(0)
	global_load_dwordx2 v[6:7], v0, s[6:7] offset:24 glc dlc
	s_waitcnt vmcnt(0)
	buffer_gl1_inv
	buffer_gl0_inv
	s_clause 0x1
	global_load_dwordx2 v[4:5], v0, s[6:7] offset:40
	global_load_dwordx2 v[8:9], v0, s[6:7]
	s_waitcnt vmcnt(1)
	v_and_b32_e32 v2, v5, v7
	v_and_b32_e32 v4, v4, v6
	v_mul_lo_u32 v2, v2, 24
	v_mul_hi_u32 v5, v4, 24
	v_mul_lo_u32 v4, v4, 24
	v_add_nc_u32_e32 v2, v5, v2
	s_waitcnt vmcnt(0)
	v_add_co_u32 v4, vcc_lo, v8, v4
	v_add_co_ci_u32_e64 v5, null, v9, v2, vcc_lo
	global_load_dwordx2 v[4:5], v[4:5], off glc dlc
	s_waitcnt vmcnt(0)
	global_atomic_cmpswap_x2 v[8:9], v0, v[4:7], s[6:7] offset:24 glc
	s_waitcnt vmcnt(0)
	buffer_gl1_inv
	buffer_gl0_inv
	v_cmpx_ne_u64_e64 v[8:9], v[6:7]
	s_cbranch_execz .LBB71_93
; %bb.90:
	s_mov_b32 s9, 0
	.p2align	6
.LBB71_91:                              ; =>This Inner Loop Header: Depth=1
	s_sleep 1
	s_clause 0x1
	global_load_dwordx2 v[4:5], v0, s[6:7] offset:40
	global_load_dwordx2 v[10:11], v0, s[6:7]
	v_mov_b32_e32 v6, v8
	v_mov_b32_e32 v7, v9
	s_waitcnt vmcnt(1)
	v_and_b32_e32 v2, v4, v6
	v_and_b32_e32 v4, v5, v7
	s_waitcnt vmcnt(0)
	v_mad_u64_u32 v[8:9], null, v2, 24, v[10:11]
	v_mov_b32_e32 v2, v9
	v_mad_u64_u32 v[4:5], null, v4, 24, v[2:3]
	v_mov_b32_e32 v9, v4
	global_load_dwordx2 v[4:5], v[8:9], off glc dlc
	s_waitcnt vmcnt(0)
	global_atomic_cmpswap_x2 v[8:9], v0, v[4:7], s[6:7] offset:24 glc
	s_waitcnt vmcnt(0)
	buffer_gl1_inv
	buffer_gl0_inv
	v_cmp_eq_u64_e32 vcc_lo, v[8:9], v[6:7]
	s_or_b32 s9, vcc_lo, s9
	s_andn2_b32 exec_lo, exec_lo, s9
	s_cbranch_execnz .LBB71_91
; %bb.92:
	s_or_b32 exec_lo, exec_lo, s9
.LBB71_93:
	s_or_b32 exec_lo, exec_lo, s8
.LBB71_94:
	s_or_b32 exec_lo, exec_lo, s5
	v_mov_b32_e32 v2, 0
	v_readfirstlane_b32 s9, v9
	v_readfirstlane_b32 s8, v8
	s_mov_b32 s5, exec_lo
	s_waitcnt lgkmcnt(0)
	s_clause 0x1
	global_load_dwordx2 v[10:11], v2, s[6:7] offset:40
	global_load_dwordx4 v[4:7], v2, s[6:7]
	s_waitcnt vmcnt(1)
	v_readfirstlane_b32 s10, v10
	v_readfirstlane_b32 s11, v11
	s_and_b64 s[10:11], s[10:11], s[8:9]
	s_mul_i32 s12, s11, 24
	s_mul_hi_u32 s13, s10, 24
	s_mul_i32 s14, s10, 24
	s_add_i32 s13, s13, s12
	s_waitcnt vmcnt(0)
	v_add_co_u32 v8, vcc_lo, v4, s14
	v_add_co_ci_u32_e64 v9, null, s13, v5, vcc_lo
	s_and_saveexec_b32 s12, s4
	s_cbranch_execz .LBB71_96
; %bb.95:
	v_mov_b32_e32 v10, s5
	v_mov_b32_e32 v11, v2
	;; [unrolled: 1-line block ×4, first 2 shown]
	global_store_dwordx4 v[8:9], v[10:13], off offset:8
.LBB71_96:
	s_or_b32 exec_lo, exec_lo, s12
	s_lshl_b64 s[10:11], s[10:11], 12
	v_lshlrev_b32_e32 v14, 6, v36
	v_add_co_u32 v6, vcc_lo, v6, s10
	v_add_co_ci_u32_e64 v7, null, s11, v7, vcc_lo
	s_mov_b32 s12, 0
	v_readfirstlane_b32 s10, v6
	v_add_co_u32 v6, vcc_lo, v6, v14
	s_mov_b32 s13, s12
	s_mov_b32 s14, s12
	;; [unrolled: 1-line block ×3, first 2 shown]
	v_and_or_b32 v0, 0xffffff1f, v3, 32
	v_mov_b32_e32 v3, v2
	v_readfirstlane_b32 s11, v7
	v_mov_b32_e32 v10, s12
	v_add_co_ci_u32_e64 v7, null, 0, v7, vcc_lo
	v_mov_b32_e32 v11, s13
	v_mov_b32_e32 v12, s14
	;; [unrolled: 1-line block ×3, first 2 shown]
	global_store_dwordx4 v14, v[0:3], s[10:11]
	global_store_dwordx4 v14, v[10:13], s[10:11] offset:16
	global_store_dwordx4 v14, v[10:13], s[10:11] offset:32
	;; [unrolled: 1-line block ×3, first 2 shown]
	s_and_saveexec_b32 s5, s4
	s_cbranch_execz .LBB71_104
; %bb.97:
	v_mov_b32_e32 v10, 0
	v_mov_b32_e32 v11, s8
	;; [unrolled: 1-line block ×3, first 2 shown]
	s_mov_b32 s10, exec_lo
	s_clause 0x1
	global_load_dwordx2 v[13:14], v10, s[6:7] offset:32 glc dlc
	global_load_dwordx2 v[0:1], v10, s[6:7] offset:40
	s_waitcnt vmcnt(0)
	v_and_b32_e32 v1, s9, v1
	v_and_b32_e32 v0, s8, v0
	v_mul_lo_u32 v1, v1, 24
	v_mul_hi_u32 v2, v0, 24
	v_mul_lo_u32 v0, v0, 24
	v_add_nc_u32_e32 v1, v2, v1
	v_add_co_u32 v4, vcc_lo, v4, v0
	v_add_co_ci_u32_e64 v5, null, v5, v1, vcc_lo
	global_store_dwordx2 v[4:5], v[13:14], off
	s_waitcnt_vscnt null, 0x0
	global_atomic_cmpswap_x2 v[2:3], v10, v[11:14], s[6:7] offset:32 glc
	s_waitcnt vmcnt(0)
	v_cmpx_ne_u64_e64 v[2:3], v[13:14]
	s_cbranch_execz .LBB71_100
; %bb.98:
	s_mov_b32 s11, 0
.LBB71_99:                              ; =>This Inner Loop Header: Depth=1
	v_mov_b32_e32 v0, s8
	v_mov_b32_e32 v1, s9
	s_sleep 1
	global_store_dwordx2 v[4:5], v[2:3], off
	s_waitcnt_vscnt null, 0x0
	global_atomic_cmpswap_x2 v[0:1], v10, v[0:3], s[6:7] offset:32 glc
	s_waitcnt vmcnt(0)
	v_cmp_eq_u64_e32 vcc_lo, v[0:1], v[2:3]
	v_mov_b32_e32 v3, v1
	v_mov_b32_e32 v2, v0
	s_or_b32 s11, vcc_lo, s11
	s_andn2_b32 exec_lo, exec_lo, s11
	s_cbranch_execnz .LBB71_99
.LBB71_100:
	s_or_b32 exec_lo, exec_lo, s10
	v_mov_b32_e32 v3, 0
	s_mov_b32 s11, exec_lo
	s_mov_b32 s10, exec_lo
	v_mbcnt_lo_u32_b32 v2, s11, 0
	global_load_dwordx2 v[0:1], v3, s[6:7] offset:16
	v_cmpx_eq_u32_e32 0, v2
	s_cbranch_execz .LBB71_102
; %bb.101:
	s_bcnt1_i32_b32 s11, s11
	v_mov_b32_e32 v2, s11
	s_waitcnt vmcnt(0)
	global_atomic_add_x2 v[0:1], v[2:3], off offset:8
.LBB71_102:
	s_or_b32 exec_lo, exec_lo, s10
	s_waitcnt vmcnt(0)
	global_load_dwordx2 v[2:3], v[0:1], off offset:16
	s_waitcnt vmcnt(0)
	v_cmp_eq_u64_e32 vcc_lo, 0, v[2:3]
	s_cbranch_vccnz .LBB71_104
; %bb.103:
	global_load_dword v0, v[0:1], off offset:24
	v_mov_b32_e32 v1, 0
	s_waitcnt vmcnt(0)
	v_readfirstlane_b32 s10, v0
	s_waitcnt_vscnt null, 0x0
	global_store_dwordx2 v[2:3], v[0:1], off
	s_and_b32 m0, s10, 0x7fffff
	s_sendmsg sendmsg(MSG_INTERRUPT)
.LBB71_104:
	s_or_b32 exec_lo, exec_lo, s5
	s_branch .LBB71_108
	.p2align	6
.LBB71_105:                             ;   in Loop: Header=BB71_108 Depth=1
	s_or_b32 exec_lo, exec_lo, s5
	v_readfirstlane_b32 s5, v0
	s_cmp_eq_u32 s5, 0
	s_cbranch_scc1 .LBB71_107
; %bb.106:                              ;   in Loop: Header=BB71_108 Depth=1
	s_sleep 1
	s_cbranch_execnz .LBB71_108
	s_branch .LBB71_110
	.p2align	6
.LBB71_107:
	s_branch .LBB71_110
.LBB71_108:                             ; =>This Inner Loop Header: Depth=1
	v_mov_b32_e32 v0, 1
	s_and_saveexec_b32 s5, s4
	s_cbranch_execz .LBB71_105
; %bb.109:                              ;   in Loop: Header=BB71_108 Depth=1
	global_load_dword v0, v[8:9], off offset:20 glc dlc
	s_waitcnt vmcnt(0)
	buffer_gl1_inv
	buffer_gl0_inv
	v_and_b32_e32 v0, 1, v0
	s_branch .LBB71_105
.LBB71_110:
	global_load_dwordx2 v[6:7], v[6:7], off
	s_and_saveexec_b32 s10, s4
	s_cbranch_execz .LBB71_114
; %bb.111:
	v_mov_b32_e32 v8, 0
	s_clause 0x2
	global_load_dwordx2 v[0:1], v8, s[6:7] offset:40
	global_load_dwordx2 v[11:12], v8, s[6:7] offset:24 glc dlc
	global_load_dwordx2 v[2:3], v8, s[6:7]
	s_waitcnt vmcnt(2)
	v_readfirstlane_b32 s12, v0
	v_readfirstlane_b32 s13, v1
	s_add_u32 s11, s12, 1
	s_addc_u32 s14, s13, 0
	s_add_u32 s4, s11, s8
	s_addc_u32 s5, s14, s9
	s_cmp_eq_u64 s[4:5], 0
	s_cselect_b32 s5, s14, s5
	s_cselect_b32 s4, s11, s4
	v_mov_b32_e32 v10, s5
	s_and_b64 s[8:9], s[4:5], s[12:13]
	v_mov_b32_e32 v9, s4
	s_mul_i32 s9, s9, 24
	s_mul_hi_u32 s11, s8, 24
	s_mul_i32 s8, s8, 24
	s_add_i32 s11, s11, s9
	s_waitcnt vmcnt(0)
	v_add_co_u32 v4, vcc_lo, v2, s8
	v_add_co_ci_u32_e64 v5, null, s11, v3, vcc_lo
	global_store_dwordx2 v[4:5], v[11:12], off
	s_waitcnt_vscnt null, 0x0
	global_atomic_cmpswap_x2 v[2:3], v8, v[9:12], s[6:7] offset:24 glc
	s_waitcnt vmcnt(0)
	v_cmp_ne_u64_e32 vcc_lo, v[2:3], v[11:12]
	s_and_b32 exec_lo, exec_lo, vcc_lo
	s_cbranch_execz .LBB71_114
; %bb.112:
	s_mov_b32 s8, 0
.LBB71_113:                             ; =>This Inner Loop Header: Depth=1
	v_mov_b32_e32 v0, s4
	v_mov_b32_e32 v1, s5
	s_sleep 1
	global_store_dwordx2 v[4:5], v[2:3], off
	s_waitcnt_vscnt null, 0x0
	global_atomic_cmpswap_x2 v[0:1], v8, v[0:3], s[6:7] offset:24 glc
	s_waitcnt vmcnt(0)
	v_cmp_eq_u64_e32 vcc_lo, v[0:1], v[2:3]
	v_mov_b32_e32 v3, v1
	v_mov_b32_e32 v2, v0
	s_or_b32 s8, vcc_lo, s8
	s_andn2_b32 exec_lo, exec_lo, s8
	s_cbranch_execnz .LBB71_113
.LBB71_114:
	s_or_b32 exec_lo, exec_lo, s10
	s_waitcnt vmcnt(0)
	v_mov_b32_e32 v0, v6
	v_mov_b32_e32 v1, v7
	s_waitcnt lgkmcnt(0)
	s_setpc_b64 s[30:31]
.Lfunc_end71:
	.size	__ockl_printf_append_string_n, .Lfunc_end71-__ockl_printf_append_string_n
                                        ; -- End function
	.set .L__ockl_printf_append_string_n.num_vgpr, 39
	.set .L__ockl_printf_append_string_n.num_agpr, 0
	.set .L__ockl_printf_append_string_n.numbered_sgpr, 32
	.set .L__ockl_printf_append_string_n.num_named_barrier, 0
	.set .L__ockl_printf_append_string_n.private_seg_size, 0
	.set .L__ockl_printf_append_string_n.uses_vcc, 1
	.set .L__ockl_printf_append_string_n.uses_flat_scratch, 0
	.set .L__ockl_printf_append_string_n.has_dyn_sized_stack, 0
	.set .L__ockl_printf_append_string_n.has_recursion, 0
	.set .L__ockl_printf_append_string_n.has_indirect_call, 0
	.section	.AMDGPU.csdata,"",@progbits
; Function info:
; codeLenInByte = 4600
; TotalNumSgprs: 34
; NumVgprs: 39
; ScratchSize: 0
; MemoryBound: 0
	.text
	.p2align	2                               ; -- Begin function __ockl_printf_append_args
	.type	__ockl_printf_append_args,@function
__ockl_printf_append_args:              ; @__ockl_printf_append_args
; %bb.0:
	s_waitcnt vmcnt(0) expcnt(0) lgkmcnt(0)
	s_load_dwordx2 s[6:7], s[8:9], 0x50
	v_mbcnt_lo_u32_b32 v15, -1, 0
	v_mov_b32_e32 v11, 0
	v_mov_b32_e32 v12, 0
	v_readfirstlane_b32 s4, v15
	v_cmp_eq_u32_e64 s4, s4, v15
	s_and_saveexec_b32 s5, s4
	s_cbranch_execz .LBB72_6
; %bb.1:
	v_mov_b32_e32 v5, 0
	s_mov_b32 s8, exec_lo
	s_waitcnt lgkmcnt(0)
	global_load_dwordx2 v[8:9], v5, s[6:7] offset:24 glc dlc
	s_waitcnt vmcnt(0)
	buffer_gl1_inv
	buffer_gl0_inv
	s_clause 0x1
	global_load_dwordx2 v[6:7], v5, s[6:7] offset:40
	global_load_dwordx2 v[10:11], v5, s[6:7]
	s_waitcnt vmcnt(1)
	v_and_b32_e32 v7, v7, v9
	v_and_b32_e32 v6, v6, v8
	v_mul_lo_u32 v7, v7, 24
	v_mul_hi_u32 v12, v6, 24
	v_mul_lo_u32 v6, v6, 24
	v_add_nc_u32_e32 v7, v12, v7
	s_waitcnt vmcnt(0)
	v_add_co_u32 v6, vcc_lo, v10, v6
	v_add_co_ci_u32_e64 v7, null, v11, v7, vcc_lo
	global_load_dwordx2 v[6:7], v[6:7], off glc dlc
	s_waitcnt vmcnt(0)
	global_atomic_cmpswap_x2 v[11:12], v5, v[6:9], s[6:7] offset:24 glc
	s_waitcnt vmcnt(0)
	buffer_gl1_inv
	buffer_gl0_inv
	v_cmpx_ne_u64_e64 v[11:12], v[8:9]
	s_cbranch_execz .LBB72_5
; %bb.2:
	s_mov_b32 s9, 0
	.p2align	6
.LBB72_3:                               ; =>This Inner Loop Header: Depth=1
	s_sleep 1
	s_clause 0x1
	global_load_dwordx2 v[6:7], v5, s[6:7] offset:40
	global_load_dwordx2 v[13:14], v5, s[6:7]
	v_mov_b32_e32 v8, v11
	v_mov_b32_e32 v9, v12
	s_waitcnt vmcnt(1)
	v_and_b32_e32 v6, v6, v8
	v_and_b32_e32 v7, v7, v9
	s_waitcnt vmcnt(0)
	v_mad_u64_u32 v[10:11], null, v6, 24, v[13:14]
	v_mov_b32_e32 v6, v11
	v_mad_u64_u32 v[6:7], null, v7, 24, v[6:7]
	v_mov_b32_e32 v11, v6
	global_load_dwordx2 v[6:7], v[10:11], off glc dlc
	s_waitcnt vmcnt(0)
	global_atomic_cmpswap_x2 v[11:12], v5, v[6:9], s[6:7] offset:24 glc
	s_waitcnt vmcnt(0)
	buffer_gl1_inv
	buffer_gl0_inv
	v_cmp_eq_u64_e32 vcc_lo, v[11:12], v[8:9]
	s_or_b32 s9, vcc_lo, s9
	s_andn2_b32 exec_lo, exec_lo, s9
	s_cbranch_execnz .LBB72_3
; %bb.4:
	s_or_b32 exec_lo, exec_lo, s9
.LBB72_5:
	s_or_b32 exec_lo, exec_lo, s8
.LBB72_6:
	s_or_b32 exec_lo, exec_lo, s5
	v_mov_b32_e32 v10, 0
	v_readfirstlane_b32 s9, v12
	v_readfirstlane_b32 s8, v11
	s_mov_b32 s5, exec_lo
	s_waitcnt lgkmcnt(0)
	s_clause 0x1
	global_load_dwordx2 v[13:14], v10, s[6:7] offset:40
	global_load_dwordx4 v[5:8], v10, s[6:7]
	s_waitcnt vmcnt(1)
	v_readfirstlane_b32 s10, v13
	v_readfirstlane_b32 s11, v14
	s_and_b64 s[10:11], s[10:11], s[8:9]
	s_mul_i32 s12, s11, 24
	s_mul_hi_u32 s13, s10, 24
	s_mul_i32 s14, s10, 24
	s_add_i32 s13, s13, s12
	s_waitcnt vmcnt(0)
	v_add_co_u32 v13, vcc_lo, v5, s14
	v_add_co_ci_u32_e64 v14, null, s13, v6, vcc_lo
	s_and_saveexec_b32 s12, s4
	s_cbranch_execz .LBB72_8
; %bb.7:
	v_mov_b32_e32 v9, s5
	v_mov_b32_e32 v11, 2
	;; [unrolled: 1-line block ×3, first 2 shown]
	global_store_dwordx4 v[13:14], v[9:12], off offset:8
.LBB72_8:
	s_or_b32 exec_lo, exec_lo, s12
	v_or_b32_e32 v9, 2, v0
	v_cmp_eq_u32_e32 vcc_lo, 0, v4
	s_lshl_b64 s[10:11], s[10:11], 12
	s_mov_b32 s12, 0
	v_lshlrev_b32_e32 v11, 6, v15
	s_mov_b32 s13, s12
	v_cndmask_b32_e32 v0, v9, v0, vcc_lo
	v_add_co_u32 v4, vcc_lo, v7, s10
	v_add_co_ci_u32_e64 v7, null, s11, v8, vcc_lo
	s_mov_b32 s14, s12
	s_mov_b32 s15, s12
	v_and_or_b32 v0, 0xffffff1f, v0, 32
	v_readfirstlane_b32 s10, v4
	v_readfirstlane_b32 s11, v7
	v_mov_b32_e32 v7, s12
	v_mov_b32_e32 v8, s13
	;; [unrolled: 1-line block ×4, first 2 shown]
	global_store_dwordx4 v11, v[0:3], s[10:11]
	global_store_dwordx4 v11, v[7:10], s[10:11] offset:16
	global_store_dwordx4 v11, v[7:10], s[10:11] offset:32
	global_store_dwordx4 v11, v[7:10], s[10:11] offset:48
	s_and_saveexec_b32 s5, s4
	s_cbranch_execz .LBB72_16
; %bb.9:
	v_mov_b32_e32 v7, 0
	v_mov_b32_e32 v8, s8
	;; [unrolled: 1-line block ×3, first 2 shown]
	s_mov_b32 s10, exec_lo
	s_clause 0x1
	global_load_dwordx2 v[10:11], v7, s[6:7] offset:32 glc dlc
	global_load_dwordx2 v[0:1], v7, s[6:7] offset:40
	s_waitcnt vmcnt(0)
	v_and_b32_e32 v1, s9, v1
	v_and_b32_e32 v0, s8, v0
	v_mul_lo_u32 v1, v1, 24
	v_mul_hi_u32 v2, v0, 24
	v_mul_lo_u32 v0, v0, 24
	v_add_nc_u32_e32 v1, v2, v1
	v_add_co_u32 v4, vcc_lo, v5, v0
	v_add_co_ci_u32_e64 v5, null, v6, v1, vcc_lo
	global_store_dwordx2 v[4:5], v[10:11], off
	s_waitcnt_vscnt null, 0x0
	global_atomic_cmpswap_x2 v[2:3], v7, v[8:11], s[6:7] offset:32 glc
	s_waitcnt vmcnt(0)
	v_cmpx_ne_u64_e64 v[2:3], v[10:11]
	s_cbranch_execz .LBB72_12
; %bb.10:
	s_mov_b32 s11, 0
.LBB72_11:                              ; =>This Inner Loop Header: Depth=1
	v_mov_b32_e32 v0, s8
	v_mov_b32_e32 v1, s9
	s_sleep 1
	global_store_dwordx2 v[4:5], v[2:3], off
	s_waitcnt_vscnt null, 0x0
	global_atomic_cmpswap_x2 v[0:1], v7, v[0:3], s[6:7] offset:32 glc
	s_waitcnt vmcnt(0)
	v_cmp_eq_u64_e32 vcc_lo, v[0:1], v[2:3]
	v_mov_b32_e32 v3, v1
	v_mov_b32_e32 v2, v0
	s_or_b32 s11, vcc_lo, s11
	s_andn2_b32 exec_lo, exec_lo, s11
	s_cbranch_execnz .LBB72_11
.LBB72_12:
	s_or_b32 exec_lo, exec_lo, s10
	v_mov_b32_e32 v3, 0
	s_mov_b32 s11, exec_lo
	s_mov_b32 s10, exec_lo
	v_mbcnt_lo_u32_b32 v2, s11, 0
	global_load_dwordx2 v[0:1], v3, s[6:7] offset:16
	v_cmpx_eq_u32_e32 0, v2
	s_cbranch_execz .LBB72_14
; %bb.13:
	s_bcnt1_i32_b32 s11, s11
	v_mov_b32_e32 v2, s11
	s_waitcnt vmcnt(0)
	global_atomic_add_x2 v[0:1], v[2:3], off offset:8
.LBB72_14:
	s_or_b32 exec_lo, exec_lo, s10
	s_waitcnt vmcnt(0)
	global_load_dwordx2 v[2:3], v[0:1], off offset:16
	s_waitcnt vmcnt(0)
	v_cmp_eq_u64_e32 vcc_lo, 0, v[2:3]
	s_cbranch_vccnz .LBB72_16
; %bb.15:
	global_load_dword v0, v[0:1], off offset:24
	v_mov_b32_e32 v1, 0
	s_waitcnt vmcnt(0)
	v_readfirstlane_b32 s10, v0
	s_waitcnt_vscnt null, 0x0
	global_store_dwordx2 v[2:3], v[0:1], off
	s_and_b32 m0, s10, 0x7fffff
	s_sendmsg sendmsg(MSG_INTERRUPT)
.LBB72_16:
	s_or_b32 exec_lo, exec_lo, s5
	s_branch .LBB72_20
	.p2align	6
.LBB72_17:                              ;   in Loop: Header=BB72_20 Depth=1
	s_or_b32 exec_lo, exec_lo, s5
	v_readfirstlane_b32 s5, v0
	s_cmp_eq_u32 s5, 0
	s_cbranch_scc1 .LBB72_19
; %bb.18:                               ;   in Loop: Header=BB72_20 Depth=1
	s_sleep 1
	s_cbranch_execnz .LBB72_20
	s_branch .LBB72_22
	.p2align	6
.LBB72_19:
	s_branch .LBB72_22
.LBB72_20:                              ; =>This Inner Loop Header: Depth=1
	v_mov_b32_e32 v0, 1
	s_and_saveexec_b32 s5, s4
	s_cbranch_execz .LBB72_17
; %bb.21:                               ;   in Loop: Header=BB72_20 Depth=1
	global_load_dword v0, v[13:14], off offset:20 glc dlc
	s_waitcnt vmcnt(0)
	buffer_gl1_inv
	buffer_gl0_inv
	v_and_b32_e32 v0, 1, v0
	s_branch .LBB72_17
.LBB72_22:
	s_and_saveexec_b32 s10, s4
	s_cbranch_execz .LBB72_26
; %bb.23:
	v_mov_b32_e32 v6, 0
	s_clause 0x2
	global_load_dwordx2 v[0:1], v6, s[6:7] offset:40
	global_load_dwordx2 v[9:10], v6, s[6:7] offset:24 glc dlc
	global_load_dwordx2 v[2:3], v6, s[6:7]
	s_waitcnt vmcnt(2)
	v_readfirstlane_b32 s12, v0
	v_readfirstlane_b32 s13, v1
	s_add_u32 s11, s12, 1
	s_addc_u32 s14, s13, 0
	s_add_u32 s4, s11, s8
	s_addc_u32 s5, s14, s9
	s_cmp_eq_u64 s[4:5], 0
	s_cselect_b32 s5, s14, s5
	s_cselect_b32 s4, s11, s4
	v_mov_b32_e32 v8, s5
	s_and_b64 s[8:9], s[4:5], s[12:13]
	v_mov_b32_e32 v7, s4
	s_mul_i32 s9, s9, 24
	s_mul_hi_u32 s11, s8, 24
	s_mul_i32 s8, s8, 24
	s_add_i32 s11, s11, s9
	s_waitcnt vmcnt(0)
	v_add_co_u32 v4, vcc_lo, v2, s8
	v_add_co_ci_u32_e64 v5, null, s11, v3, vcc_lo
	global_store_dwordx2 v[4:5], v[9:10], off
	s_waitcnt_vscnt null, 0x0
	global_atomic_cmpswap_x2 v[2:3], v6, v[7:10], s[6:7] offset:24 glc
	s_waitcnt vmcnt(0)
	v_cmp_ne_u64_e32 vcc_lo, v[2:3], v[9:10]
	s_and_b32 exec_lo, exec_lo, vcc_lo
	s_cbranch_execz .LBB72_26
; %bb.24:
	s_mov_b32 s8, 0
.LBB72_25:                              ; =>This Inner Loop Header: Depth=1
	v_mov_b32_e32 v0, s4
	v_mov_b32_e32 v1, s5
	s_sleep 1
	global_store_dwordx2 v[4:5], v[2:3], off
	s_waitcnt_vscnt null, 0x0
	global_atomic_cmpswap_x2 v[0:1], v6, v[0:3], s[6:7] offset:24 glc
	s_waitcnt vmcnt(0)
	v_cmp_eq_u64_e32 vcc_lo, v[0:1], v[2:3]
	v_mov_b32_e32 v3, v1
	v_mov_b32_e32 v2, v0
	s_or_b32 s8, vcc_lo, s8
	s_andn2_b32 exec_lo, exec_lo, s8
	s_cbranch_execnz .LBB72_25
.LBB72_26:
	s_or_b32 exec_lo, exec_lo, s10
	s_waitcnt lgkmcnt(0)
	s_setpc_b64 s[30:31]
.Lfunc_end72:
	.size	__ockl_printf_append_args, .Lfunc_end72-__ockl_printf_append_args
                                        ; -- End function
	.set .L__ockl_printf_append_args.num_vgpr, 16
	.set .L__ockl_printf_append_args.num_agpr, 0
	.set .L__ockl_printf_append_args.numbered_sgpr, 32
	.set .L__ockl_printf_append_args.num_named_barrier, 0
	.set .L__ockl_printf_append_args.private_seg_size, 0
	.set .L__ockl_printf_append_args.uses_vcc, 1
	.set .L__ockl_printf_append_args.uses_flat_scratch, 0
	.set .L__ockl_printf_append_args.has_dyn_sized_stack, 0
	.set .L__ockl_printf_append_args.has_recursion, 0
	.set .L__ockl_printf_append_args.has_indirect_call, 0
	.section	.AMDGPU.csdata,"",@progbits
; Function info:
; codeLenInByte = 1380
; TotalNumSgprs: 34
; NumVgprs: 16
; ScratchSize: 0
; MemoryBound: 0
	.text
	.p2align	2                               ; -- Begin function _ZL14no_device_codePKciS0_iS0_
	.type	_ZL14no_device_codePKciS0_iS0_,@function
_ZL14no_device_codePKciS0_iS0_:         ; @_ZL14no_device_codePKciS0_iS0_
; %bb.0:
	s_waitcnt vmcnt(0) expcnt(0) lgkmcnt(0)
	s_mov_b32 s24, s33
	s_mov_b32 s33, s32
	s_xor_saveexec_b32 s4, -1
	buffer_store_dword v39, off, s[0:3], s33 ; 4-byte Folded Spill
	s_mov_b32 exec_lo, s4
	v_writelane_b32 v39, s30, 0
	s_addk_i32 s32, 0x200
	v_writelane_b32 v39, s31, 1
	s_load_dwordx2 s[6:7], s[8:9], 0x50
	v_mbcnt_lo_u32_b32 v29, -1, 0
	v_mov_b32_e32 v6, 0
	v_mov_b32_e32 v7, 0
	v_readfirstlane_b32 s4, v29
	v_cmp_eq_u32_e64 s4, s4, v29
	s_and_saveexec_b32 s5, s4
	s_cbranch_execz .LBB73_6
; %bb.1:
	v_mov_b32_e32 v0, 0
	s_mov_b32 s10, exec_lo
	s_waitcnt lgkmcnt(0)
	global_load_dwordx2 v[3:4], v0, s[6:7] offset:24 glc dlc
	s_waitcnt vmcnt(0)
	buffer_gl1_inv
	buffer_gl0_inv
	s_clause 0x1
	global_load_dwordx2 v[1:2], v0, s[6:7] offset:40
	global_load_dwordx2 v[5:6], v0, s[6:7]
	s_waitcnt vmcnt(1)
	v_and_b32_e32 v2, v2, v4
	v_and_b32_e32 v1, v1, v3
	v_mul_lo_u32 v2, v2, 24
	v_mul_hi_u32 v7, v1, 24
	v_mul_lo_u32 v1, v1, 24
	v_add_nc_u32_e32 v2, v7, v2
	s_waitcnt vmcnt(0)
	v_add_co_u32 v1, vcc_lo, v5, v1
	v_add_co_ci_u32_e64 v2, null, v6, v2, vcc_lo
	global_load_dwordx2 v[1:2], v[1:2], off glc dlc
	s_waitcnt vmcnt(0)
	global_atomic_cmpswap_x2 v[6:7], v0, v[1:4], s[6:7] offset:24 glc
	s_waitcnt vmcnt(0)
	buffer_gl1_inv
	buffer_gl0_inv
	v_cmpx_ne_u64_e64 v[6:7], v[3:4]
	s_cbranch_execz .LBB73_5
; %bb.2:
	s_mov_b32 s11, 0
	.p2align	6
.LBB73_3:                               ; =>This Inner Loop Header: Depth=1
	s_sleep 1
	s_clause 0x1
	global_load_dwordx2 v[1:2], v0, s[6:7] offset:40
	global_load_dwordx2 v[8:9], v0, s[6:7]
	v_mov_b32_e32 v3, v6
	v_mov_b32_e32 v4, v7
	s_waitcnt vmcnt(1)
	v_and_b32_e32 v1, v1, v3
	v_and_b32_e32 v2, v2, v4
	s_waitcnt vmcnt(0)
	v_mad_u64_u32 v[5:6], null, v1, 24, v[8:9]
	v_mov_b32_e32 v1, v6
	v_mad_u64_u32 v[1:2], null, v2, 24, v[1:2]
	v_mov_b32_e32 v6, v1
	global_load_dwordx2 v[1:2], v[5:6], off glc dlc
	s_waitcnt vmcnt(0)
	global_atomic_cmpswap_x2 v[6:7], v0, v[1:4], s[6:7] offset:24 glc
	s_waitcnt vmcnt(0)
	buffer_gl1_inv
	buffer_gl0_inv
	v_cmp_eq_u64_e32 vcc_lo, v[6:7], v[3:4]
	s_or_b32 s11, vcc_lo, s11
	s_andn2_b32 exec_lo, exec_lo, s11
	s_cbranch_execnz .LBB73_3
; %bb.4:
	s_or_b32 exec_lo, exec_lo, s11
.LBB73_5:
	s_or_b32 exec_lo, exec_lo, s10
.LBB73_6:
	s_or_b32 exec_lo, exec_lo, s5
	v_mov_b32_e32 v5, 0
	v_readfirstlane_b32 s11, v7
	v_readfirstlane_b32 s10, v6
	s_mov_b32 s5, exec_lo
	s_waitcnt lgkmcnt(0)
	s_clause 0x1
	global_load_dwordx2 v[8:9], v5, s[6:7] offset:40
	global_load_dwordx4 v[0:3], v5, s[6:7]
	s_waitcnt vmcnt(1)
	v_readfirstlane_b32 s12, v8
	v_readfirstlane_b32 s13, v9
	s_and_b64 s[12:13], s[12:13], s[10:11]
	s_mul_i32 s14, s13, 24
	s_mul_hi_u32 s15, s12, 24
	s_mul_i32 s16, s12, 24
	s_add_i32 s15, s15, s14
	s_waitcnt vmcnt(0)
	v_add_co_u32 v8, vcc_lo, v0, s16
	v_add_co_ci_u32_e64 v9, null, s15, v1, vcc_lo
	s_and_saveexec_b32 s14, s4
	s_cbranch_execz .LBB73_8
; %bb.7:
	v_mov_b32_e32 v4, s5
	v_mov_b32_e32 v6, 2
	;; [unrolled: 1-line block ×3, first 2 shown]
	global_store_dwordx4 v[8:9], v[4:7], off offset:8
.LBB73_8:
	s_or_b32 exec_lo, exec_lo, s14
	s_lshl_b64 s[12:13], s[12:13], 12
	v_lshlrev_b32_e32 v28, 6, v29
	v_add_co_u32 v2, vcc_lo, v2, s12
	v_add_co_ci_u32_e64 v3, null, s13, v3, vcc_lo
	s_mov_b32 s12, 0
	v_add_co_u32 v10, vcc_lo, v2, v28
	s_mov_b32 s13, s12
	s_mov_b32 s14, s12
	;; [unrolled: 1-line block ×3, first 2 shown]
	v_mov_b32_e32 v4, 33
	v_mov_b32_e32 v6, v5
	;; [unrolled: 1-line block ×3, first 2 shown]
	v_readfirstlane_b32 s16, v2
	v_readfirstlane_b32 s17, v3
	v_mov_b32_e32 v12, s12
	v_add_co_ci_u32_e64 v11, null, 0, v3, vcc_lo
	v_mov_b32_e32 v13, s13
	v_mov_b32_e32 v14, s14
	;; [unrolled: 1-line block ×3, first 2 shown]
	global_store_dwordx4 v28, v[4:7], s[16:17]
	global_store_dwordx4 v28, v[12:15], s[16:17] offset:16
	global_store_dwordx4 v28, v[12:15], s[16:17] offset:32
	;; [unrolled: 1-line block ×3, first 2 shown]
	s_and_saveexec_b32 s5, s4
	s_cbranch_execz .LBB73_16
; %bb.9:
	v_mov_b32_e32 v6, 0
	v_mov_b32_e32 v12, s10
	v_mov_b32_e32 v13, s11
	s_mov_b32 s12, exec_lo
	s_clause 0x1
	global_load_dwordx2 v[14:15], v6, s[6:7] offset:32 glc dlc
	global_load_dwordx2 v[2:3], v6, s[6:7] offset:40
	s_waitcnt vmcnt(0)
	v_and_b32_e32 v3, s11, v3
	v_and_b32_e32 v2, s10, v2
	v_mul_lo_u32 v3, v3, 24
	v_mul_hi_u32 v4, v2, 24
	v_mul_lo_u32 v2, v2, 24
	v_add_nc_u32_e32 v3, v4, v3
	v_add_co_u32 v4, vcc_lo, v0, v2
	v_add_co_ci_u32_e64 v5, null, v1, v3, vcc_lo
	global_store_dwordx2 v[4:5], v[14:15], off
	s_waitcnt_vscnt null, 0x0
	global_atomic_cmpswap_x2 v[2:3], v6, v[12:15], s[6:7] offset:32 glc
	s_waitcnt vmcnt(0)
	v_cmpx_ne_u64_e64 v[2:3], v[14:15]
	s_cbranch_execz .LBB73_12
; %bb.10:
	s_mov_b32 s13, 0
.LBB73_11:                              ; =>This Inner Loop Header: Depth=1
	v_mov_b32_e32 v0, s10
	v_mov_b32_e32 v1, s11
	s_sleep 1
	global_store_dwordx2 v[4:5], v[2:3], off
	s_waitcnt_vscnt null, 0x0
	global_atomic_cmpswap_x2 v[0:1], v6, v[0:3], s[6:7] offset:32 glc
	s_waitcnt vmcnt(0)
	v_cmp_eq_u64_e32 vcc_lo, v[0:1], v[2:3]
	v_mov_b32_e32 v3, v1
	v_mov_b32_e32 v2, v0
	s_or_b32 s13, vcc_lo, s13
	s_andn2_b32 exec_lo, exec_lo, s13
	s_cbranch_execnz .LBB73_11
.LBB73_12:
	s_or_b32 exec_lo, exec_lo, s12
	v_mov_b32_e32 v3, 0
	s_mov_b32 s13, exec_lo
	s_mov_b32 s12, exec_lo
	v_mbcnt_lo_u32_b32 v2, s13, 0
	global_load_dwordx2 v[0:1], v3, s[6:7] offset:16
	v_cmpx_eq_u32_e32 0, v2
	s_cbranch_execz .LBB73_14
; %bb.13:
	s_bcnt1_i32_b32 s13, s13
	v_mov_b32_e32 v2, s13
	s_waitcnt vmcnt(0)
	global_atomic_add_x2 v[0:1], v[2:3], off offset:8
.LBB73_14:
	s_or_b32 exec_lo, exec_lo, s12
	s_waitcnt vmcnt(0)
	global_load_dwordx2 v[2:3], v[0:1], off offset:16
	s_waitcnt vmcnt(0)
	v_cmp_eq_u64_e32 vcc_lo, 0, v[2:3]
	s_cbranch_vccnz .LBB73_16
; %bb.15:
	global_load_dword v0, v[0:1], off offset:24
	v_mov_b32_e32 v1, 0
	s_waitcnt vmcnt(0)
	v_readfirstlane_b32 s12, v0
	s_waitcnt_vscnt null, 0x0
	global_store_dwordx2 v[2:3], v[0:1], off
	s_and_b32 m0, s12, 0x7fffff
	s_sendmsg sendmsg(MSG_INTERRUPT)
.LBB73_16:
	s_or_b32 exec_lo, exec_lo, s5
	s_branch .LBB73_20
	.p2align	6
.LBB73_17:                              ;   in Loop: Header=BB73_20 Depth=1
	s_or_b32 exec_lo, exec_lo, s5
	v_readfirstlane_b32 s5, v0
	s_cmp_eq_u32 s5, 0
	s_cbranch_scc1 .LBB73_19
; %bb.18:                               ;   in Loop: Header=BB73_20 Depth=1
	s_sleep 1
	s_cbranch_execnz .LBB73_20
	s_branch .LBB73_22
	.p2align	6
.LBB73_19:
	s_branch .LBB73_22
.LBB73_20:                              ; =>This Inner Loop Header: Depth=1
	v_mov_b32_e32 v0, 1
	s_and_saveexec_b32 s5, s4
	s_cbranch_execz .LBB73_17
; %bb.21:                               ;   in Loop: Header=BB73_20 Depth=1
	global_load_dword v0, v[8:9], off offset:20 glc dlc
	s_waitcnt vmcnt(0)
	buffer_gl1_inv
	buffer_gl0_inv
	v_and_b32_e32 v0, 1, v0
	s_branch .LBB73_17
.LBB73_22:
	global_load_dwordx2 v[4:5], v[10:11], off
	s_and_saveexec_b32 s12, s4
	s_cbranch_execz .LBB73_26
; %bb.23:
	v_mov_b32_e32 v8, 0
	s_clause 0x2
	global_load_dwordx2 v[0:1], v8, s[6:7] offset:40
	global_load_dwordx2 v[11:12], v8, s[6:7] offset:24 glc dlc
	global_load_dwordx2 v[2:3], v8, s[6:7]
	s_waitcnt vmcnt(2)
	v_readfirstlane_b32 s14, v0
	v_readfirstlane_b32 s15, v1
	s_add_u32 s13, s14, 1
	s_addc_u32 s16, s15, 0
	s_add_u32 s4, s13, s10
	s_addc_u32 s5, s16, s11
	s_cmp_eq_u64 s[4:5], 0
	s_cselect_b32 s5, s16, s5
	s_cselect_b32 s4, s13, s4
	v_mov_b32_e32 v10, s5
	s_and_b64 s[10:11], s[4:5], s[14:15]
	v_mov_b32_e32 v9, s4
	s_mul_i32 s11, s11, 24
	s_mul_hi_u32 s13, s10, 24
	s_mul_i32 s10, s10, 24
	s_add_i32 s13, s13, s11
	s_waitcnt vmcnt(0)
	v_add_co_u32 v6, vcc_lo, v2, s10
	v_add_co_ci_u32_e64 v7, null, s13, v3, vcc_lo
	global_store_dwordx2 v[6:7], v[11:12], off
	s_waitcnt_vscnt null, 0x0
	global_atomic_cmpswap_x2 v[2:3], v8, v[9:12], s[6:7] offset:24 glc
	s_waitcnt vmcnt(0)
	v_cmp_ne_u64_e32 vcc_lo, v[2:3], v[11:12]
	s_and_b32 exec_lo, exec_lo, vcc_lo
	s_cbranch_execz .LBB73_26
; %bb.24:
	s_mov_b32 s10, 0
.LBB73_25:                              ; =>This Inner Loop Header: Depth=1
	v_mov_b32_e32 v0, s4
	v_mov_b32_e32 v1, s5
	s_sleep 1
	global_store_dwordx2 v[6:7], v[2:3], off
	s_waitcnt_vscnt null, 0x0
	global_atomic_cmpswap_x2 v[0:1], v8, v[0:3], s[6:7] offset:24 glc
	s_waitcnt vmcnt(0)
	v_cmp_eq_u64_e32 vcc_lo, v[0:1], v[2:3]
	v_mov_b32_e32 v3, v1
	v_mov_b32_e32 v2, v0
	s_or_b32 s10, vcc_lo, s10
	s_andn2_b32 exec_lo, exec_lo, s10
	s_cbranch_execnz .LBB73_25
.LBB73_26:
	s_or_b32 exec_lo, exec_lo, s12
	s_getpc_b64 s[10:11]
	s_add_u32 s10, s10, .str.5@rel32@lo+4
	s_addc_u32 s11, s11, .str.5@rel32@hi+12
	s_cmp_lg_u64 s[10:11], 0
	s_cbranch_scc0 .LBB73_104
; %bb.27:
	s_waitcnt vmcnt(0)
	v_and_b32_e32 v30, 2, v4
	v_mov_b32_e32 v7, 0
	v_and_b32_e32 v0, -3, v4
	v_mov_b32_e32 v1, v5
	v_mov_b32_e32 v8, 2
	;; [unrolled: 1-line block ×3, first 2 shown]
	s_mov_b64 s[12:13], 0x4d
	s_branch .LBB73_29
.LBB73_28:                              ;   in Loop: Header=BB73_29 Depth=1
	s_or_b32 exec_lo, exec_lo, s18
	s_sub_u32 s12, s12, s14
	s_subb_u32 s13, s13, s15
	s_add_u32 s10, s10, s14
	s_addc_u32 s11, s11, s15
	s_cmp_lg_u64 s[12:13], 0
	s_cbranch_scc0 .LBB73_105
.LBB73_29:                              ; =>This Loop Header: Depth=1
                                        ;     Child Loop BB73_32 Depth 2
                                        ;     Child Loop BB73_39 Depth 2
	;; [unrolled: 1-line block ×11, first 2 shown]
	v_cmp_lt_u64_e64 s4, s[12:13], 56
	v_cmp_gt_u64_e64 s16, s[12:13], 7
	s_and_b32 s4, s4, exec_lo
	s_cselect_b32 s15, s13, 0
	s_cselect_b32 s14, s12, 56
	s_add_u32 s4, s10, 8
	s_addc_u32 s5, s11, 0
	s_and_b32 vcc_lo, exec_lo, s16
	s_cbranch_vccnz .LBB73_34
; %bb.30:                               ;   in Loop: Header=BB73_29 Depth=1
	v_mov_b32_e32 v2, 0
	v_mov_b32_e32 v3, 0
	s_cmp_eq_u64 s[12:13], 0
	s_cbranch_scc1 .LBB73_33
; %bb.31:                               ;   in Loop: Header=BB73_29 Depth=1
	s_lshl_b64 s[4:5], s[14:15], 3
	s_mov_b64 s[16:17], 0
	s_mov_b64 s[18:19], s[10:11]
.LBB73_32:                              ;   Parent Loop BB73_29 Depth=1
                                        ; =>  This Inner Loop Header: Depth=2
	global_load_ubyte v6, v7, s[18:19]
	s_waitcnt vmcnt(0)
	v_and_b32_e32 v6, 0xffff, v6
	v_lshlrev_b64 v[10:11], s16, v[6:7]
	s_add_u32 s16, s16, 8
	s_addc_u32 s17, s17, 0
	s_add_u32 s18, s18, 1
	s_addc_u32 s19, s19, 0
	s_cmp_lg_u32 s4, s16
	v_or_b32_e32 v2, v10, v2
	v_or_b32_e32 v3, v11, v3
	s_cbranch_scc1 .LBB73_32
.LBB73_33:                              ;   in Loop: Header=BB73_29 Depth=1
	s_mov_b64 s[4:5], s[10:11]
	s_mov_b32 s20, 0
	s_cbranch_execz .LBB73_35
	s_branch .LBB73_36
.LBB73_34:                              ;   in Loop: Header=BB73_29 Depth=1
	s_mov_b32 s20, 0
.LBB73_35:                              ;   in Loop: Header=BB73_29 Depth=1
	global_load_dwordx2 v[2:3], v7, s[10:11]
	s_add_i32 s20, s14, -8
.LBB73_36:                              ;   in Loop: Header=BB73_29 Depth=1
	s_add_u32 s16, s4, 8
	s_addc_u32 s17, s5, 0
	s_cmp_gt_u32 s20, 7
	s_cbranch_scc1 .LBB73_41
; %bb.37:                               ;   in Loop: Header=BB73_29 Depth=1
	v_mov_b32_e32 v10, 0
	v_mov_b32_e32 v11, 0
	s_cmp_eq_u32 s20, 0
	s_cbranch_scc1 .LBB73_40
; %bb.38:                               ;   in Loop: Header=BB73_29 Depth=1
	s_mov_b64 s[16:17], 0
	s_mov_b64 s[18:19], 0
.LBB73_39:                              ;   Parent Loop BB73_29 Depth=1
                                        ; =>  This Inner Loop Header: Depth=2
	s_add_u32 s22, s4, s18
	s_addc_u32 s23, s5, s19
	s_add_u32 s18, s18, 1
	global_load_ubyte v6, v7, s[22:23]
	s_addc_u32 s19, s19, 0
	s_waitcnt vmcnt(0)
	v_and_b32_e32 v6, 0xffff, v6
	v_lshlrev_b64 v[12:13], s16, v[6:7]
	s_add_u32 s16, s16, 8
	s_addc_u32 s17, s17, 0
	s_cmp_lg_u32 s20, s18
	v_or_b32_e32 v10, v12, v10
	v_or_b32_e32 v11, v13, v11
	s_cbranch_scc1 .LBB73_39
.LBB73_40:                              ;   in Loop: Header=BB73_29 Depth=1
	s_mov_b64 s[16:17], s[4:5]
	s_mov_b32 s21, 0
	s_cbranch_execz .LBB73_42
	s_branch .LBB73_43
.LBB73_41:                              ;   in Loop: Header=BB73_29 Depth=1
                                        ; implicit-def: $vgpr10_vgpr11
	s_mov_b32 s21, 0
.LBB73_42:                              ;   in Loop: Header=BB73_29 Depth=1
	global_load_dwordx2 v[10:11], v7, s[4:5]
	s_add_i32 s21, s20, -8
.LBB73_43:                              ;   in Loop: Header=BB73_29 Depth=1
	s_add_u32 s4, s16, 8
	s_addc_u32 s5, s17, 0
	s_cmp_gt_u32 s21, 7
	s_cbranch_scc1 .LBB73_48
; %bb.44:                               ;   in Loop: Header=BB73_29 Depth=1
	v_mov_b32_e32 v12, 0
	v_mov_b32_e32 v13, 0
	s_cmp_eq_u32 s21, 0
	s_cbranch_scc1 .LBB73_47
; %bb.45:                               ;   in Loop: Header=BB73_29 Depth=1
	s_mov_b64 s[4:5], 0
	s_mov_b64 s[18:19], 0
.LBB73_46:                              ;   Parent Loop BB73_29 Depth=1
                                        ; =>  This Inner Loop Header: Depth=2
	s_add_u32 s22, s16, s18
	s_addc_u32 s23, s17, s19
	s_add_u32 s18, s18, 1
	global_load_ubyte v6, v7, s[22:23]
	s_addc_u32 s19, s19, 0
	s_waitcnt vmcnt(0)
	v_and_b32_e32 v6, 0xffff, v6
	v_lshlrev_b64 v[14:15], s4, v[6:7]
	s_add_u32 s4, s4, 8
	s_addc_u32 s5, s5, 0
	s_cmp_lg_u32 s21, s18
	v_or_b32_e32 v12, v14, v12
	v_or_b32_e32 v13, v15, v13
	s_cbranch_scc1 .LBB73_46
.LBB73_47:                              ;   in Loop: Header=BB73_29 Depth=1
	s_mov_b64 s[4:5], s[16:17]
	s_mov_b32 s20, 0
	s_cbranch_execz .LBB73_49
	s_branch .LBB73_50
.LBB73_48:                              ;   in Loop: Header=BB73_29 Depth=1
	s_mov_b32 s20, 0
.LBB73_49:                              ;   in Loop: Header=BB73_29 Depth=1
	global_load_dwordx2 v[12:13], v7, s[16:17]
	s_add_i32 s20, s21, -8
.LBB73_50:                              ;   in Loop: Header=BB73_29 Depth=1
	s_add_u32 s16, s4, 8
	s_addc_u32 s17, s5, 0
	s_cmp_gt_u32 s20, 7
	s_cbranch_scc1 .LBB73_55
; %bb.51:                               ;   in Loop: Header=BB73_29 Depth=1
	v_mov_b32_e32 v14, 0
	v_mov_b32_e32 v15, 0
	s_cmp_eq_u32 s20, 0
	s_cbranch_scc1 .LBB73_54
; %bb.52:                               ;   in Loop: Header=BB73_29 Depth=1
	s_mov_b64 s[16:17], 0
	s_mov_b64 s[18:19], 0
.LBB73_53:                              ;   Parent Loop BB73_29 Depth=1
                                        ; =>  This Inner Loop Header: Depth=2
	s_add_u32 s22, s4, s18
	s_addc_u32 s23, s5, s19
	s_add_u32 s18, s18, 1
	global_load_ubyte v6, v7, s[22:23]
	s_addc_u32 s19, s19, 0
	s_waitcnt vmcnt(0)
	v_and_b32_e32 v6, 0xffff, v6
	v_lshlrev_b64 v[16:17], s16, v[6:7]
	s_add_u32 s16, s16, 8
	s_addc_u32 s17, s17, 0
	s_cmp_lg_u32 s20, s18
	v_or_b32_e32 v14, v16, v14
	v_or_b32_e32 v15, v17, v15
	s_cbranch_scc1 .LBB73_53
.LBB73_54:                              ;   in Loop: Header=BB73_29 Depth=1
	s_mov_b64 s[16:17], s[4:5]
	s_mov_b32 s21, 0
	s_cbranch_execz .LBB73_56
	s_branch .LBB73_57
.LBB73_55:                              ;   in Loop: Header=BB73_29 Depth=1
                                        ; implicit-def: $vgpr14_vgpr15
	s_mov_b32 s21, 0
.LBB73_56:                              ;   in Loop: Header=BB73_29 Depth=1
	global_load_dwordx2 v[14:15], v7, s[4:5]
	s_add_i32 s21, s20, -8
.LBB73_57:                              ;   in Loop: Header=BB73_29 Depth=1
	s_add_u32 s4, s16, 8
	s_addc_u32 s5, s17, 0
	s_cmp_gt_u32 s21, 7
	s_cbranch_scc1 .LBB73_62
; %bb.58:                               ;   in Loop: Header=BB73_29 Depth=1
	v_mov_b32_e32 v16, 0
	v_mov_b32_e32 v17, 0
	s_cmp_eq_u32 s21, 0
	s_cbranch_scc1 .LBB73_61
; %bb.59:                               ;   in Loop: Header=BB73_29 Depth=1
	s_mov_b64 s[4:5], 0
	s_mov_b64 s[18:19], 0
.LBB73_60:                              ;   Parent Loop BB73_29 Depth=1
                                        ; =>  This Inner Loop Header: Depth=2
	s_add_u32 s22, s16, s18
	s_addc_u32 s23, s17, s19
	s_add_u32 s18, s18, 1
	global_load_ubyte v6, v7, s[22:23]
	s_addc_u32 s19, s19, 0
	s_waitcnt vmcnt(0)
	v_and_b32_e32 v6, 0xffff, v6
	v_lshlrev_b64 v[18:19], s4, v[6:7]
	s_add_u32 s4, s4, 8
	s_addc_u32 s5, s5, 0
	s_cmp_lg_u32 s21, s18
	v_or_b32_e32 v16, v18, v16
	v_or_b32_e32 v17, v19, v17
	s_cbranch_scc1 .LBB73_60
.LBB73_61:                              ;   in Loop: Header=BB73_29 Depth=1
	s_mov_b64 s[4:5], s[16:17]
	s_mov_b32 s20, 0
	s_cbranch_execz .LBB73_63
	s_branch .LBB73_64
.LBB73_62:                              ;   in Loop: Header=BB73_29 Depth=1
	s_mov_b32 s20, 0
.LBB73_63:                              ;   in Loop: Header=BB73_29 Depth=1
	global_load_dwordx2 v[16:17], v7, s[16:17]
	s_add_i32 s20, s21, -8
.LBB73_64:                              ;   in Loop: Header=BB73_29 Depth=1
	s_add_u32 s16, s4, 8
	s_addc_u32 s17, s5, 0
	s_cmp_gt_u32 s20, 7
	s_cbranch_scc1 .LBB73_69
; %bb.65:                               ;   in Loop: Header=BB73_29 Depth=1
	v_mov_b32_e32 v18, 0
	v_mov_b32_e32 v19, 0
	s_cmp_eq_u32 s20, 0
	s_cbranch_scc1 .LBB73_68
; %bb.66:                               ;   in Loop: Header=BB73_29 Depth=1
	s_mov_b64 s[16:17], 0
	s_mov_b64 s[18:19], 0
.LBB73_67:                              ;   Parent Loop BB73_29 Depth=1
                                        ; =>  This Inner Loop Header: Depth=2
	s_add_u32 s22, s4, s18
	s_addc_u32 s23, s5, s19
	s_add_u32 s18, s18, 1
	global_load_ubyte v6, v7, s[22:23]
	s_addc_u32 s19, s19, 0
	s_waitcnt vmcnt(0)
	v_and_b32_e32 v6, 0xffff, v6
	v_lshlrev_b64 v[20:21], s16, v[6:7]
	s_add_u32 s16, s16, 8
	s_addc_u32 s17, s17, 0
	s_cmp_lg_u32 s20, s18
	v_or_b32_e32 v18, v20, v18
	v_or_b32_e32 v19, v21, v19
	s_cbranch_scc1 .LBB73_67
.LBB73_68:                              ;   in Loop: Header=BB73_29 Depth=1
	s_mov_b64 s[16:17], s[4:5]
	s_mov_b32 s21, 0
	s_cbranch_execz .LBB73_70
	s_branch .LBB73_71
.LBB73_69:                              ;   in Loop: Header=BB73_29 Depth=1
                                        ; implicit-def: $vgpr18_vgpr19
	s_mov_b32 s21, 0
.LBB73_70:                              ;   in Loop: Header=BB73_29 Depth=1
	global_load_dwordx2 v[18:19], v7, s[4:5]
	s_add_i32 s21, s20, -8
.LBB73_71:                              ;   in Loop: Header=BB73_29 Depth=1
	s_cmp_gt_u32 s21, 7
	s_cbranch_scc1 .LBB73_76
; %bb.72:                               ;   in Loop: Header=BB73_29 Depth=1
	v_mov_b32_e32 v20, 0
	v_mov_b32_e32 v21, 0
	s_cmp_eq_u32 s21, 0
	s_cbranch_scc1 .LBB73_75
; %bb.73:                               ;   in Loop: Header=BB73_29 Depth=1
	s_mov_b64 s[4:5], 0
	s_mov_b64 s[18:19], s[16:17]
.LBB73_74:                              ;   Parent Loop BB73_29 Depth=1
                                        ; =>  This Inner Loop Header: Depth=2
	global_load_ubyte v6, v7, s[18:19]
	s_add_i32 s21, s21, -1
	s_waitcnt vmcnt(0)
	v_and_b32_e32 v6, 0xffff, v6
	v_lshlrev_b64 v[22:23], s4, v[6:7]
	s_add_u32 s4, s4, 8
	s_addc_u32 s5, s5, 0
	s_add_u32 s18, s18, 1
	s_addc_u32 s19, s19, 0
	s_cmp_lg_u32 s21, 0
	v_or_b32_e32 v20, v22, v20
	v_or_b32_e32 v21, v23, v21
	s_cbranch_scc1 .LBB73_74
.LBB73_75:                              ;   in Loop: Header=BB73_29 Depth=1
	s_cbranch_execz .LBB73_77
	s_branch .LBB73_78
.LBB73_76:                              ;   in Loop: Header=BB73_29 Depth=1
.LBB73_77:                              ;   in Loop: Header=BB73_29 Depth=1
	global_load_dwordx2 v[20:21], v7, s[16:17]
.LBB73_78:                              ;   in Loop: Header=BB73_29 Depth=1
	v_readfirstlane_b32 s4, v29
	v_mov_b32_e32 v26, 0
	v_mov_b32_e32 v27, 0
	v_cmp_eq_u32_e64 s4, s4, v29
	s_and_saveexec_b32 s5, s4
	s_cbranch_execz .LBB73_84
; %bb.79:                               ;   in Loop: Header=BB73_29 Depth=1
	global_load_dwordx2 v[24:25], v7, s[6:7] offset:24 glc dlc
	s_waitcnt vmcnt(0)
	buffer_gl1_inv
	buffer_gl0_inv
	s_clause 0x1
	global_load_dwordx2 v[22:23], v7, s[6:7] offset:40
	global_load_dwordx2 v[26:27], v7, s[6:7]
	s_mov_b32 s16, exec_lo
	s_waitcnt vmcnt(1)
	v_and_b32_e32 v6, v23, v25
	v_and_b32_e32 v22, v22, v24
	v_mul_lo_u32 v6, v6, 24
	v_mul_hi_u32 v23, v22, 24
	v_mul_lo_u32 v22, v22, 24
	v_add_nc_u32_e32 v6, v23, v6
	s_waitcnt vmcnt(0)
	v_add_co_u32 v22, vcc_lo, v26, v22
	v_add_co_ci_u32_e64 v23, null, v27, v6, vcc_lo
	global_load_dwordx2 v[22:23], v[22:23], off glc dlc
	s_waitcnt vmcnt(0)
	global_atomic_cmpswap_x2 v[26:27], v7, v[22:25], s[6:7] offset:24 glc
	s_waitcnt vmcnt(0)
	buffer_gl1_inv
	buffer_gl0_inv
	v_cmpx_ne_u64_e64 v[26:27], v[24:25]
	s_cbranch_execz .LBB73_83
; %bb.80:                               ;   in Loop: Header=BB73_29 Depth=1
	s_mov_b32 s17, 0
	.p2align	6
.LBB73_81:                              ;   Parent Loop BB73_29 Depth=1
                                        ; =>  This Inner Loop Header: Depth=2
	s_sleep 1
	s_clause 0x1
	global_load_dwordx2 v[22:23], v7, s[6:7] offset:40
	global_load_dwordx2 v[31:32], v7, s[6:7]
	v_mov_b32_e32 v24, v26
	v_mov_b32_e32 v25, v27
	s_waitcnt vmcnt(1)
	v_and_b32_e32 v6, v22, v24
	v_and_b32_e32 v22, v23, v25
	s_waitcnt vmcnt(0)
	v_mad_u64_u32 v[26:27], null, v6, 24, v[31:32]
	v_mov_b32_e32 v6, v27
	v_mad_u64_u32 v[22:23], null, v22, 24, v[6:7]
	v_mov_b32_e32 v27, v22
	global_load_dwordx2 v[22:23], v[26:27], off glc dlc
	s_waitcnt vmcnt(0)
	global_atomic_cmpswap_x2 v[26:27], v7, v[22:25], s[6:7] offset:24 glc
	s_waitcnt vmcnt(0)
	buffer_gl1_inv
	buffer_gl0_inv
	v_cmp_eq_u64_e32 vcc_lo, v[26:27], v[24:25]
	s_or_b32 s17, vcc_lo, s17
	s_andn2_b32 exec_lo, exec_lo, s17
	s_cbranch_execnz .LBB73_81
; %bb.82:                               ;   in Loop: Header=BB73_29 Depth=1
	s_or_b32 exec_lo, exec_lo, s17
.LBB73_83:                              ;   in Loop: Header=BB73_29 Depth=1
	s_or_b32 exec_lo, exec_lo, s16
.LBB73_84:                              ;   in Loop: Header=BB73_29 Depth=1
	s_or_b32 exec_lo, exec_lo, s5
	s_clause 0x1
	global_load_dwordx2 v[31:32], v7, s[6:7] offset:40
	global_load_dwordx4 v[22:25], v7, s[6:7]
	v_readfirstlane_b32 s17, v27
	v_readfirstlane_b32 s16, v26
	s_mov_b32 s5, exec_lo
	s_waitcnt vmcnt(1)
	v_readfirstlane_b32 s18, v31
	v_readfirstlane_b32 s19, v32
	s_and_b64 s[18:19], s[18:19], s[16:17]
	s_mul_i32 s20, s19, 24
	s_mul_hi_u32 s21, s18, 24
	s_mul_i32 s22, s18, 24
	s_add_i32 s21, s21, s20
	s_waitcnt vmcnt(0)
	v_add_co_u32 v26, vcc_lo, v22, s22
	v_add_co_ci_u32_e64 v27, null, s21, v23, vcc_lo
	s_and_saveexec_b32 s20, s4
	s_cbranch_execz .LBB73_86
; %bb.85:                               ;   in Loop: Header=BB73_29 Depth=1
	v_mov_b32_e32 v6, s5
	global_store_dwordx4 v[26:27], v[6:9], off offset:8
.LBB73_86:                              ;   in Loop: Header=BB73_29 Depth=1
	s_or_b32 exec_lo, exec_lo, s20
	v_cmp_lt_u64_e64 vcc_lo, s[12:13], 57
	s_lshl_b64 s[18:19], s[18:19], 12
	v_and_b32_e32 v0, 0xffffff1f, v0
	s_lshl_b32 s5, s14, 2
	s_add_i32 s5, s5, 28
	v_cndmask_b32_e32 v6, 0, v30, vcc_lo
	v_add_co_u32 v24, vcc_lo, v24, s18
	v_add_co_ci_u32_e64 v25, null, s19, v25, vcc_lo
	v_or_b32_e32 v0, v0, v6
	v_readfirstlane_b32 s18, v24
	v_readfirstlane_b32 s19, v25
	v_and_or_b32 v0, 0x1e0, s5, v0
	global_store_dwordx4 v28, v[10:13], s[18:19] offset:16
	global_store_dwordx4 v28, v[0:3], s[18:19]
	global_store_dwordx4 v28, v[14:17], s[18:19] offset:32
	global_store_dwordx4 v28, v[18:21], s[18:19] offset:48
	s_and_saveexec_b32 s5, s4
	s_cbranch_execz .LBB73_94
; %bb.87:                               ;   in Loop: Header=BB73_29 Depth=1
	s_clause 0x1
	global_load_dwordx2 v[14:15], v7, s[6:7] offset:32 glc dlc
	global_load_dwordx2 v[0:1], v7, s[6:7] offset:40
	v_mov_b32_e32 v12, s16
	v_mov_b32_e32 v13, s17
	s_waitcnt vmcnt(0)
	v_readfirstlane_b32 s18, v0
	v_readfirstlane_b32 s19, v1
	s_and_b64 s[18:19], s[18:19], s[16:17]
	s_mul_i32 s19, s19, 24
	s_mul_hi_u32 s20, s18, 24
	s_mul_i32 s18, s18, 24
	s_add_i32 s20, s20, s19
	v_add_co_u32 v10, vcc_lo, v22, s18
	v_add_co_ci_u32_e64 v11, null, s20, v23, vcc_lo
	s_mov_b32 s18, exec_lo
	global_store_dwordx2 v[10:11], v[14:15], off
	s_waitcnt_vscnt null, 0x0
	global_atomic_cmpswap_x2 v[2:3], v7, v[12:15], s[6:7] offset:32 glc
	s_waitcnt vmcnt(0)
	v_cmpx_ne_u64_e64 v[2:3], v[14:15]
	s_cbranch_execz .LBB73_90
; %bb.88:                               ;   in Loop: Header=BB73_29 Depth=1
	s_mov_b32 s19, 0
.LBB73_89:                              ;   Parent Loop BB73_29 Depth=1
                                        ; =>  This Inner Loop Header: Depth=2
	v_mov_b32_e32 v0, s16
	v_mov_b32_e32 v1, s17
	s_sleep 1
	global_store_dwordx2 v[10:11], v[2:3], off
	s_waitcnt_vscnt null, 0x0
	global_atomic_cmpswap_x2 v[0:1], v7, v[0:3], s[6:7] offset:32 glc
	s_waitcnt vmcnt(0)
	v_cmp_eq_u64_e32 vcc_lo, v[0:1], v[2:3]
	v_mov_b32_e32 v3, v1
	v_mov_b32_e32 v2, v0
	s_or_b32 s19, vcc_lo, s19
	s_andn2_b32 exec_lo, exec_lo, s19
	s_cbranch_execnz .LBB73_89
.LBB73_90:                              ;   in Loop: Header=BB73_29 Depth=1
	s_or_b32 exec_lo, exec_lo, s18
	global_load_dwordx2 v[0:1], v7, s[6:7] offset:16
	s_mov_b32 s19, exec_lo
	s_mov_b32 s18, exec_lo
	v_mbcnt_lo_u32_b32 v2, s19, 0
	v_cmpx_eq_u32_e32 0, v2
	s_cbranch_execz .LBB73_92
; %bb.91:                               ;   in Loop: Header=BB73_29 Depth=1
	s_bcnt1_i32_b32 s19, s19
	v_mov_b32_e32 v6, s19
	s_waitcnt vmcnt(0)
	global_atomic_add_x2 v[0:1], v[6:7], off offset:8
.LBB73_92:                              ;   in Loop: Header=BB73_29 Depth=1
	s_or_b32 exec_lo, exec_lo, s18
	s_waitcnt vmcnt(0)
	global_load_dwordx2 v[2:3], v[0:1], off offset:16
	s_waitcnt vmcnt(0)
	v_cmp_eq_u64_e32 vcc_lo, 0, v[2:3]
	s_cbranch_vccnz .LBB73_94
; %bb.93:                               ;   in Loop: Header=BB73_29 Depth=1
	global_load_dword v6, v[0:1], off offset:24
	s_waitcnt vmcnt(0)
	v_readfirstlane_b32 s18, v6
	s_waitcnt_vscnt null, 0x0
	global_store_dwordx2 v[2:3], v[6:7], off
	s_and_b32 m0, s18, 0x7fffff
	s_sendmsg sendmsg(MSG_INTERRUPT)
.LBB73_94:                              ;   in Loop: Header=BB73_29 Depth=1
	s_or_b32 exec_lo, exec_lo, s5
	v_add_co_u32 v0, vcc_lo, v24, v28
	v_add_co_ci_u32_e64 v1, null, 0, v25, vcc_lo
	s_branch .LBB73_98
	.p2align	6
.LBB73_95:                              ;   in Loop: Header=BB73_98 Depth=2
	s_or_b32 exec_lo, exec_lo, s5
	v_readfirstlane_b32 s5, v2
	s_cmp_eq_u32 s5, 0
	s_cbranch_scc1 .LBB73_97
; %bb.96:                               ;   in Loop: Header=BB73_98 Depth=2
	s_sleep 1
	s_cbranch_execnz .LBB73_98
	s_branch .LBB73_100
	.p2align	6
.LBB73_97:                              ;   in Loop: Header=BB73_29 Depth=1
	s_branch .LBB73_100
.LBB73_98:                              ;   Parent Loop BB73_29 Depth=1
                                        ; =>  This Inner Loop Header: Depth=2
	v_mov_b32_e32 v2, 1
	s_and_saveexec_b32 s5, s4
	s_cbranch_execz .LBB73_95
; %bb.99:                               ;   in Loop: Header=BB73_98 Depth=2
	global_load_dword v2, v[26:27], off offset:20 glc dlc
	s_waitcnt vmcnt(0)
	buffer_gl1_inv
	buffer_gl0_inv
	v_and_b32_e32 v2, 1, v2
	s_branch .LBB73_95
.LBB73_100:                             ;   in Loop: Header=BB73_29 Depth=1
	global_load_dwordx2 v[0:1], v[0:1], off
	s_and_saveexec_b32 s18, s4
	s_cbranch_execz .LBB73_28
; %bb.101:                              ;   in Loop: Header=BB73_29 Depth=1
	s_clause 0x2
	global_load_dwordx2 v[2:3], v7, s[6:7] offset:40
	global_load_dwordx2 v[14:15], v7, s[6:7] offset:24 glc dlc
	global_load_dwordx2 v[10:11], v7, s[6:7]
	s_waitcnt vmcnt(2)
	v_readfirstlane_b32 s20, v2
	v_readfirstlane_b32 s21, v3
	s_add_u32 s19, s20, 1
	s_addc_u32 s22, s21, 0
	s_add_u32 s4, s19, s16
	s_addc_u32 s5, s22, s17
	s_cmp_eq_u64 s[4:5], 0
	s_cselect_b32 s5, s22, s5
	s_cselect_b32 s4, s19, s4
	v_mov_b32_e32 v13, s5
	s_and_b64 s[16:17], s[4:5], s[20:21]
	v_mov_b32_e32 v12, s4
	s_mul_i32 s17, s17, 24
	s_mul_hi_u32 s19, s16, 24
	s_mul_i32 s16, s16, 24
	s_add_i32 s19, s19, s17
	s_waitcnt vmcnt(0)
	v_add_co_u32 v2, vcc_lo, v10, s16
	v_add_co_ci_u32_e64 v3, null, s19, v11, vcc_lo
	global_store_dwordx2 v[2:3], v[14:15], off
	s_waitcnt_vscnt null, 0x0
	global_atomic_cmpswap_x2 v[12:13], v7, v[12:15], s[6:7] offset:24 glc
	s_waitcnt vmcnt(0)
	v_cmp_ne_u64_e32 vcc_lo, v[12:13], v[14:15]
	s_and_b32 exec_lo, exec_lo, vcc_lo
	s_cbranch_execz .LBB73_28
; %bb.102:                              ;   in Loop: Header=BB73_29 Depth=1
	s_mov_b32 s16, 0
.LBB73_103:                             ;   Parent Loop BB73_29 Depth=1
                                        ; =>  This Inner Loop Header: Depth=2
	v_mov_b32_e32 v10, s4
	v_mov_b32_e32 v11, s5
	s_sleep 1
	global_store_dwordx2 v[2:3], v[12:13], off
	s_waitcnt_vscnt null, 0x0
	global_atomic_cmpswap_x2 v[10:11], v7, v[10:13], s[6:7] offset:24 glc
	s_waitcnt vmcnt(0)
	v_cmp_eq_u64_e32 vcc_lo, v[10:11], v[12:13]
	v_mov_b32_e32 v13, v11
	v_mov_b32_e32 v12, v10
	s_or_b32 s16, vcc_lo, s16
	s_andn2_b32 exec_lo, exec_lo, s16
	s_cbranch_execnz .LBB73_103
	s_branch .LBB73_28
.LBB73_104:
                                        ; implicit-def: $vgpr0_vgpr1
	s_cbranch_execnz .LBB73_106
	s_branch .LBB73_133
.LBB73_105:
	s_branch .LBB73_133
.LBB73_106:
	v_readfirstlane_b32 s4, v29
	v_mov_b32_e32 v7, 0
	v_mov_b32_e32 v8, 0
	v_cmp_eq_u32_e64 s4, s4, v29
	s_and_saveexec_b32 s5, s4
	s_cbranch_execz .LBB73_112
; %bb.107:
	s_waitcnt vmcnt(0)
	v_mov_b32_e32 v0, 0
	s_mov_b32 s10, exec_lo
	global_load_dwordx2 v[9:10], v0, s[6:7] offset:24 glc dlc
	s_waitcnt vmcnt(0)
	buffer_gl1_inv
	buffer_gl0_inv
	s_clause 0x1
	global_load_dwordx2 v[1:2], v0, s[6:7] offset:40
	global_load_dwordx2 v[6:7], v0, s[6:7]
	s_waitcnt vmcnt(1)
	v_and_b32_e32 v2, v2, v10
	v_and_b32_e32 v1, v1, v9
	v_mul_lo_u32 v2, v2, 24
	v_mul_hi_u32 v3, v1, 24
	v_mul_lo_u32 v1, v1, 24
	v_add_nc_u32_e32 v2, v3, v2
	s_waitcnt vmcnt(0)
	v_add_co_u32 v1, vcc_lo, v6, v1
	v_add_co_ci_u32_e64 v2, null, v7, v2, vcc_lo
	global_load_dwordx2 v[7:8], v[1:2], off glc dlc
	s_waitcnt vmcnt(0)
	global_atomic_cmpswap_x2 v[7:8], v0, v[7:10], s[6:7] offset:24 glc
	s_waitcnt vmcnt(0)
	buffer_gl1_inv
	buffer_gl0_inv
	v_cmpx_ne_u64_e64 v[7:8], v[9:10]
	s_cbranch_execz .LBB73_111
; %bb.108:
	s_mov_b32 s11, 0
	.p2align	6
.LBB73_109:                             ; =>This Inner Loop Header: Depth=1
	s_sleep 1
	s_clause 0x1
	global_load_dwordx2 v[1:2], v0, s[6:7] offset:40
	global_load_dwordx2 v[11:12], v0, s[6:7]
	v_mov_b32_e32 v10, v8
	v_mov_b32_e32 v9, v7
	s_waitcnt vmcnt(1)
	v_and_b32_e32 v1, v1, v9
	v_and_b32_e32 v2, v2, v10
	s_waitcnt vmcnt(0)
	v_mad_u64_u32 v[6:7], null, v1, 24, v[11:12]
	v_mov_b32_e32 v1, v7
	v_mad_u64_u32 v[1:2], null, v2, 24, v[1:2]
	v_mov_b32_e32 v7, v1
	global_load_dwordx2 v[7:8], v[6:7], off glc dlc
	s_waitcnt vmcnt(0)
	global_atomic_cmpswap_x2 v[7:8], v0, v[7:10], s[6:7] offset:24 glc
	s_waitcnt vmcnt(0)
	buffer_gl1_inv
	buffer_gl0_inv
	v_cmp_eq_u64_e32 vcc_lo, v[7:8], v[9:10]
	s_or_b32 s11, vcc_lo, s11
	s_andn2_b32 exec_lo, exec_lo, s11
	s_cbranch_execnz .LBB73_109
; %bb.110:
	s_or_b32 exec_lo, exec_lo, s11
.LBB73_111:
	s_or_b32 exec_lo, exec_lo, s10
.LBB73_112:
	s_or_b32 exec_lo, exec_lo, s5
	v_mov_b32_e32 v6, 0
	v_readfirstlane_b32 s11, v8
	v_readfirstlane_b32 s10, v7
	s_mov_b32 s5, exec_lo
	s_clause 0x1
	global_load_dwordx2 v[9:10], v6, s[6:7] offset:40
	global_load_dwordx4 v[0:3], v6, s[6:7]
	s_waitcnt vmcnt(1)
	v_readfirstlane_b32 s12, v9
	v_readfirstlane_b32 s13, v10
	s_and_b64 s[12:13], s[12:13], s[10:11]
	s_mul_i32 s14, s13, 24
	s_mul_hi_u32 s15, s12, 24
	s_mul_i32 s16, s12, 24
	s_add_i32 s15, s15, s14
	s_waitcnt vmcnt(0)
	v_add_co_u32 v8, vcc_lo, v0, s16
	v_add_co_ci_u32_e64 v9, null, s15, v1, vcc_lo
	s_and_saveexec_b32 s14, s4
	s_cbranch_execz .LBB73_114
; %bb.113:
	v_mov_b32_e32 v10, s5
	v_mov_b32_e32 v11, v6
	v_mov_b32_e32 v12, 2
	v_mov_b32_e32 v13, 1
	global_store_dwordx4 v[8:9], v[10:13], off offset:8
.LBB73_114:
	s_or_b32 exec_lo, exec_lo, s14
	s_lshl_b64 s[12:13], s[12:13], 12
	v_and_or_b32 v4, 0xffffff1f, v4, 32
	v_add_co_u32 v2, vcc_lo, v2, s12
	v_add_co_ci_u32_e64 v3, null, s13, v3, vcc_lo
	s_mov_b32 s12, 0
	v_add_co_u32 v10, vcc_lo, v2, v28
	s_mov_b32 s13, s12
	s_mov_b32 s14, s12
	;; [unrolled: 1-line block ×3, first 2 shown]
	v_mov_b32_e32 v7, v6
	v_readfirstlane_b32 s16, v2
	v_readfirstlane_b32 s17, v3
	v_mov_b32_e32 v12, s12
	v_add_co_ci_u32_e64 v11, null, 0, v3, vcc_lo
	v_mov_b32_e32 v13, s13
	v_mov_b32_e32 v14, s14
	;; [unrolled: 1-line block ×3, first 2 shown]
	global_store_dwordx4 v28, v[4:7], s[16:17]
	global_store_dwordx4 v28, v[12:15], s[16:17] offset:16
	global_store_dwordx4 v28, v[12:15], s[16:17] offset:32
	;; [unrolled: 1-line block ×3, first 2 shown]
	s_and_saveexec_b32 s5, s4
	s_cbranch_execz .LBB73_122
; %bb.115:
	v_mov_b32_e32 v6, 0
	v_mov_b32_e32 v12, s10
	;; [unrolled: 1-line block ×3, first 2 shown]
	s_clause 0x1
	global_load_dwordx2 v[14:15], v6, s[6:7] offset:32 glc dlc
	global_load_dwordx2 v[2:3], v6, s[6:7] offset:40
	s_waitcnt vmcnt(0)
	v_readfirstlane_b32 s12, v2
	v_readfirstlane_b32 s13, v3
	s_and_b64 s[12:13], s[12:13], s[10:11]
	s_mul_i32 s13, s13, 24
	s_mul_hi_u32 s14, s12, 24
	s_mul_i32 s12, s12, 24
	s_add_i32 s14, s14, s13
	v_add_co_u32 v4, vcc_lo, v0, s12
	v_add_co_ci_u32_e64 v5, null, s14, v1, vcc_lo
	s_mov_b32 s12, exec_lo
	global_store_dwordx2 v[4:5], v[14:15], off
	s_waitcnt_vscnt null, 0x0
	global_atomic_cmpswap_x2 v[2:3], v6, v[12:15], s[6:7] offset:32 glc
	s_waitcnt vmcnt(0)
	v_cmpx_ne_u64_e64 v[2:3], v[14:15]
	s_cbranch_execz .LBB73_118
; %bb.116:
	s_mov_b32 s13, 0
.LBB73_117:                             ; =>This Inner Loop Header: Depth=1
	v_mov_b32_e32 v0, s10
	v_mov_b32_e32 v1, s11
	s_sleep 1
	global_store_dwordx2 v[4:5], v[2:3], off
	s_waitcnt_vscnt null, 0x0
	global_atomic_cmpswap_x2 v[0:1], v6, v[0:3], s[6:7] offset:32 glc
	s_waitcnt vmcnt(0)
	v_cmp_eq_u64_e32 vcc_lo, v[0:1], v[2:3]
	v_mov_b32_e32 v3, v1
	v_mov_b32_e32 v2, v0
	s_or_b32 s13, vcc_lo, s13
	s_andn2_b32 exec_lo, exec_lo, s13
	s_cbranch_execnz .LBB73_117
.LBB73_118:
	s_or_b32 exec_lo, exec_lo, s12
	v_mov_b32_e32 v3, 0
	s_mov_b32 s13, exec_lo
	s_mov_b32 s12, exec_lo
	v_mbcnt_lo_u32_b32 v2, s13, 0
	global_load_dwordx2 v[0:1], v3, s[6:7] offset:16
	v_cmpx_eq_u32_e32 0, v2
	s_cbranch_execz .LBB73_120
; %bb.119:
	s_bcnt1_i32_b32 s13, s13
	v_mov_b32_e32 v2, s13
	s_waitcnt vmcnt(0)
	global_atomic_add_x2 v[0:1], v[2:3], off offset:8
.LBB73_120:
	s_or_b32 exec_lo, exec_lo, s12
	s_waitcnt vmcnt(0)
	global_load_dwordx2 v[2:3], v[0:1], off offset:16
	s_waitcnt vmcnt(0)
	v_cmp_eq_u64_e32 vcc_lo, 0, v[2:3]
	s_cbranch_vccnz .LBB73_122
; %bb.121:
	global_load_dword v0, v[0:1], off offset:24
	v_mov_b32_e32 v1, 0
	s_waitcnt vmcnt(0)
	v_readfirstlane_b32 s12, v0
	s_waitcnt_vscnt null, 0x0
	global_store_dwordx2 v[2:3], v[0:1], off
	s_and_b32 m0, s12, 0x7fffff
	s_sendmsg sendmsg(MSG_INTERRUPT)
.LBB73_122:
	s_or_b32 exec_lo, exec_lo, s5
	s_branch .LBB73_126
	.p2align	6
.LBB73_123:                             ;   in Loop: Header=BB73_126 Depth=1
	s_or_b32 exec_lo, exec_lo, s5
	v_readfirstlane_b32 s5, v0
	s_cmp_eq_u32 s5, 0
	s_cbranch_scc1 .LBB73_125
; %bb.124:                              ;   in Loop: Header=BB73_126 Depth=1
	s_sleep 1
	s_cbranch_execnz .LBB73_126
	s_branch .LBB73_128
	.p2align	6
.LBB73_125:
	s_branch .LBB73_128
.LBB73_126:                             ; =>This Inner Loop Header: Depth=1
	v_mov_b32_e32 v0, 1
	s_and_saveexec_b32 s5, s4
	s_cbranch_execz .LBB73_123
; %bb.127:                              ;   in Loop: Header=BB73_126 Depth=1
	global_load_dword v0, v[8:9], off offset:20 glc dlc
	s_waitcnt vmcnt(0)
	buffer_gl1_inv
	buffer_gl0_inv
	v_and_b32_e32 v0, 1, v0
	s_branch .LBB73_123
.LBB73_128:
	global_load_dwordx2 v[0:1], v[10:11], off
	s_and_saveexec_b32 s12, s4
	s_cbranch_execz .LBB73_132
; %bb.129:
	v_mov_b32_e32 v8, 0
	s_clause 0x2
	global_load_dwordx2 v[2:3], v8, s[6:7] offset:40
	global_load_dwordx2 v[11:12], v8, s[6:7] offset:24 glc dlc
	global_load_dwordx2 v[4:5], v8, s[6:7]
	s_waitcnt vmcnt(2)
	v_readfirstlane_b32 s14, v2
	v_readfirstlane_b32 s15, v3
	s_add_u32 s13, s14, 1
	s_addc_u32 s16, s15, 0
	s_add_u32 s4, s13, s10
	s_addc_u32 s5, s16, s11
	s_cmp_eq_u64 s[4:5], 0
	s_cselect_b32 s5, s16, s5
	s_cselect_b32 s4, s13, s4
	v_mov_b32_e32 v10, s5
	s_and_b64 s[10:11], s[4:5], s[14:15]
	v_mov_b32_e32 v9, s4
	s_mul_i32 s11, s11, 24
	s_mul_hi_u32 s13, s10, 24
	s_mul_i32 s10, s10, 24
	s_add_i32 s13, s13, s11
	s_waitcnt vmcnt(0)
	v_add_co_u32 v6, vcc_lo, v4, s10
	v_add_co_ci_u32_e64 v7, null, s13, v5, vcc_lo
	global_store_dwordx2 v[6:7], v[11:12], off
	s_waitcnt_vscnt null, 0x0
	global_atomic_cmpswap_x2 v[4:5], v8, v[9:12], s[6:7] offset:24 glc
	s_waitcnt vmcnt(0)
	v_cmp_ne_u64_e32 vcc_lo, v[4:5], v[11:12]
	s_and_b32 exec_lo, exec_lo, vcc_lo
	s_cbranch_execz .LBB73_132
; %bb.130:
	s_mov_b32 s10, 0
.LBB73_131:                             ; =>This Inner Loop Header: Depth=1
	v_mov_b32_e32 v2, s4
	v_mov_b32_e32 v3, s5
	s_sleep 1
	global_store_dwordx2 v[6:7], v[4:5], off
	s_waitcnt_vscnt null, 0x0
	global_atomic_cmpswap_x2 v[2:3], v8, v[2:5], s[6:7] offset:24 glc
	s_waitcnt vmcnt(0)
	v_cmp_eq_u64_e32 vcc_lo, v[2:3], v[4:5]
	v_mov_b32_e32 v5, v3
	v_mov_b32_e32 v4, v2
	s_or_b32 s10, vcc_lo, s10
	s_andn2_b32 exec_lo, exec_lo, s10
	s_cbranch_execnz .LBB73_131
.LBB73_132:
	s_or_b32 exec_lo, exec_lo, s12
.LBB73_133:
	s_getpc_b64 s[4:5]
	s_add_u32 s4, s4, .str.3@rel32@lo+4
	s_addc_u32 s5, s5, .str.3@rel32@hi+12
	s_mov_b64 s[10:11], 0
	s_cmp_lg_u64 s[4:5], 0
	s_cselect_b32 s12, -1, 0
	s_cmp_eq_u64 s[4:5], 0
	s_cbranch_scc1 .LBB73_137
; %bb.134:
	v_mov_b32_e32 v2, 0
	s_getpc_b64 s[4:5]
	s_add_u32 s4, s4, .str.3@rel32@lo+3
	s_addc_u32 s5, s5, .str.3@rel32@hi+11
.LBB73_135:                             ; =>This Inner Loop Header: Depth=1
	global_load_ubyte v3, v2, s[4:5] offset:1
	s_add_u32 s10, s4, 1
	s_addc_u32 s11, s5, 0
	s_mov_b64 s[4:5], s[10:11]
	s_waitcnt vmcnt(0)
	v_cmp_ne_u32_e32 vcc_lo, 0, v3
	s_cbranch_vccnz .LBB73_135
; %bb.136:
	s_getpc_b64 s[4:5]
	s_add_u32 s4, s4, .str.3@rel32@lo+4
	s_addc_u32 s5, s5, .str.3@rel32@hi+12
	s_sub_u32 s4, s10, s4
	s_subb_u32 s5, s11, s5
	s_add_u32 s10, s4, 1
	s_addc_u32 s11, s5, 0
.LBB73_137:
	s_and_b32 vcc_lo, exec_lo, s12
	s_cbranch_vccz .LBB73_215
; %bb.138:
	s_waitcnt vmcnt(0)
	v_and_b32_e32 v30, 2, v0
	v_mov_b32_e32 v7, 0
	v_and_b32_e32 v2, -3, v0
	v_mov_b32_e32 v3, v1
	v_mov_b32_e32 v8, 2
	;; [unrolled: 1-line block ×3, first 2 shown]
	s_getpc_b64 s[12:13]
	s_add_u32 s12, s12, .str.3@rel32@lo+4
	s_addc_u32 s13, s13, .str.3@rel32@hi+12
	s_branch .LBB73_140
.LBB73_139:                             ;   in Loop: Header=BB73_140 Depth=1
	s_or_b32 exec_lo, exec_lo, s18
	s_sub_u32 s10, s10, s14
	s_subb_u32 s11, s11, s15
	s_add_u32 s12, s12, s14
	s_addc_u32 s13, s13, s15
	s_cmp_lg_u64 s[10:11], 0
	s_cbranch_scc0 .LBB73_216
.LBB73_140:                             ; =>This Loop Header: Depth=1
                                        ;     Child Loop BB73_143 Depth 2
                                        ;     Child Loop BB73_150 Depth 2
                                        ;     Child Loop BB73_157 Depth 2
                                        ;     Child Loop BB73_164 Depth 2
                                        ;     Child Loop BB73_171 Depth 2
                                        ;     Child Loop BB73_178 Depth 2
                                        ;     Child Loop BB73_185 Depth 2
                                        ;     Child Loop BB73_192 Depth 2
                                        ;     Child Loop BB73_200 Depth 2
                                        ;     Child Loop BB73_209 Depth 2
                                        ;     Child Loop BB73_214 Depth 2
	v_cmp_lt_u64_e64 s4, s[10:11], 56
	v_cmp_gt_u64_e64 s16, s[10:11], 7
	s_and_b32 s4, s4, exec_lo
	s_cselect_b32 s15, s11, 0
	s_cselect_b32 s14, s10, 56
	s_add_u32 s4, s12, 8
	s_addc_u32 s5, s13, 0
	s_and_b32 vcc_lo, exec_lo, s16
	s_cbranch_vccnz .LBB73_145
; %bb.141:                              ;   in Loop: Header=BB73_140 Depth=1
	v_mov_b32_e32 v4, 0
	v_mov_b32_e32 v5, 0
	s_cmp_eq_u64 s[10:11], 0
	s_cbranch_scc1 .LBB73_144
; %bb.142:                              ;   in Loop: Header=BB73_140 Depth=1
	s_lshl_b64 s[4:5], s[14:15], 3
	s_mov_b64 s[16:17], 0
	s_mov_b64 s[18:19], s[12:13]
.LBB73_143:                             ;   Parent Loop BB73_140 Depth=1
                                        ; =>  This Inner Loop Header: Depth=2
	global_load_ubyte v6, v7, s[18:19]
	s_waitcnt vmcnt(0)
	v_and_b32_e32 v6, 0xffff, v6
	v_lshlrev_b64 v[10:11], s16, v[6:7]
	s_add_u32 s16, s16, 8
	s_addc_u32 s17, s17, 0
	s_add_u32 s18, s18, 1
	s_addc_u32 s19, s19, 0
	s_cmp_lg_u32 s4, s16
	v_or_b32_e32 v4, v10, v4
	v_or_b32_e32 v5, v11, v5
	s_cbranch_scc1 .LBB73_143
.LBB73_144:                             ;   in Loop: Header=BB73_140 Depth=1
	s_mov_b64 s[4:5], s[12:13]
	s_mov_b32 s20, 0
	s_cbranch_execz .LBB73_146
	s_branch .LBB73_147
.LBB73_145:                             ;   in Loop: Header=BB73_140 Depth=1
	s_mov_b32 s20, 0
.LBB73_146:                             ;   in Loop: Header=BB73_140 Depth=1
	global_load_dwordx2 v[4:5], v7, s[12:13]
	s_add_i32 s20, s14, -8
.LBB73_147:                             ;   in Loop: Header=BB73_140 Depth=1
	s_add_u32 s16, s4, 8
	s_addc_u32 s17, s5, 0
	s_cmp_gt_u32 s20, 7
	s_cbranch_scc1 .LBB73_152
; %bb.148:                              ;   in Loop: Header=BB73_140 Depth=1
	v_mov_b32_e32 v10, 0
	v_mov_b32_e32 v11, 0
	s_cmp_eq_u32 s20, 0
	s_cbranch_scc1 .LBB73_151
; %bb.149:                              ;   in Loop: Header=BB73_140 Depth=1
	s_mov_b64 s[16:17], 0
	s_mov_b64 s[18:19], 0
.LBB73_150:                             ;   Parent Loop BB73_140 Depth=1
                                        ; =>  This Inner Loop Header: Depth=2
	s_add_u32 s22, s4, s18
	s_addc_u32 s23, s5, s19
	s_add_u32 s18, s18, 1
	global_load_ubyte v6, v7, s[22:23]
	s_addc_u32 s19, s19, 0
	s_waitcnt vmcnt(0)
	v_and_b32_e32 v6, 0xffff, v6
	v_lshlrev_b64 v[12:13], s16, v[6:7]
	s_add_u32 s16, s16, 8
	s_addc_u32 s17, s17, 0
	s_cmp_lg_u32 s20, s18
	v_or_b32_e32 v10, v12, v10
	v_or_b32_e32 v11, v13, v11
	s_cbranch_scc1 .LBB73_150
.LBB73_151:                             ;   in Loop: Header=BB73_140 Depth=1
	s_mov_b64 s[16:17], s[4:5]
	s_mov_b32 s21, 0
	s_cbranch_execz .LBB73_153
	s_branch .LBB73_154
.LBB73_152:                             ;   in Loop: Header=BB73_140 Depth=1
                                        ; implicit-def: $vgpr10_vgpr11
	s_mov_b32 s21, 0
.LBB73_153:                             ;   in Loop: Header=BB73_140 Depth=1
	global_load_dwordx2 v[10:11], v7, s[4:5]
	s_add_i32 s21, s20, -8
.LBB73_154:                             ;   in Loop: Header=BB73_140 Depth=1
	s_add_u32 s4, s16, 8
	s_addc_u32 s5, s17, 0
	s_cmp_gt_u32 s21, 7
	s_cbranch_scc1 .LBB73_159
; %bb.155:                              ;   in Loop: Header=BB73_140 Depth=1
	v_mov_b32_e32 v12, 0
	v_mov_b32_e32 v13, 0
	s_cmp_eq_u32 s21, 0
	s_cbranch_scc1 .LBB73_158
; %bb.156:                              ;   in Loop: Header=BB73_140 Depth=1
	s_mov_b64 s[4:5], 0
	s_mov_b64 s[18:19], 0
.LBB73_157:                             ;   Parent Loop BB73_140 Depth=1
                                        ; =>  This Inner Loop Header: Depth=2
	s_add_u32 s22, s16, s18
	s_addc_u32 s23, s17, s19
	s_add_u32 s18, s18, 1
	global_load_ubyte v6, v7, s[22:23]
	s_addc_u32 s19, s19, 0
	s_waitcnt vmcnt(0)
	v_and_b32_e32 v6, 0xffff, v6
	v_lshlrev_b64 v[14:15], s4, v[6:7]
	s_add_u32 s4, s4, 8
	s_addc_u32 s5, s5, 0
	s_cmp_lg_u32 s21, s18
	v_or_b32_e32 v12, v14, v12
	v_or_b32_e32 v13, v15, v13
	s_cbranch_scc1 .LBB73_157
.LBB73_158:                             ;   in Loop: Header=BB73_140 Depth=1
	s_mov_b64 s[4:5], s[16:17]
	s_mov_b32 s20, 0
	s_cbranch_execz .LBB73_160
	s_branch .LBB73_161
.LBB73_159:                             ;   in Loop: Header=BB73_140 Depth=1
	s_mov_b32 s20, 0
.LBB73_160:                             ;   in Loop: Header=BB73_140 Depth=1
	global_load_dwordx2 v[12:13], v7, s[16:17]
	s_add_i32 s20, s21, -8
.LBB73_161:                             ;   in Loop: Header=BB73_140 Depth=1
	s_add_u32 s16, s4, 8
	s_addc_u32 s17, s5, 0
	s_cmp_gt_u32 s20, 7
	s_cbranch_scc1 .LBB73_166
; %bb.162:                              ;   in Loop: Header=BB73_140 Depth=1
	v_mov_b32_e32 v14, 0
	v_mov_b32_e32 v15, 0
	s_cmp_eq_u32 s20, 0
	s_cbranch_scc1 .LBB73_165
; %bb.163:                              ;   in Loop: Header=BB73_140 Depth=1
	s_mov_b64 s[16:17], 0
	s_mov_b64 s[18:19], 0
.LBB73_164:                             ;   Parent Loop BB73_140 Depth=1
                                        ; =>  This Inner Loop Header: Depth=2
	s_add_u32 s22, s4, s18
	s_addc_u32 s23, s5, s19
	s_add_u32 s18, s18, 1
	global_load_ubyte v6, v7, s[22:23]
	s_addc_u32 s19, s19, 0
	s_waitcnt vmcnt(0)
	v_and_b32_e32 v6, 0xffff, v6
	v_lshlrev_b64 v[16:17], s16, v[6:7]
	s_add_u32 s16, s16, 8
	s_addc_u32 s17, s17, 0
	s_cmp_lg_u32 s20, s18
	v_or_b32_e32 v14, v16, v14
	v_or_b32_e32 v15, v17, v15
	s_cbranch_scc1 .LBB73_164
.LBB73_165:                             ;   in Loop: Header=BB73_140 Depth=1
	s_mov_b64 s[16:17], s[4:5]
	s_mov_b32 s21, 0
	s_cbranch_execz .LBB73_167
	s_branch .LBB73_168
.LBB73_166:                             ;   in Loop: Header=BB73_140 Depth=1
                                        ; implicit-def: $vgpr14_vgpr15
	s_mov_b32 s21, 0
.LBB73_167:                             ;   in Loop: Header=BB73_140 Depth=1
	global_load_dwordx2 v[14:15], v7, s[4:5]
	s_add_i32 s21, s20, -8
.LBB73_168:                             ;   in Loop: Header=BB73_140 Depth=1
	s_add_u32 s4, s16, 8
	s_addc_u32 s5, s17, 0
	s_cmp_gt_u32 s21, 7
	s_cbranch_scc1 .LBB73_173
; %bb.169:                              ;   in Loop: Header=BB73_140 Depth=1
	v_mov_b32_e32 v16, 0
	v_mov_b32_e32 v17, 0
	s_cmp_eq_u32 s21, 0
	s_cbranch_scc1 .LBB73_172
; %bb.170:                              ;   in Loop: Header=BB73_140 Depth=1
	s_mov_b64 s[4:5], 0
	s_mov_b64 s[18:19], 0
.LBB73_171:                             ;   Parent Loop BB73_140 Depth=1
                                        ; =>  This Inner Loop Header: Depth=2
	s_add_u32 s22, s16, s18
	s_addc_u32 s23, s17, s19
	s_add_u32 s18, s18, 1
	global_load_ubyte v6, v7, s[22:23]
	s_addc_u32 s19, s19, 0
	s_waitcnt vmcnt(0)
	v_and_b32_e32 v6, 0xffff, v6
	v_lshlrev_b64 v[18:19], s4, v[6:7]
	s_add_u32 s4, s4, 8
	s_addc_u32 s5, s5, 0
	s_cmp_lg_u32 s21, s18
	v_or_b32_e32 v16, v18, v16
	v_or_b32_e32 v17, v19, v17
	s_cbranch_scc1 .LBB73_171
.LBB73_172:                             ;   in Loop: Header=BB73_140 Depth=1
	s_mov_b64 s[4:5], s[16:17]
	s_mov_b32 s20, 0
	s_cbranch_execz .LBB73_174
	s_branch .LBB73_175
.LBB73_173:                             ;   in Loop: Header=BB73_140 Depth=1
	s_mov_b32 s20, 0
.LBB73_174:                             ;   in Loop: Header=BB73_140 Depth=1
	global_load_dwordx2 v[16:17], v7, s[16:17]
	s_add_i32 s20, s21, -8
.LBB73_175:                             ;   in Loop: Header=BB73_140 Depth=1
	s_add_u32 s16, s4, 8
	s_addc_u32 s17, s5, 0
	s_cmp_gt_u32 s20, 7
	s_cbranch_scc1 .LBB73_180
; %bb.176:                              ;   in Loop: Header=BB73_140 Depth=1
	v_mov_b32_e32 v18, 0
	v_mov_b32_e32 v19, 0
	s_cmp_eq_u32 s20, 0
	s_cbranch_scc1 .LBB73_179
; %bb.177:                              ;   in Loop: Header=BB73_140 Depth=1
	s_mov_b64 s[16:17], 0
	s_mov_b64 s[18:19], 0
.LBB73_178:                             ;   Parent Loop BB73_140 Depth=1
                                        ; =>  This Inner Loop Header: Depth=2
	s_add_u32 s22, s4, s18
	s_addc_u32 s23, s5, s19
	s_add_u32 s18, s18, 1
	global_load_ubyte v6, v7, s[22:23]
	s_addc_u32 s19, s19, 0
	s_waitcnt vmcnt(0)
	v_and_b32_e32 v6, 0xffff, v6
	v_lshlrev_b64 v[20:21], s16, v[6:7]
	s_add_u32 s16, s16, 8
	s_addc_u32 s17, s17, 0
	s_cmp_lg_u32 s20, s18
	v_or_b32_e32 v18, v20, v18
	v_or_b32_e32 v19, v21, v19
	s_cbranch_scc1 .LBB73_178
.LBB73_179:                             ;   in Loop: Header=BB73_140 Depth=1
	s_mov_b64 s[16:17], s[4:5]
	s_mov_b32 s21, 0
	s_cbranch_execz .LBB73_181
	s_branch .LBB73_182
.LBB73_180:                             ;   in Loop: Header=BB73_140 Depth=1
                                        ; implicit-def: $vgpr18_vgpr19
	s_mov_b32 s21, 0
.LBB73_181:                             ;   in Loop: Header=BB73_140 Depth=1
	global_load_dwordx2 v[18:19], v7, s[4:5]
	s_add_i32 s21, s20, -8
.LBB73_182:                             ;   in Loop: Header=BB73_140 Depth=1
	s_cmp_gt_u32 s21, 7
	s_cbranch_scc1 .LBB73_187
; %bb.183:                              ;   in Loop: Header=BB73_140 Depth=1
	v_mov_b32_e32 v20, 0
	v_mov_b32_e32 v21, 0
	s_cmp_eq_u32 s21, 0
	s_cbranch_scc1 .LBB73_186
; %bb.184:                              ;   in Loop: Header=BB73_140 Depth=1
	s_mov_b64 s[4:5], 0
	s_mov_b64 s[18:19], s[16:17]
.LBB73_185:                             ;   Parent Loop BB73_140 Depth=1
                                        ; =>  This Inner Loop Header: Depth=2
	global_load_ubyte v6, v7, s[18:19]
	s_add_i32 s21, s21, -1
	s_waitcnt vmcnt(0)
	v_and_b32_e32 v6, 0xffff, v6
	v_lshlrev_b64 v[22:23], s4, v[6:7]
	s_add_u32 s4, s4, 8
	s_addc_u32 s5, s5, 0
	s_add_u32 s18, s18, 1
	s_addc_u32 s19, s19, 0
	s_cmp_lg_u32 s21, 0
	v_or_b32_e32 v20, v22, v20
	v_or_b32_e32 v21, v23, v21
	s_cbranch_scc1 .LBB73_185
.LBB73_186:                             ;   in Loop: Header=BB73_140 Depth=1
	s_cbranch_execz .LBB73_188
	s_branch .LBB73_189
.LBB73_187:                             ;   in Loop: Header=BB73_140 Depth=1
.LBB73_188:                             ;   in Loop: Header=BB73_140 Depth=1
	global_load_dwordx2 v[20:21], v7, s[16:17]
.LBB73_189:                             ;   in Loop: Header=BB73_140 Depth=1
	v_readfirstlane_b32 s4, v29
	v_mov_b32_e32 v26, 0
	v_mov_b32_e32 v27, 0
	v_cmp_eq_u32_e64 s4, s4, v29
	s_and_saveexec_b32 s5, s4
	s_cbranch_execz .LBB73_195
; %bb.190:                              ;   in Loop: Header=BB73_140 Depth=1
	global_load_dwordx2 v[24:25], v7, s[6:7] offset:24 glc dlc
	s_waitcnt vmcnt(0)
	buffer_gl1_inv
	buffer_gl0_inv
	s_clause 0x1
	global_load_dwordx2 v[22:23], v7, s[6:7] offset:40
	global_load_dwordx2 v[26:27], v7, s[6:7]
	s_mov_b32 s16, exec_lo
	s_waitcnt vmcnt(1)
	v_and_b32_e32 v6, v23, v25
	v_and_b32_e32 v22, v22, v24
	v_mul_lo_u32 v6, v6, 24
	v_mul_hi_u32 v23, v22, 24
	v_mul_lo_u32 v22, v22, 24
	v_add_nc_u32_e32 v6, v23, v6
	s_waitcnt vmcnt(0)
	v_add_co_u32 v22, vcc_lo, v26, v22
	v_add_co_ci_u32_e64 v23, null, v27, v6, vcc_lo
	global_load_dwordx2 v[22:23], v[22:23], off glc dlc
	s_waitcnt vmcnt(0)
	global_atomic_cmpswap_x2 v[26:27], v7, v[22:25], s[6:7] offset:24 glc
	s_waitcnt vmcnt(0)
	buffer_gl1_inv
	buffer_gl0_inv
	v_cmpx_ne_u64_e64 v[26:27], v[24:25]
	s_cbranch_execz .LBB73_194
; %bb.191:                              ;   in Loop: Header=BB73_140 Depth=1
	s_mov_b32 s17, 0
	.p2align	6
.LBB73_192:                             ;   Parent Loop BB73_140 Depth=1
                                        ; =>  This Inner Loop Header: Depth=2
	s_sleep 1
	s_clause 0x1
	global_load_dwordx2 v[22:23], v7, s[6:7] offset:40
	global_load_dwordx2 v[31:32], v7, s[6:7]
	v_mov_b32_e32 v24, v26
	v_mov_b32_e32 v25, v27
	s_waitcnt vmcnt(1)
	v_and_b32_e32 v6, v22, v24
	v_and_b32_e32 v22, v23, v25
	s_waitcnt vmcnt(0)
	v_mad_u64_u32 v[26:27], null, v6, 24, v[31:32]
	v_mov_b32_e32 v6, v27
	v_mad_u64_u32 v[22:23], null, v22, 24, v[6:7]
	v_mov_b32_e32 v27, v22
	global_load_dwordx2 v[22:23], v[26:27], off glc dlc
	s_waitcnt vmcnt(0)
	global_atomic_cmpswap_x2 v[26:27], v7, v[22:25], s[6:7] offset:24 glc
	s_waitcnt vmcnt(0)
	buffer_gl1_inv
	buffer_gl0_inv
	v_cmp_eq_u64_e32 vcc_lo, v[26:27], v[24:25]
	s_or_b32 s17, vcc_lo, s17
	s_andn2_b32 exec_lo, exec_lo, s17
	s_cbranch_execnz .LBB73_192
; %bb.193:                              ;   in Loop: Header=BB73_140 Depth=1
	s_or_b32 exec_lo, exec_lo, s17
.LBB73_194:                             ;   in Loop: Header=BB73_140 Depth=1
	s_or_b32 exec_lo, exec_lo, s16
.LBB73_195:                             ;   in Loop: Header=BB73_140 Depth=1
	s_or_b32 exec_lo, exec_lo, s5
	s_clause 0x1
	global_load_dwordx2 v[31:32], v7, s[6:7] offset:40
	global_load_dwordx4 v[22:25], v7, s[6:7]
	v_readfirstlane_b32 s17, v27
	v_readfirstlane_b32 s16, v26
	s_mov_b32 s5, exec_lo
	s_waitcnt vmcnt(1)
	v_readfirstlane_b32 s18, v31
	v_readfirstlane_b32 s19, v32
	s_and_b64 s[18:19], s[18:19], s[16:17]
	s_mul_i32 s20, s19, 24
	s_mul_hi_u32 s21, s18, 24
	s_mul_i32 s22, s18, 24
	s_add_i32 s21, s21, s20
	s_waitcnt vmcnt(0)
	v_add_co_u32 v26, vcc_lo, v22, s22
	v_add_co_ci_u32_e64 v27, null, s21, v23, vcc_lo
	s_and_saveexec_b32 s20, s4
	s_cbranch_execz .LBB73_197
; %bb.196:                              ;   in Loop: Header=BB73_140 Depth=1
	v_mov_b32_e32 v6, s5
	global_store_dwordx4 v[26:27], v[6:9], off offset:8
.LBB73_197:                             ;   in Loop: Header=BB73_140 Depth=1
	s_or_b32 exec_lo, exec_lo, s20
	v_cmp_lt_u64_e64 vcc_lo, s[10:11], 57
	s_lshl_b64 s[18:19], s[18:19], 12
	v_and_b32_e32 v2, 0xffffff1f, v2
	s_lshl_b32 s5, s14, 2
	s_add_i32 s5, s5, 28
	v_cndmask_b32_e32 v6, 0, v30, vcc_lo
	v_add_co_u32 v24, vcc_lo, v24, s18
	v_add_co_ci_u32_e64 v25, null, s19, v25, vcc_lo
	v_or_b32_e32 v2, v2, v6
	v_readfirstlane_b32 s18, v24
	v_readfirstlane_b32 s19, v25
	v_and_or_b32 v2, 0x1e0, s5, v2
	global_store_dwordx4 v28, v[10:13], s[18:19] offset:16
	global_store_dwordx4 v28, v[2:5], s[18:19]
	global_store_dwordx4 v28, v[14:17], s[18:19] offset:32
	global_store_dwordx4 v28, v[18:21], s[18:19] offset:48
	s_and_saveexec_b32 s5, s4
	s_cbranch_execz .LBB73_205
; %bb.198:                              ;   in Loop: Header=BB73_140 Depth=1
	s_clause 0x1
	global_load_dwordx2 v[14:15], v7, s[6:7] offset:32 glc dlc
	global_load_dwordx2 v[2:3], v7, s[6:7] offset:40
	v_mov_b32_e32 v12, s16
	v_mov_b32_e32 v13, s17
	s_waitcnt vmcnt(0)
	v_readfirstlane_b32 s18, v2
	v_readfirstlane_b32 s19, v3
	s_and_b64 s[18:19], s[18:19], s[16:17]
	s_mul_i32 s19, s19, 24
	s_mul_hi_u32 s20, s18, 24
	s_mul_i32 s18, s18, 24
	s_add_i32 s20, s20, s19
	v_add_co_u32 v10, vcc_lo, v22, s18
	v_add_co_ci_u32_e64 v11, null, s20, v23, vcc_lo
	s_mov_b32 s18, exec_lo
	global_store_dwordx2 v[10:11], v[14:15], off
	s_waitcnt_vscnt null, 0x0
	global_atomic_cmpswap_x2 v[4:5], v7, v[12:15], s[6:7] offset:32 glc
	s_waitcnt vmcnt(0)
	v_cmpx_ne_u64_e64 v[4:5], v[14:15]
	s_cbranch_execz .LBB73_201
; %bb.199:                              ;   in Loop: Header=BB73_140 Depth=1
	s_mov_b32 s19, 0
.LBB73_200:                             ;   Parent Loop BB73_140 Depth=1
                                        ; =>  This Inner Loop Header: Depth=2
	v_mov_b32_e32 v2, s16
	v_mov_b32_e32 v3, s17
	s_sleep 1
	global_store_dwordx2 v[10:11], v[4:5], off
	s_waitcnt_vscnt null, 0x0
	global_atomic_cmpswap_x2 v[2:3], v7, v[2:5], s[6:7] offset:32 glc
	s_waitcnt vmcnt(0)
	v_cmp_eq_u64_e32 vcc_lo, v[2:3], v[4:5]
	v_mov_b32_e32 v5, v3
	v_mov_b32_e32 v4, v2
	s_or_b32 s19, vcc_lo, s19
	s_andn2_b32 exec_lo, exec_lo, s19
	s_cbranch_execnz .LBB73_200
.LBB73_201:                             ;   in Loop: Header=BB73_140 Depth=1
	s_or_b32 exec_lo, exec_lo, s18
	global_load_dwordx2 v[2:3], v7, s[6:7] offset:16
	s_mov_b32 s19, exec_lo
	s_mov_b32 s18, exec_lo
	v_mbcnt_lo_u32_b32 v4, s19, 0
	v_cmpx_eq_u32_e32 0, v4
	s_cbranch_execz .LBB73_203
; %bb.202:                              ;   in Loop: Header=BB73_140 Depth=1
	s_bcnt1_i32_b32 s19, s19
	v_mov_b32_e32 v6, s19
	s_waitcnt vmcnt(0)
	global_atomic_add_x2 v[2:3], v[6:7], off offset:8
.LBB73_203:                             ;   in Loop: Header=BB73_140 Depth=1
	s_or_b32 exec_lo, exec_lo, s18
	s_waitcnt vmcnt(0)
	global_load_dwordx2 v[4:5], v[2:3], off offset:16
	s_waitcnt vmcnt(0)
	v_cmp_eq_u64_e32 vcc_lo, 0, v[4:5]
	s_cbranch_vccnz .LBB73_205
; %bb.204:                              ;   in Loop: Header=BB73_140 Depth=1
	global_load_dword v6, v[2:3], off offset:24
	s_waitcnt vmcnt(0)
	v_readfirstlane_b32 s18, v6
	s_waitcnt_vscnt null, 0x0
	global_store_dwordx2 v[4:5], v[6:7], off
	s_and_b32 m0, s18, 0x7fffff
	s_sendmsg sendmsg(MSG_INTERRUPT)
.LBB73_205:                             ;   in Loop: Header=BB73_140 Depth=1
	s_or_b32 exec_lo, exec_lo, s5
	v_add_co_u32 v2, vcc_lo, v24, v28
	v_add_co_ci_u32_e64 v3, null, 0, v25, vcc_lo
	s_branch .LBB73_209
	.p2align	6
.LBB73_206:                             ;   in Loop: Header=BB73_209 Depth=2
	s_or_b32 exec_lo, exec_lo, s5
	v_readfirstlane_b32 s5, v4
	s_cmp_eq_u32 s5, 0
	s_cbranch_scc1 .LBB73_208
; %bb.207:                              ;   in Loop: Header=BB73_209 Depth=2
	s_sleep 1
	s_cbranch_execnz .LBB73_209
	s_branch .LBB73_211
	.p2align	6
.LBB73_208:                             ;   in Loop: Header=BB73_140 Depth=1
	s_branch .LBB73_211
.LBB73_209:                             ;   Parent Loop BB73_140 Depth=1
                                        ; =>  This Inner Loop Header: Depth=2
	v_mov_b32_e32 v4, 1
	s_and_saveexec_b32 s5, s4
	s_cbranch_execz .LBB73_206
; %bb.210:                              ;   in Loop: Header=BB73_209 Depth=2
	global_load_dword v4, v[26:27], off offset:20 glc dlc
	s_waitcnt vmcnt(0)
	buffer_gl1_inv
	buffer_gl0_inv
	v_and_b32_e32 v4, 1, v4
	s_branch .LBB73_206
.LBB73_211:                             ;   in Loop: Header=BB73_140 Depth=1
	global_load_dwordx2 v[2:3], v[2:3], off
	s_and_saveexec_b32 s18, s4
	s_cbranch_execz .LBB73_139
; %bb.212:                              ;   in Loop: Header=BB73_140 Depth=1
	s_clause 0x2
	global_load_dwordx2 v[4:5], v7, s[6:7] offset:40
	global_load_dwordx2 v[14:15], v7, s[6:7] offset:24 glc dlc
	global_load_dwordx2 v[10:11], v7, s[6:7]
	s_waitcnt vmcnt(2)
	v_readfirstlane_b32 s20, v4
	v_readfirstlane_b32 s21, v5
	s_add_u32 s19, s20, 1
	s_addc_u32 s22, s21, 0
	s_add_u32 s4, s19, s16
	s_addc_u32 s5, s22, s17
	s_cmp_eq_u64 s[4:5], 0
	s_cselect_b32 s5, s22, s5
	s_cselect_b32 s4, s19, s4
	v_mov_b32_e32 v13, s5
	s_and_b64 s[16:17], s[4:5], s[20:21]
	v_mov_b32_e32 v12, s4
	s_mul_i32 s17, s17, 24
	s_mul_hi_u32 s19, s16, 24
	s_mul_i32 s16, s16, 24
	s_add_i32 s19, s19, s17
	s_waitcnt vmcnt(0)
	v_add_co_u32 v4, vcc_lo, v10, s16
	v_add_co_ci_u32_e64 v5, null, s19, v11, vcc_lo
	global_store_dwordx2 v[4:5], v[14:15], off
	s_waitcnt_vscnt null, 0x0
	global_atomic_cmpswap_x2 v[12:13], v7, v[12:15], s[6:7] offset:24 glc
	s_waitcnt vmcnt(0)
	v_cmp_ne_u64_e32 vcc_lo, v[12:13], v[14:15]
	s_and_b32 exec_lo, exec_lo, vcc_lo
	s_cbranch_execz .LBB73_139
; %bb.213:                              ;   in Loop: Header=BB73_140 Depth=1
	s_mov_b32 s16, 0
.LBB73_214:                             ;   Parent Loop BB73_140 Depth=1
                                        ; =>  This Inner Loop Header: Depth=2
	v_mov_b32_e32 v10, s4
	v_mov_b32_e32 v11, s5
	s_sleep 1
	global_store_dwordx2 v[4:5], v[12:13], off
	s_waitcnt_vscnt null, 0x0
	global_atomic_cmpswap_x2 v[10:11], v7, v[10:13], s[6:7] offset:24 glc
	s_waitcnt vmcnt(0)
	v_cmp_eq_u64_e32 vcc_lo, v[10:11], v[12:13]
	v_mov_b32_e32 v13, v11
	v_mov_b32_e32 v12, v10
	s_or_b32 s16, vcc_lo, s16
	s_andn2_b32 exec_lo, exec_lo, s16
	s_cbranch_execnz .LBB73_214
	s_branch .LBB73_139
.LBB73_215:
                                        ; implicit-def: $vgpr2_vgpr3
	s_cbranch_execnz .LBB73_217
	s_branch .LBB73_244
.LBB73_216:
	s_branch .LBB73_244
.LBB73_217:
	v_readfirstlane_b32 s4, v29
	v_mov_b32_e32 v8, 0
	v_mov_b32_e32 v9, 0
	v_cmp_eq_u32_e64 s4, s4, v29
	s_and_saveexec_b32 s5, s4
	s_cbranch_execz .LBB73_223
; %bb.218:
	s_waitcnt vmcnt(0)
	v_mov_b32_e32 v2, 0
	s_mov_b32 s10, exec_lo
	global_load_dwordx2 v[5:6], v2, s[6:7] offset:24 glc dlc
	s_waitcnt vmcnt(0)
	buffer_gl1_inv
	buffer_gl0_inv
	s_clause 0x1
	global_load_dwordx2 v[3:4], v2, s[6:7] offset:40
	global_load_dwordx2 v[7:8], v2, s[6:7]
	s_waitcnt vmcnt(1)
	v_and_b32_e32 v4, v4, v6
	v_and_b32_e32 v3, v3, v5
	v_mul_lo_u32 v4, v4, 24
	v_mul_hi_u32 v9, v3, 24
	v_mul_lo_u32 v3, v3, 24
	v_add_nc_u32_e32 v4, v9, v4
	s_waitcnt vmcnt(0)
	v_add_co_u32 v3, vcc_lo, v7, v3
	v_add_co_ci_u32_e64 v4, null, v8, v4, vcc_lo
	global_load_dwordx2 v[3:4], v[3:4], off glc dlc
	s_waitcnt vmcnt(0)
	global_atomic_cmpswap_x2 v[8:9], v2, v[3:6], s[6:7] offset:24 glc
	s_waitcnt vmcnt(0)
	buffer_gl1_inv
	buffer_gl0_inv
	v_cmpx_ne_u64_e64 v[8:9], v[5:6]
	s_cbranch_execz .LBB73_222
; %bb.219:
	s_mov_b32 s11, 0
	.p2align	6
.LBB73_220:                             ; =>This Inner Loop Header: Depth=1
	s_sleep 1
	s_clause 0x1
	global_load_dwordx2 v[3:4], v2, s[6:7] offset:40
	global_load_dwordx2 v[10:11], v2, s[6:7]
	v_mov_b32_e32 v5, v8
	v_mov_b32_e32 v6, v9
	s_waitcnt vmcnt(1)
	v_and_b32_e32 v3, v3, v5
	v_and_b32_e32 v4, v4, v6
	s_waitcnt vmcnt(0)
	v_mad_u64_u32 v[7:8], null, v3, 24, v[10:11]
	v_mov_b32_e32 v3, v8
	v_mad_u64_u32 v[3:4], null, v4, 24, v[3:4]
	v_mov_b32_e32 v8, v3
	global_load_dwordx2 v[3:4], v[7:8], off glc dlc
	s_waitcnt vmcnt(0)
	global_atomic_cmpswap_x2 v[8:9], v2, v[3:6], s[6:7] offset:24 glc
	s_waitcnt vmcnt(0)
	buffer_gl1_inv
	buffer_gl0_inv
	v_cmp_eq_u64_e32 vcc_lo, v[8:9], v[5:6]
	s_or_b32 s11, vcc_lo, s11
	s_andn2_b32 exec_lo, exec_lo, s11
	s_cbranch_execnz .LBB73_220
; %bb.221:
	s_or_b32 exec_lo, exec_lo, s11
.LBB73_222:
	s_or_b32 exec_lo, exec_lo, s10
.LBB73_223:
	s_or_b32 exec_lo, exec_lo, s5
	s_waitcnt vmcnt(0)
	v_mov_b32_e32 v2, 0
	v_readfirstlane_b32 s11, v9
	v_readfirstlane_b32 s10, v8
	s_mov_b32 s5, exec_lo
	s_clause 0x1
	global_load_dwordx2 v[10:11], v2, s[6:7] offset:40
	global_load_dwordx4 v[4:7], v2, s[6:7]
	s_waitcnt vmcnt(1)
	v_readfirstlane_b32 s12, v10
	v_readfirstlane_b32 s13, v11
	s_and_b64 s[12:13], s[12:13], s[10:11]
	s_mul_i32 s14, s13, 24
	s_mul_hi_u32 s15, s12, 24
	s_mul_i32 s16, s12, 24
	s_add_i32 s15, s15, s14
	s_waitcnt vmcnt(0)
	v_add_co_u32 v8, vcc_lo, v4, s16
	v_add_co_ci_u32_e64 v9, null, s15, v5, vcc_lo
	s_and_saveexec_b32 s14, s4
	s_cbranch_execz .LBB73_225
; %bb.224:
	v_mov_b32_e32 v10, s5
	v_mov_b32_e32 v11, v2
	;; [unrolled: 1-line block ×4, first 2 shown]
	global_store_dwordx4 v[8:9], v[10:13], off offset:8
.LBB73_225:
	s_or_b32 exec_lo, exec_lo, s14
	s_lshl_b64 s[12:13], s[12:13], 12
	v_and_or_b32 v0, 0xffffff1f, v0, 32
	v_add_co_u32 v6, vcc_lo, v6, s12
	v_add_co_ci_u32_e64 v7, null, s13, v7, vcc_lo
	s_mov_b32 s12, 0
	v_readfirstlane_b32 s16, v6
	v_add_co_u32 v6, vcc_lo, v6, v28
	s_mov_b32 s13, s12
	s_mov_b32 s14, s12
	;; [unrolled: 1-line block ×3, first 2 shown]
	v_mov_b32_e32 v3, v2
	v_readfirstlane_b32 s17, v7
	v_mov_b32_e32 v10, s12
	v_add_co_ci_u32_e64 v7, null, 0, v7, vcc_lo
	v_mov_b32_e32 v11, s13
	v_mov_b32_e32 v12, s14
	;; [unrolled: 1-line block ×3, first 2 shown]
	global_store_dwordx4 v28, v[0:3], s[16:17]
	global_store_dwordx4 v28, v[10:13], s[16:17] offset:16
	global_store_dwordx4 v28, v[10:13], s[16:17] offset:32
	;; [unrolled: 1-line block ×3, first 2 shown]
	s_and_saveexec_b32 s5, s4
	s_cbranch_execz .LBB73_233
; %bb.226:
	v_mov_b32_e32 v10, 0
	v_mov_b32_e32 v11, s10
	;; [unrolled: 1-line block ×3, first 2 shown]
	s_clause 0x1
	global_load_dwordx2 v[13:14], v10, s[6:7] offset:32 glc dlc
	global_load_dwordx2 v[0:1], v10, s[6:7] offset:40
	s_waitcnt vmcnt(0)
	v_readfirstlane_b32 s12, v0
	v_readfirstlane_b32 s13, v1
	s_and_b64 s[12:13], s[12:13], s[10:11]
	s_mul_i32 s13, s13, 24
	s_mul_hi_u32 s14, s12, 24
	s_mul_i32 s12, s12, 24
	s_add_i32 s14, s14, s13
	v_add_co_u32 v4, vcc_lo, v4, s12
	v_add_co_ci_u32_e64 v5, null, s14, v5, vcc_lo
	s_mov_b32 s12, exec_lo
	global_store_dwordx2 v[4:5], v[13:14], off
	s_waitcnt_vscnt null, 0x0
	global_atomic_cmpswap_x2 v[2:3], v10, v[11:14], s[6:7] offset:32 glc
	s_waitcnt vmcnt(0)
	v_cmpx_ne_u64_e64 v[2:3], v[13:14]
	s_cbranch_execz .LBB73_229
; %bb.227:
	s_mov_b32 s13, 0
.LBB73_228:                             ; =>This Inner Loop Header: Depth=1
	v_mov_b32_e32 v0, s10
	v_mov_b32_e32 v1, s11
	s_sleep 1
	global_store_dwordx2 v[4:5], v[2:3], off
	s_waitcnt_vscnt null, 0x0
	global_atomic_cmpswap_x2 v[0:1], v10, v[0:3], s[6:7] offset:32 glc
	s_waitcnt vmcnt(0)
	v_cmp_eq_u64_e32 vcc_lo, v[0:1], v[2:3]
	v_mov_b32_e32 v3, v1
	v_mov_b32_e32 v2, v0
	s_or_b32 s13, vcc_lo, s13
	s_andn2_b32 exec_lo, exec_lo, s13
	s_cbranch_execnz .LBB73_228
.LBB73_229:
	s_or_b32 exec_lo, exec_lo, s12
	v_mov_b32_e32 v3, 0
	s_mov_b32 s13, exec_lo
	s_mov_b32 s12, exec_lo
	v_mbcnt_lo_u32_b32 v2, s13, 0
	global_load_dwordx2 v[0:1], v3, s[6:7] offset:16
	v_cmpx_eq_u32_e32 0, v2
	s_cbranch_execz .LBB73_231
; %bb.230:
	s_bcnt1_i32_b32 s13, s13
	v_mov_b32_e32 v2, s13
	s_waitcnt vmcnt(0)
	global_atomic_add_x2 v[0:1], v[2:3], off offset:8
.LBB73_231:
	s_or_b32 exec_lo, exec_lo, s12
	s_waitcnt vmcnt(0)
	global_load_dwordx2 v[2:3], v[0:1], off offset:16
	s_waitcnt vmcnt(0)
	v_cmp_eq_u64_e32 vcc_lo, 0, v[2:3]
	s_cbranch_vccnz .LBB73_233
; %bb.232:
	global_load_dword v0, v[0:1], off offset:24
	v_mov_b32_e32 v1, 0
	s_waitcnt vmcnt(0)
	v_readfirstlane_b32 s12, v0
	s_waitcnt_vscnt null, 0x0
	global_store_dwordx2 v[2:3], v[0:1], off
	s_and_b32 m0, s12, 0x7fffff
	s_sendmsg sendmsg(MSG_INTERRUPT)
.LBB73_233:
	s_or_b32 exec_lo, exec_lo, s5
	s_branch .LBB73_237
	.p2align	6
.LBB73_234:                             ;   in Loop: Header=BB73_237 Depth=1
	s_or_b32 exec_lo, exec_lo, s5
	v_readfirstlane_b32 s5, v0
	s_cmp_eq_u32 s5, 0
	s_cbranch_scc1 .LBB73_236
; %bb.235:                              ;   in Loop: Header=BB73_237 Depth=1
	s_sleep 1
	s_cbranch_execnz .LBB73_237
	s_branch .LBB73_239
	.p2align	6
.LBB73_236:
	s_branch .LBB73_239
.LBB73_237:                             ; =>This Inner Loop Header: Depth=1
	v_mov_b32_e32 v0, 1
	s_and_saveexec_b32 s5, s4
	s_cbranch_execz .LBB73_234
; %bb.238:                              ;   in Loop: Header=BB73_237 Depth=1
	global_load_dword v0, v[8:9], off offset:20 glc dlc
	s_waitcnt vmcnt(0)
	buffer_gl1_inv
	buffer_gl0_inv
	v_and_b32_e32 v0, 1, v0
	s_branch .LBB73_234
.LBB73_239:
	global_load_dwordx2 v[2:3], v[6:7], off
	s_and_saveexec_b32 s12, s4
	s_cbranch_execz .LBB73_243
; %bb.240:
	v_mov_b32_e32 v8, 0
	s_clause 0x2
	global_load_dwordx2 v[0:1], v8, s[6:7] offset:40
	global_load_dwordx2 v[11:12], v8, s[6:7] offset:24 glc dlc
	global_load_dwordx2 v[4:5], v8, s[6:7]
	s_waitcnt vmcnt(2)
	v_readfirstlane_b32 s14, v0
	v_readfirstlane_b32 s15, v1
	s_add_u32 s13, s14, 1
	s_addc_u32 s16, s15, 0
	s_add_u32 s4, s13, s10
	s_addc_u32 s5, s16, s11
	s_cmp_eq_u64 s[4:5], 0
	s_cselect_b32 s5, s16, s5
	s_cselect_b32 s4, s13, s4
	v_mov_b32_e32 v10, s5
	s_and_b64 s[10:11], s[4:5], s[14:15]
	v_mov_b32_e32 v9, s4
	s_mul_i32 s11, s11, 24
	s_mul_hi_u32 s13, s10, 24
	s_mul_i32 s10, s10, 24
	s_add_i32 s13, s13, s11
	s_waitcnt vmcnt(0)
	v_add_co_u32 v0, vcc_lo, v4, s10
	v_add_co_ci_u32_e64 v1, null, s13, v5, vcc_lo
	global_store_dwordx2 v[0:1], v[11:12], off
	s_waitcnt_vscnt null, 0x0
	global_atomic_cmpswap_x2 v[6:7], v8, v[9:12], s[6:7] offset:24 glc
	s_waitcnt vmcnt(0)
	v_cmp_ne_u64_e32 vcc_lo, v[6:7], v[11:12]
	s_and_b32 exec_lo, exec_lo, vcc_lo
	s_cbranch_execz .LBB73_243
; %bb.241:
	s_mov_b32 s10, 0
.LBB73_242:                             ; =>This Inner Loop Header: Depth=1
	v_mov_b32_e32 v4, s4
	v_mov_b32_e32 v5, s5
	s_sleep 1
	global_store_dwordx2 v[0:1], v[6:7], off
	s_waitcnt_vscnt null, 0x0
	global_atomic_cmpswap_x2 v[4:5], v8, v[4:7], s[6:7] offset:24 glc
	s_waitcnt vmcnt(0)
	v_cmp_eq_u64_e32 vcc_lo, v[4:5], v[6:7]
	v_mov_b32_e32 v7, v5
	v_mov_b32_e32 v6, v4
	s_or_b32 s10, vcc_lo, s10
	s_andn2_b32 exec_lo, exec_lo, s10
	s_cbranch_execnz .LBB73_242
.LBB73_243:
	s_or_b32 exec_lo, exec_lo, s12
.LBB73_244:
	v_readfirstlane_b32 s4, v29
	s_waitcnt vmcnt(0)
	v_mov_b32_e32 v0, 0
	v_mov_b32_e32 v1, 0
	v_cmp_eq_u32_e64 s4, s4, v29
	s_and_saveexec_b32 s5, s4
	s_cbranch_execz .LBB73_250
; %bb.245:
	v_mov_b32_e32 v4, 0
	s_mov_b32 s10, exec_lo
	global_load_dwordx2 v[7:8], v4, s[6:7] offset:24 glc dlc
	s_waitcnt vmcnt(0)
	buffer_gl1_inv
	buffer_gl0_inv
	s_clause 0x1
	global_load_dwordx2 v[0:1], v4, s[6:7] offset:40
	global_load_dwordx2 v[5:6], v4, s[6:7]
	s_waitcnt vmcnt(1)
	v_and_b32_e32 v1, v1, v8
	v_and_b32_e32 v0, v0, v7
	v_mul_lo_u32 v1, v1, 24
	v_mul_hi_u32 v9, v0, 24
	v_mul_lo_u32 v0, v0, 24
	v_add_nc_u32_e32 v1, v9, v1
	s_waitcnt vmcnt(0)
	v_add_co_u32 v0, vcc_lo, v5, v0
	v_add_co_ci_u32_e64 v1, null, v6, v1, vcc_lo
	global_load_dwordx2 v[5:6], v[0:1], off glc dlc
	s_waitcnt vmcnt(0)
	global_atomic_cmpswap_x2 v[0:1], v4, v[5:8], s[6:7] offset:24 glc
	s_waitcnt vmcnt(0)
	buffer_gl1_inv
	buffer_gl0_inv
	v_cmpx_ne_u64_e64 v[0:1], v[7:8]
	s_cbranch_execz .LBB73_249
; %bb.246:
	s_mov_b32 s11, 0
	.p2align	6
.LBB73_247:                             ; =>This Inner Loop Header: Depth=1
	s_sleep 1
	s_clause 0x1
	global_load_dwordx2 v[5:6], v4, s[6:7] offset:40
	global_load_dwordx2 v[9:10], v4, s[6:7]
	v_mov_b32_e32 v8, v1
	v_mov_b32_e32 v7, v0
	s_waitcnt vmcnt(1)
	v_and_b32_e32 v0, v5, v7
	v_and_b32_e32 v5, v6, v8
	s_waitcnt vmcnt(0)
	v_mad_u64_u32 v[0:1], null, v0, 24, v[9:10]
	v_mad_u64_u32 v[5:6], null, v5, 24, v[1:2]
	v_mov_b32_e32 v1, v5
	global_load_dwordx2 v[5:6], v[0:1], off glc dlc
	s_waitcnt vmcnt(0)
	global_atomic_cmpswap_x2 v[0:1], v4, v[5:8], s[6:7] offset:24 glc
	s_waitcnt vmcnt(0)
	buffer_gl1_inv
	buffer_gl0_inv
	v_cmp_eq_u64_e32 vcc_lo, v[0:1], v[7:8]
	s_or_b32 s11, vcc_lo, s11
	s_andn2_b32 exec_lo, exec_lo, s11
	s_cbranch_execnz .LBB73_247
; %bb.248:
	s_or_b32 exec_lo, exec_lo, s11
.LBB73_249:
	s_or_b32 exec_lo, exec_lo, s10
.LBB73_250:
	s_or_b32 exec_lo, exec_lo, s5
	v_mov_b32_e32 v5, 0
	v_readfirstlane_b32 s11, v1
	v_readfirstlane_b32 s10, v0
	s_mov_b32 s5, exec_lo
	s_clause 0x1
	global_load_dwordx2 v[10:11], v5, s[6:7] offset:40
	global_load_dwordx4 v[6:9], v5, s[6:7]
	s_waitcnt vmcnt(1)
	v_readfirstlane_b32 s12, v10
	v_readfirstlane_b32 s13, v11
	s_and_b64 s[12:13], s[12:13], s[10:11]
	s_mul_i32 s14, s13, 24
	s_mul_hi_u32 s15, s12, 24
	s_mul_i32 s16, s12, 24
	s_add_i32 s15, s15, s14
	s_waitcnt vmcnt(0)
	v_add_co_u32 v10, vcc_lo, v6, s16
	v_add_co_ci_u32_e64 v11, null, s15, v7, vcc_lo
	s_and_saveexec_b32 s14, s4
	s_cbranch_execz .LBB73_252
; %bb.251:
	v_mov_b32_e32 v4, s5
	v_mov_b32_e32 v13, v5
	;; [unrolled: 1-line block ×5, first 2 shown]
	global_store_dwordx4 v[10:11], v[12:15], off offset:8
.LBB73_252:
	s_or_b32 exec_lo, exec_lo, s14
	s_lshl_b64 s[12:13], s[12:13], 12
	v_and_or_b32 v2, 0xffffff1f, v2, 32
	v_add_co_u32 v0, vcc_lo, v8, s12
	v_add_co_ci_u32_e64 v1, null, s13, v9, vcc_lo
	s_mov_b32 s12, 0
	v_add_co_u32 v8, vcc_lo, v0, v28
	s_mov_b32 s13, s12
	s_mov_b32 s14, s12
	;; [unrolled: 1-line block ×3, first 2 shown]
	v_mov_b32_e32 v4, 0x347
	v_readfirstlane_b32 s16, v0
	v_readfirstlane_b32 s17, v1
	v_mov_b32_e32 v12, s12
	v_add_co_ci_u32_e64 v9, null, 0, v1, vcc_lo
	v_mov_b32_e32 v13, s13
	v_mov_b32_e32 v14, s14
	;; [unrolled: 1-line block ×3, first 2 shown]
	global_store_dwordx4 v28, v[2:5], s[16:17]
	global_store_dwordx4 v28, v[12:15], s[16:17] offset:16
	global_store_dwordx4 v28, v[12:15], s[16:17] offset:32
	;; [unrolled: 1-line block ×3, first 2 shown]
	s_and_saveexec_b32 s5, s4
	s_cbranch_execz .LBB73_260
; %bb.253:
	v_mov_b32_e32 v12, 0
	v_mov_b32_e32 v13, s10
	;; [unrolled: 1-line block ×3, first 2 shown]
	s_clause 0x1
	global_load_dwordx2 v[15:16], v12, s[6:7] offset:32 glc dlc
	global_load_dwordx2 v[0:1], v12, s[6:7] offset:40
	s_waitcnt vmcnt(0)
	v_readfirstlane_b32 s12, v0
	v_readfirstlane_b32 s13, v1
	s_and_b64 s[12:13], s[12:13], s[10:11]
	s_mul_i32 s13, s13, 24
	s_mul_hi_u32 s14, s12, 24
	s_mul_i32 s12, s12, 24
	s_add_i32 s14, s14, s13
	v_add_co_u32 v4, vcc_lo, v6, s12
	v_add_co_ci_u32_e64 v5, null, s14, v7, vcc_lo
	s_mov_b32 s12, exec_lo
	global_store_dwordx2 v[4:5], v[15:16], off
	s_waitcnt_vscnt null, 0x0
	global_atomic_cmpswap_x2 v[2:3], v12, v[13:16], s[6:7] offset:32 glc
	s_waitcnt vmcnt(0)
	v_cmpx_ne_u64_e64 v[2:3], v[15:16]
	s_cbranch_execz .LBB73_256
; %bb.254:
	s_mov_b32 s13, 0
.LBB73_255:                             ; =>This Inner Loop Header: Depth=1
	v_mov_b32_e32 v0, s10
	v_mov_b32_e32 v1, s11
	s_sleep 1
	global_store_dwordx2 v[4:5], v[2:3], off
	s_waitcnt_vscnt null, 0x0
	global_atomic_cmpswap_x2 v[0:1], v12, v[0:3], s[6:7] offset:32 glc
	s_waitcnt vmcnt(0)
	v_cmp_eq_u64_e32 vcc_lo, v[0:1], v[2:3]
	v_mov_b32_e32 v3, v1
	v_mov_b32_e32 v2, v0
	s_or_b32 s13, vcc_lo, s13
	s_andn2_b32 exec_lo, exec_lo, s13
	s_cbranch_execnz .LBB73_255
.LBB73_256:
	s_or_b32 exec_lo, exec_lo, s12
	v_mov_b32_e32 v3, 0
	s_mov_b32 s13, exec_lo
	s_mov_b32 s12, exec_lo
	v_mbcnt_lo_u32_b32 v2, s13, 0
	global_load_dwordx2 v[0:1], v3, s[6:7] offset:16
	v_cmpx_eq_u32_e32 0, v2
	s_cbranch_execz .LBB73_258
; %bb.257:
	s_bcnt1_i32_b32 s13, s13
	v_mov_b32_e32 v2, s13
	s_waitcnt vmcnt(0)
	global_atomic_add_x2 v[0:1], v[2:3], off offset:8
.LBB73_258:
	s_or_b32 exec_lo, exec_lo, s12
	s_waitcnt vmcnt(0)
	global_load_dwordx2 v[2:3], v[0:1], off offset:16
	s_waitcnt vmcnt(0)
	v_cmp_eq_u64_e32 vcc_lo, 0, v[2:3]
	s_cbranch_vccnz .LBB73_260
; %bb.259:
	global_load_dword v0, v[0:1], off offset:24
	v_mov_b32_e32 v1, 0
	s_waitcnt vmcnt(0)
	v_readfirstlane_b32 s12, v0
	s_waitcnt_vscnt null, 0x0
	global_store_dwordx2 v[2:3], v[0:1], off
	s_and_b32 m0, s12, 0x7fffff
	s_sendmsg sendmsg(MSG_INTERRUPT)
.LBB73_260:
	s_or_b32 exec_lo, exec_lo, s5
	s_branch .LBB73_264
	.p2align	6
.LBB73_261:                             ;   in Loop: Header=BB73_264 Depth=1
	s_or_b32 exec_lo, exec_lo, s5
	v_readfirstlane_b32 s5, v0
	s_cmp_eq_u32 s5, 0
	s_cbranch_scc1 .LBB73_263
; %bb.262:                              ;   in Loop: Header=BB73_264 Depth=1
	s_sleep 1
	s_cbranch_execnz .LBB73_264
	s_branch .LBB73_266
	.p2align	6
.LBB73_263:
	s_branch .LBB73_266
.LBB73_264:                             ; =>This Inner Loop Header: Depth=1
	v_mov_b32_e32 v0, 1
	s_and_saveexec_b32 s5, s4
	s_cbranch_execz .LBB73_261
; %bb.265:                              ;   in Loop: Header=BB73_264 Depth=1
	global_load_dword v0, v[10:11], off offset:20 glc dlc
	s_waitcnt vmcnt(0)
	buffer_gl1_inv
	buffer_gl0_inv
	v_and_b32_e32 v0, 1, v0
	s_branch .LBB73_261
.LBB73_266:
	global_load_dwordx2 v[0:1], v[8:9], off
	s_and_saveexec_b32 s12, s4
	s_cbranch_execz .LBB73_270
; %bb.267:
	v_mov_b32_e32 v8, 0
	s_clause 0x2
	global_load_dwordx2 v[2:3], v8, s[6:7] offset:40
	global_load_dwordx2 v[11:12], v8, s[6:7] offset:24 glc dlc
	global_load_dwordx2 v[4:5], v8, s[6:7]
	s_waitcnt vmcnt(2)
	v_readfirstlane_b32 s14, v2
	v_readfirstlane_b32 s15, v3
	s_add_u32 s13, s14, 1
	s_addc_u32 s16, s15, 0
	s_add_u32 s4, s13, s10
	s_addc_u32 s5, s16, s11
	s_cmp_eq_u64 s[4:5], 0
	s_cselect_b32 s5, s16, s5
	s_cselect_b32 s4, s13, s4
	v_mov_b32_e32 v10, s5
	s_and_b64 s[10:11], s[4:5], s[14:15]
	v_mov_b32_e32 v9, s4
	s_mul_i32 s11, s11, 24
	s_mul_hi_u32 s13, s10, 24
	s_mul_i32 s10, s10, 24
	s_add_i32 s13, s13, s11
	s_waitcnt vmcnt(0)
	v_add_co_u32 v6, vcc_lo, v4, s10
	v_add_co_ci_u32_e64 v7, null, s13, v5, vcc_lo
	global_store_dwordx2 v[6:7], v[11:12], off
	s_waitcnt_vscnt null, 0x0
	global_atomic_cmpswap_x2 v[4:5], v8, v[9:12], s[6:7] offset:24 glc
	s_waitcnt vmcnt(0)
	v_cmp_ne_u64_e32 vcc_lo, v[4:5], v[11:12]
	s_and_b32 exec_lo, exec_lo, vcc_lo
	s_cbranch_execz .LBB73_270
; %bb.268:
	s_mov_b32 s10, 0
.LBB73_269:                             ; =>This Inner Loop Header: Depth=1
	v_mov_b32_e32 v2, s4
	v_mov_b32_e32 v3, s5
	s_sleep 1
	global_store_dwordx2 v[6:7], v[4:5], off
	s_waitcnt_vscnt null, 0x0
	global_atomic_cmpswap_x2 v[2:3], v8, v[2:5], s[6:7] offset:24 glc
	s_waitcnt vmcnt(0)
	v_cmp_eq_u64_e32 vcc_lo, v[2:3], v[4:5]
	v_mov_b32_e32 v5, v3
	v_mov_b32_e32 v4, v2
	s_or_b32 s10, vcc_lo, s10
	s_andn2_b32 exec_lo, exec_lo, s10
	s_cbranch_execnz .LBB73_269
.LBB73_270:
	s_or_b32 exec_lo, exec_lo, s12
	s_getpc_b64 s[4:5]
	s_add_u32 s4, s4, __FUNCTION__._ZL15flash_attn_tileILi112ELi112ELi8ELi8ELb1EEvPKcS1_S1_S1_S1_PKiPfP15HIP_vector_typeIfLj2EEffffjfiS5_IjLj3EEiiiiiiiiiiiliiliiiiil@rel32@lo+4
	s_addc_u32 s5, s5, __FUNCTION__._ZL15flash_attn_tileILi112ELi112ELi8ELi8ELb1EEvPKcS1_S1_S1_S1_PKiPfP15HIP_vector_typeIfLj2EEffffjfiS5_IjLj3EEiiiiiiiiiiiliiliiiiil@rel32@hi+12
	v_mov_b32_e32 v2, s4
	s_cmp_lg_u64 s[4:5], 0
	v_mov_b32_e32 v3, s5
	s_cselect_b32 s10, 16, 0
	v_mov_b32_e32 v5, 0
	v_mov_b32_e32 v4, s10
	s_getpc_b64 s[6:7]
	s_add_u32 s6, s6, __ockl_printf_append_string_n@rel32@lo+4
	s_addc_u32 s7, s7, __ockl_printf_append_string_n@rel32@hi+12
	s_mov_b64 s[20:21], s[8:9]
	s_swappc_b64 s[30:31], s[6:7]
	v_mov_b32_e32 v2, 0x514
	v_mov_b32_e32 v3, 0
	;; [unrolled: 1-line block ×3, first 2 shown]
	s_getpc_b64 s[4:5]
	s_add_u32 s4, s4, __ockl_printf_append_args@rel32@lo+4
	s_addc_u32 s5, s5, __ockl_printf_append_args@rel32@hi+12
	s_mov_b64 s[8:9], s[20:21]
	s_swappc_b64 s[30:31], s[4:5]
	s_trap 2
.Lfunc_end73:
	.size	_ZL14no_device_codePKciS0_iS0_, .Lfunc_end73-_ZL14no_device_codePKciS0_iS0_
                                        ; -- End function
	.set .L_ZL14no_device_codePKciS0_iS0_.num_vgpr, max(40, .L__ockl_printf_append_string_n.num_vgpr, .L__ockl_printf_append_args.num_vgpr)
	.set .L_ZL14no_device_codePKciS0_iS0_.num_agpr, max(0, .L__ockl_printf_append_string_n.num_agpr, .L__ockl_printf_append_args.num_agpr)
	.set .L_ZL14no_device_codePKciS0_iS0_.numbered_sgpr, max(34, .L__ockl_printf_append_string_n.numbered_sgpr, .L__ockl_printf_append_args.numbered_sgpr)
	.set .L_ZL14no_device_codePKciS0_iS0_.num_named_barrier, max(0, .L__ockl_printf_append_string_n.num_named_barrier, .L__ockl_printf_append_args.num_named_barrier)
	.set .L_ZL14no_device_codePKciS0_iS0_.private_seg_size, 16+max(.L__ockl_printf_append_string_n.private_seg_size, .L__ockl_printf_append_args.private_seg_size)
	.set .L_ZL14no_device_codePKciS0_iS0_.uses_vcc, or(1, .L__ockl_printf_append_string_n.uses_vcc, .L__ockl_printf_append_args.uses_vcc)
	.set .L_ZL14no_device_codePKciS0_iS0_.uses_flat_scratch, or(0, .L__ockl_printf_append_string_n.uses_flat_scratch, .L__ockl_printf_append_args.uses_flat_scratch)
	.set .L_ZL14no_device_codePKciS0_iS0_.has_dyn_sized_stack, or(0, .L__ockl_printf_append_string_n.has_dyn_sized_stack, .L__ockl_printf_append_args.has_dyn_sized_stack)
	.set .L_ZL14no_device_codePKciS0_iS0_.has_recursion, or(0, .L__ockl_printf_append_string_n.has_recursion, .L__ockl_printf_append_args.has_recursion)
	.set .L_ZL14no_device_codePKciS0_iS0_.has_indirect_call, or(0, .L__ockl_printf_append_string_n.has_indirect_call, .L__ockl_printf_append_args.has_indirect_call)
	.section	.AMDGPU.csdata,"",@progbits
; Function info:
; codeLenInByte = 10460
; TotalNumSgprs: 36
; NumVgprs: 40
; ScratchSize: 16
; MemoryBound: 0
	.section	.text._ZL15flash_attn_tileILi112ELi112ELi8ELi8ELb1EEvPKcS1_S1_S1_S1_PKiPfP15HIP_vector_typeIfLj2EEffffjfiS5_IjLj3EEiiiiiiiiiiiliiliiiiil,"axG",@progbits,_ZL15flash_attn_tileILi112ELi112ELi8ELi8ELb1EEvPKcS1_S1_S1_S1_PKiPfP15HIP_vector_typeIfLj2EEffffjfiS5_IjLj3EEiiiiiiiiiiiliiliiiiil,comdat
	.globl	_ZL15flash_attn_tileILi112ELi112ELi8ELi8ELb1EEvPKcS1_S1_S1_S1_PKiPfP15HIP_vector_typeIfLj2EEffffjfiS5_IjLj3EEiiiiiiiiiiiliiliiiiil ; -- Begin function _ZL15flash_attn_tileILi112ELi112ELi8ELi8ELb1EEvPKcS1_S1_S1_S1_PKiPfP15HIP_vector_typeIfLj2EEffffjfiS5_IjLj3EEiiiiiiiiiiiliiliiiiil
	.p2align	8
	.type	_ZL15flash_attn_tileILi112ELi112ELi8ELi8ELb1EEvPKcS1_S1_S1_S1_PKiPfP15HIP_vector_typeIfLj2EEffffjfiS5_IjLj3EEiiiiiiiiiiiliiliiiiil,@function
_ZL15flash_attn_tileILi112ELi112ELi8ELi8ELb1EEvPKcS1_S1_S1_S1_PKiPfP15HIP_vector_typeIfLj2EEffffjfiS5_IjLj3EEiiiiiiiiiiiliiliiiiil: ; @_ZL15flash_attn_tileILi112ELi112ELi8ELi8ELb1EEvPKcS1_S1_S1_S1_PKiPfP15HIP_vector_typeIfLj2EEffffjfiS5_IjLj3EEiiiiiiiiiiiliiliiiiil
; %bb.0:
	s_add_u32 s0, s0, s7
	s_addc_u32 s1, s1, 0
	s_add_u32 s8, s4, 0xd0
	s_addc_u32 s9, s5, 0
	s_getpc_b64 s[4:5]
	s_add_u32 s4, s4, _ZL14no_device_codePKciS0_iS0_@rel32@lo+4
	s_addc_u32 s5, s5, _ZL14no_device_codePKciS0_iS0_@rel32@hi+12
	s_mov_b32 s32, 0
	s_swappc_b64 s[30:31], s[4:5]
	.section	.rodata,"a",@progbits
	.p2align	6, 0x0
	.amdhsa_kernel _ZL15flash_attn_tileILi112ELi112ELi8ELi8ELb1EEvPKcS1_S1_S1_S1_PKiPfP15HIP_vector_typeIfLj2EEffffjfiS5_IjLj3EEiiiiiiiiiiiliiliiiiil
		.amdhsa_group_segment_fixed_size 0
		.amdhsa_private_segment_fixed_size 16
		.amdhsa_kernarg_size 464
		.amdhsa_user_sgpr_count 6
		.amdhsa_user_sgpr_private_segment_buffer 1
		.amdhsa_user_sgpr_dispatch_ptr 0
		.amdhsa_user_sgpr_queue_ptr 0
		.amdhsa_user_sgpr_kernarg_segment_ptr 1
		.amdhsa_user_sgpr_dispatch_id 0
		.amdhsa_user_sgpr_flat_scratch_init 0
		.amdhsa_user_sgpr_private_segment_size 0
		.amdhsa_wavefront_size32 1
		.amdhsa_uses_dynamic_stack 0
		.amdhsa_system_sgpr_private_segment_wavefront_offset 1
		.amdhsa_system_sgpr_workgroup_id_x 1
		.amdhsa_system_sgpr_workgroup_id_y 0
		.amdhsa_system_sgpr_workgroup_id_z 0
		.amdhsa_system_sgpr_workgroup_info 0
		.amdhsa_system_vgpr_workitem_id 0
		.amdhsa_next_free_vgpr 40
		.amdhsa_next_free_sgpr 34
		.amdhsa_reserve_vcc 1
		.amdhsa_reserve_flat_scratch 0
		.amdhsa_float_round_mode_32 0
		.amdhsa_float_round_mode_16_64 0
		.amdhsa_float_denorm_mode_32 3
		.amdhsa_float_denorm_mode_16_64 3
		.amdhsa_dx10_clamp 1
		.amdhsa_ieee_mode 1
		.amdhsa_fp16_overflow 0
		.amdhsa_workgroup_processor_mode 1
		.amdhsa_memory_ordered 1
		.amdhsa_forward_progress 1
		.amdhsa_shared_vgpr_count 0
		.amdhsa_exception_fp_ieee_invalid_op 0
		.amdhsa_exception_fp_denorm_src 0
		.amdhsa_exception_fp_ieee_div_zero 0
		.amdhsa_exception_fp_ieee_overflow 0
		.amdhsa_exception_fp_ieee_underflow 0
		.amdhsa_exception_fp_ieee_inexact 0
		.amdhsa_exception_int_div_zero 0
	.end_amdhsa_kernel
	.section	.text._ZL15flash_attn_tileILi112ELi112ELi8ELi8ELb1EEvPKcS1_S1_S1_S1_PKiPfP15HIP_vector_typeIfLj2EEffffjfiS5_IjLj3EEiiiiiiiiiiiliiliiiiil,"axG",@progbits,_ZL15flash_attn_tileILi112ELi112ELi8ELi8ELb1EEvPKcS1_S1_S1_S1_PKiPfP15HIP_vector_typeIfLj2EEffffjfiS5_IjLj3EEiiiiiiiiiiiliiliiiiil,comdat
.Lfunc_end74:
	.size	_ZL15flash_attn_tileILi112ELi112ELi8ELi8ELb1EEvPKcS1_S1_S1_S1_PKiPfP15HIP_vector_typeIfLj2EEffffjfiS5_IjLj3EEiiiiiiiiiiiliiliiiiil, .Lfunc_end74-_ZL15flash_attn_tileILi112ELi112ELi8ELi8ELb1EEvPKcS1_S1_S1_S1_PKiPfP15HIP_vector_typeIfLj2EEffffjfiS5_IjLj3EEiiiiiiiiiiiliiliiiiil
                                        ; -- End function
	.set _ZL15flash_attn_tileILi112ELi112ELi8ELi8ELb1EEvPKcS1_S1_S1_S1_PKiPfP15HIP_vector_typeIfLj2EEffffjfiS5_IjLj3EEiiiiiiiiiiiliiliiiiil.num_vgpr, max(0, .L_ZL14no_device_codePKciS0_iS0_.num_vgpr)
	.set _ZL15flash_attn_tileILi112ELi112ELi8ELi8ELb1EEvPKcS1_S1_S1_S1_PKiPfP15HIP_vector_typeIfLj2EEffffjfiS5_IjLj3EEiiiiiiiiiiiliiliiiiil.num_agpr, max(0, .L_ZL14no_device_codePKciS0_iS0_.num_agpr)
	.set _ZL15flash_attn_tileILi112ELi112ELi8ELi8ELb1EEvPKcS1_S1_S1_S1_PKiPfP15HIP_vector_typeIfLj2EEffffjfiS5_IjLj3EEiiiiiiiiiiiliiliiiiil.numbered_sgpr, max(33, .L_ZL14no_device_codePKciS0_iS0_.numbered_sgpr)
	.set _ZL15flash_attn_tileILi112ELi112ELi8ELi8ELb1EEvPKcS1_S1_S1_S1_PKiPfP15HIP_vector_typeIfLj2EEffffjfiS5_IjLj3EEiiiiiiiiiiiliiliiiiil.num_named_barrier, max(0, .L_ZL14no_device_codePKciS0_iS0_.num_named_barrier)
	.set _ZL15flash_attn_tileILi112ELi112ELi8ELi8ELb1EEvPKcS1_S1_S1_S1_PKiPfP15HIP_vector_typeIfLj2EEffffjfiS5_IjLj3EEiiiiiiiiiiiliiliiiiil.private_seg_size, 0+max(.L_ZL14no_device_codePKciS0_iS0_.private_seg_size)
	.set _ZL15flash_attn_tileILi112ELi112ELi8ELi8ELb1EEvPKcS1_S1_S1_S1_PKiPfP15HIP_vector_typeIfLj2EEffffjfiS5_IjLj3EEiiiiiiiiiiiliiliiiiil.uses_vcc, or(1, .L_ZL14no_device_codePKciS0_iS0_.uses_vcc)
	.set _ZL15flash_attn_tileILi112ELi112ELi8ELi8ELb1EEvPKcS1_S1_S1_S1_PKiPfP15HIP_vector_typeIfLj2EEffffjfiS5_IjLj3EEiiiiiiiiiiiliiliiiiil.uses_flat_scratch, or(0, .L_ZL14no_device_codePKciS0_iS0_.uses_flat_scratch)
	.set _ZL15flash_attn_tileILi112ELi112ELi8ELi8ELb1EEvPKcS1_S1_S1_S1_PKiPfP15HIP_vector_typeIfLj2EEffffjfiS5_IjLj3EEiiiiiiiiiiiliiliiiiil.has_dyn_sized_stack, or(0, .L_ZL14no_device_codePKciS0_iS0_.has_dyn_sized_stack)
	.set _ZL15flash_attn_tileILi112ELi112ELi8ELi8ELb1EEvPKcS1_S1_S1_S1_PKiPfP15HIP_vector_typeIfLj2EEffffjfiS5_IjLj3EEiiiiiiiiiiiliiliiiiil.has_recursion, or(0, .L_ZL14no_device_codePKciS0_iS0_.has_recursion)
	.set _ZL15flash_attn_tileILi112ELi112ELi8ELi8ELb1EEvPKcS1_S1_S1_S1_PKiPfP15HIP_vector_typeIfLj2EEffffjfiS5_IjLj3EEiiiiiiiiiiiliiliiiiil.has_indirect_call, or(0, .L_ZL14no_device_codePKciS0_iS0_.has_indirect_call)
	.section	.AMDGPU.csdata,"",@progbits
; Kernel info:
; codeLenInByte = 48
; TotalNumSgprs: 36
; NumVgprs: 40
; ScratchSize: 16
; MemoryBound: 0
; FloatMode: 240
; IeeeMode: 1
; LDSByteSize: 0 bytes/workgroup (compile time only)
; SGPRBlocks: 0
; VGPRBlocks: 4
; NumSGPRsForWavesPerEU: 36
; NumVGPRsForWavesPerEU: 40
; Occupancy: 16
; WaveLimiterHint : 1
; COMPUTE_PGM_RSRC2:SCRATCH_EN: 1
; COMPUTE_PGM_RSRC2:USER_SGPR: 6
; COMPUTE_PGM_RSRC2:TRAP_HANDLER: 0
; COMPUTE_PGM_RSRC2:TGID_X_EN: 1
; COMPUTE_PGM_RSRC2:TGID_Y_EN: 0
; COMPUTE_PGM_RSRC2:TGID_Z_EN: 0
; COMPUTE_PGM_RSRC2:TIDIG_COMP_CNT: 0
	.section	.text._ZL15flash_attn_tileILi112ELi112ELi4ELi8ELb1EEvPKcS1_S1_S1_S1_PKiPfP15HIP_vector_typeIfLj2EEffffjfiS5_IjLj3EEiiiiiiiiiiiliiliiiiil,"axG",@progbits,_ZL15flash_attn_tileILi112ELi112ELi4ELi8ELb1EEvPKcS1_S1_S1_S1_PKiPfP15HIP_vector_typeIfLj2EEffffjfiS5_IjLj3EEiiiiiiiiiiiliiliiiiil,comdat
	.globl	_ZL15flash_attn_tileILi112ELi112ELi4ELi8ELb1EEvPKcS1_S1_S1_S1_PKiPfP15HIP_vector_typeIfLj2EEffffjfiS5_IjLj3EEiiiiiiiiiiiliiliiiiil ; -- Begin function _ZL15flash_attn_tileILi112ELi112ELi4ELi8ELb1EEvPKcS1_S1_S1_S1_PKiPfP15HIP_vector_typeIfLj2EEffffjfiS5_IjLj3EEiiiiiiiiiiiliiliiiiil
	.p2align	8
	.type	_ZL15flash_attn_tileILi112ELi112ELi4ELi8ELb1EEvPKcS1_S1_S1_S1_PKiPfP15HIP_vector_typeIfLj2EEffffjfiS5_IjLj3EEiiiiiiiiiiiliiliiiiil,@function
_ZL15flash_attn_tileILi112ELi112ELi4ELi8ELb1EEvPKcS1_S1_S1_S1_PKiPfP15HIP_vector_typeIfLj2EEffffjfiS5_IjLj3EEiiiiiiiiiiiliiliiiiil: ; @_ZL15flash_attn_tileILi112ELi112ELi4ELi8ELb1EEvPKcS1_S1_S1_S1_PKiPfP15HIP_vector_typeIfLj2EEffffjfiS5_IjLj3EEiiiiiiiiiiiliiliiiiil
; %bb.0:
	s_add_u32 s0, s0, s7
	s_addc_u32 s1, s1, 0
	s_add_u32 s8, s4, 0xd0
	s_addc_u32 s9, s5, 0
	s_getpc_b64 s[4:5]
	s_add_u32 s4, s4, _ZL14no_device_codePKciS0_iS0_@rel32@lo+4
	s_addc_u32 s5, s5, _ZL14no_device_codePKciS0_iS0_@rel32@hi+12
	s_mov_b32 s32, 0
	s_swappc_b64 s[30:31], s[4:5]
	.section	.rodata,"a",@progbits
	.p2align	6, 0x0
	.amdhsa_kernel _ZL15flash_attn_tileILi112ELi112ELi4ELi8ELb1EEvPKcS1_S1_S1_S1_PKiPfP15HIP_vector_typeIfLj2EEffffjfiS5_IjLj3EEiiiiiiiiiiiliiliiiiil
		.amdhsa_group_segment_fixed_size 0
		.amdhsa_private_segment_fixed_size 16
		.amdhsa_kernarg_size 464
		.amdhsa_user_sgpr_count 6
		.amdhsa_user_sgpr_private_segment_buffer 1
		.amdhsa_user_sgpr_dispatch_ptr 0
		.amdhsa_user_sgpr_queue_ptr 0
		.amdhsa_user_sgpr_kernarg_segment_ptr 1
		.amdhsa_user_sgpr_dispatch_id 0
		.amdhsa_user_sgpr_flat_scratch_init 0
		.amdhsa_user_sgpr_private_segment_size 0
		.amdhsa_wavefront_size32 1
		.amdhsa_uses_dynamic_stack 0
		.amdhsa_system_sgpr_private_segment_wavefront_offset 1
		.amdhsa_system_sgpr_workgroup_id_x 1
		.amdhsa_system_sgpr_workgroup_id_y 0
		.amdhsa_system_sgpr_workgroup_id_z 0
		.amdhsa_system_sgpr_workgroup_info 0
		.amdhsa_system_vgpr_workitem_id 0
		.amdhsa_next_free_vgpr 40
		.amdhsa_next_free_sgpr 34
		.amdhsa_reserve_vcc 1
		.amdhsa_reserve_flat_scratch 0
		.amdhsa_float_round_mode_32 0
		.amdhsa_float_round_mode_16_64 0
		.amdhsa_float_denorm_mode_32 3
		.amdhsa_float_denorm_mode_16_64 3
		.amdhsa_dx10_clamp 1
		.amdhsa_ieee_mode 1
		.amdhsa_fp16_overflow 0
		.amdhsa_workgroup_processor_mode 1
		.amdhsa_memory_ordered 1
		.amdhsa_forward_progress 1
		.amdhsa_shared_vgpr_count 0
		.amdhsa_exception_fp_ieee_invalid_op 0
		.amdhsa_exception_fp_denorm_src 0
		.amdhsa_exception_fp_ieee_div_zero 0
		.amdhsa_exception_fp_ieee_overflow 0
		.amdhsa_exception_fp_ieee_underflow 0
		.amdhsa_exception_fp_ieee_inexact 0
		.amdhsa_exception_int_div_zero 0
	.end_amdhsa_kernel
	.section	.text._ZL15flash_attn_tileILi112ELi112ELi4ELi8ELb1EEvPKcS1_S1_S1_S1_PKiPfP15HIP_vector_typeIfLj2EEffffjfiS5_IjLj3EEiiiiiiiiiiiliiliiiiil,"axG",@progbits,_ZL15flash_attn_tileILi112ELi112ELi4ELi8ELb1EEvPKcS1_S1_S1_S1_PKiPfP15HIP_vector_typeIfLj2EEffffjfiS5_IjLj3EEiiiiiiiiiiiliiliiiiil,comdat
.Lfunc_end75:
	.size	_ZL15flash_attn_tileILi112ELi112ELi4ELi8ELb1EEvPKcS1_S1_S1_S1_PKiPfP15HIP_vector_typeIfLj2EEffffjfiS5_IjLj3EEiiiiiiiiiiiliiliiiiil, .Lfunc_end75-_ZL15flash_attn_tileILi112ELi112ELi4ELi8ELb1EEvPKcS1_S1_S1_S1_PKiPfP15HIP_vector_typeIfLj2EEffffjfiS5_IjLj3EEiiiiiiiiiiiliiliiiiil
                                        ; -- End function
	.set _ZL15flash_attn_tileILi112ELi112ELi4ELi8ELb1EEvPKcS1_S1_S1_S1_PKiPfP15HIP_vector_typeIfLj2EEffffjfiS5_IjLj3EEiiiiiiiiiiiliiliiiiil.num_vgpr, max(0, .L_ZL14no_device_codePKciS0_iS0_.num_vgpr)
	.set _ZL15flash_attn_tileILi112ELi112ELi4ELi8ELb1EEvPKcS1_S1_S1_S1_PKiPfP15HIP_vector_typeIfLj2EEffffjfiS5_IjLj3EEiiiiiiiiiiiliiliiiiil.num_agpr, max(0, .L_ZL14no_device_codePKciS0_iS0_.num_agpr)
	.set _ZL15flash_attn_tileILi112ELi112ELi4ELi8ELb1EEvPKcS1_S1_S1_S1_PKiPfP15HIP_vector_typeIfLj2EEffffjfiS5_IjLj3EEiiiiiiiiiiiliiliiiiil.numbered_sgpr, max(33, .L_ZL14no_device_codePKciS0_iS0_.numbered_sgpr)
	.set _ZL15flash_attn_tileILi112ELi112ELi4ELi8ELb1EEvPKcS1_S1_S1_S1_PKiPfP15HIP_vector_typeIfLj2EEffffjfiS5_IjLj3EEiiiiiiiiiiiliiliiiiil.num_named_barrier, max(0, .L_ZL14no_device_codePKciS0_iS0_.num_named_barrier)
	.set _ZL15flash_attn_tileILi112ELi112ELi4ELi8ELb1EEvPKcS1_S1_S1_S1_PKiPfP15HIP_vector_typeIfLj2EEffffjfiS5_IjLj3EEiiiiiiiiiiiliiliiiiil.private_seg_size, 0+max(.L_ZL14no_device_codePKciS0_iS0_.private_seg_size)
	.set _ZL15flash_attn_tileILi112ELi112ELi4ELi8ELb1EEvPKcS1_S1_S1_S1_PKiPfP15HIP_vector_typeIfLj2EEffffjfiS5_IjLj3EEiiiiiiiiiiiliiliiiiil.uses_vcc, or(1, .L_ZL14no_device_codePKciS0_iS0_.uses_vcc)
	.set _ZL15flash_attn_tileILi112ELi112ELi4ELi8ELb1EEvPKcS1_S1_S1_S1_PKiPfP15HIP_vector_typeIfLj2EEffffjfiS5_IjLj3EEiiiiiiiiiiiliiliiiiil.uses_flat_scratch, or(0, .L_ZL14no_device_codePKciS0_iS0_.uses_flat_scratch)
	.set _ZL15flash_attn_tileILi112ELi112ELi4ELi8ELb1EEvPKcS1_S1_S1_S1_PKiPfP15HIP_vector_typeIfLj2EEffffjfiS5_IjLj3EEiiiiiiiiiiiliiliiiiil.has_dyn_sized_stack, or(0, .L_ZL14no_device_codePKciS0_iS0_.has_dyn_sized_stack)
	.set _ZL15flash_attn_tileILi112ELi112ELi4ELi8ELb1EEvPKcS1_S1_S1_S1_PKiPfP15HIP_vector_typeIfLj2EEffffjfiS5_IjLj3EEiiiiiiiiiiiliiliiiiil.has_recursion, or(0, .L_ZL14no_device_codePKciS0_iS0_.has_recursion)
	.set _ZL15flash_attn_tileILi112ELi112ELi4ELi8ELb1EEvPKcS1_S1_S1_S1_PKiPfP15HIP_vector_typeIfLj2EEffffjfiS5_IjLj3EEiiiiiiiiiiiliiliiiiil.has_indirect_call, or(0, .L_ZL14no_device_codePKciS0_iS0_.has_indirect_call)
	.section	.AMDGPU.csdata,"",@progbits
; Kernel info:
; codeLenInByte = 48
; TotalNumSgprs: 36
; NumVgprs: 40
; ScratchSize: 16
; MemoryBound: 0
; FloatMode: 240
; IeeeMode: 1
; LDSByteSize: 0 bytes/workgroup (compile time only)
; SGPRBlocks: 0
; VGPRBlocks: 4
; NumSGPRsForWavesPerEU: 36
; NumVGPRsForWavesPerEU: 40
; Occupancy: 16
; WaveLimiterHint : 1
; COMPUTE_PGM_RSRC2:SCRATCH_EN: 1
; COMPUTE_PGM_RSRC2:USER_SGPR: 6
; COMPUTE_PGM_RSRC2:TRAP_HANDLER: 0
; COMPUTE_PGM_RSRC2:TGID_X_EN: 1
; COMPUTE_PGM_RSRC2:TGID_Y_EN: 0
; COMPUTE_PGM_RSRC2:TGID_Z_EN: 0
; COMPUTE_PGM_RSRC2:TIDIG_COMP_CNT: 0
	.section	.text._ZL15flash_attn_tileILi112ELi112ELi2ELi8ELb1EEvPKcS1_S1_S1_S1_PKiPfP15HIP_vector_typeIfLj2EEffffjfiS5_IjLj3EEiiiiiiiiiiiliiliiiiil,"axG",@progbits,_ZL15flash_attn_tileILi112ELi112ELi2ELi8ELb1EEvPKcS1_S1_S1_S1_PKiPfP15HIP_vector_typeIfLj2EEffffjfiS5_IjLj3EEiiiiiiiiiiiliiliiiiil,comdat
	.globl	_ZL15flash_attn_tileILi112ELi112ELi2ELi8ELb1EEvPKcS1_S1_S1_S1_PKiPfP15HIP_vector_typeIfLj2EEffffjfiS5_IjLj3EEiiiiiiiiiiiliiliiiiil ; -- Begin function _ZL15flash_attn_tileILi112ELi112ELi2ELi8ELb1EEvPKcS1_S1_S1_S1_PKiPfP15HIP_vector_typeIfLj2EEffffjfiS5_IjLj3EEiiiiiiiiiiiliiliiiiil
	.p2align	8
	.type	_ZL15flash_attn_tileILi112ELi112ELi2ELi8ELb1EEvPKcS1_S1_S1_S1_PKiPfP15HIP_vector_typeIfLj2EEffffjfiS5_IjLj3EEiiiiiiiiiiiliiliiiiil,@function
_ZL15flash_attn_tileILi112ELi112ELi2ELi8ELb1EEvPKcS1_S1_S1_S1_PKiPfP15HIP_vector_typeIfLj2EEffffjfiS5_IjLj3EEiiiiiiiiiiiliiliiiiil: ; @_ZL15flash_attn_tileILi112ELi112ELi2ELi8ELb1EEvPKcS1_S1_S1_S1_PKiPfP15HIP_vector_typeIfLj2EEffffjfiS5_IjLj3EEiiiiiiiiiiiliiliiiiil
; %bb.0:
	s_add_u32 s0, s0, s7
	s_addc_u32 s1, s1, 0
	s_add_u32 s8, s4, 0xd0
	s_addc_u32 s9, s5, 0
	s_getpc_b64 s[4:5]
	s_add_u32 s4, s4, _ZL14no_device_codePKciS0_iS0_@rel32@lo+4
	s_addc_u32 s5, s5, _ZL14no_device_codePKciS0_iS0_@rel32@hi+12
	s_mov_b32 s32, 0
	s_swappc_b64 s[30:31], s[4:5]
	.section	.rodata,"a",@progbits
	.p2align	6, 0x0
	.amdhsa_kernel _ZL15flash_attn_tileILi112ELi112ELi2ELi8ELb1EEvPKcS1_S1_S1_S1_PKiPfP15HIP_vector_typeIfLj2EEffffjfiS5_IjLj3EEiiiiiiiiiiiliiliiiiil
		.amdhsa_group_segment_fixed_size 0
		.amdhsa_private_segment_fixed_size 16
		.amdhsa_kernarg_size 464
		.amdhsa_user_sgpr_count 6
		.amdhsa_user_sgpr_private_segment_buffer 1
		.amdhsa_user_sgpr_dispatch_ptr 0
		.amdhsa_user_sgpr_queue_ptr 0
		.amdhsa_user_sgpr_kernarg_segment_ptr 1
		.amdhsa_user_sgpr_dispatch_id 0
		.amdhsa_user_sgpr_flat_scratch_init 0
		.amdhsa_user_sgpr_private_segment_size 0
		.amdhsa_wavefront_size32 1
		.amdhsa_uses_dynamic_stack 0
		.amdhsa_system_sgpr_private_segment_wavefront_offset 1
		.amdhsa_system_sgpr_workgroup_id_x 1
		.amdhsa_system_sgpr_workgroup_id_y 0
		.amdhsa_system_sgpr_workgroup_id_z 0
		.amdhsa_system_sgpr_workgroup_info 0
		.amdhsa_system_vgpr_workitem_id 0
		.amdhsa_next_free_vgpr 40
		.amdhsa_next_free_sgpr 34
		.amdhsa_reserve_vcc 1
		.amdhsa_reserve_flat_scratch 0
		.amdhsa_float_round_mode_32 0
		.amdhsa_float_round_mode_16_64 0
		.amdhsa_float_denorm_mode_32 3
		.amdhsa_float_denorm_mode_16_64 3
		.amdhsa_dx10_clamp 1
		.amdhsa_ieee_mode 1
		.amdhsa_fp16_overflow 0
		.amdhsa_workgroup_processor_mode 1
		.amdhsa_memory_ordered 1
		.amdhsa_forward_progress 1
		.amdhsa_shared_vgpr_count 0
		.amdhsa_exception_fp_ieee_invalid_op 0
		.amdhsa_exception_fp_denorm_src 0
		.amdhsa_exception_fp_ieee_div_zero 0
		.amdhsa_exception_fp_ieee_overflow 0
		.amdhsa_exception_fp_ieee_underflow 0
		.amdhsa_exception_fp_ieee_inexact 0
		.amdhsa_exception_int_div_zero 0
	.end_amdhsa_kernel
	.section	.text._ZL15flash_attn_tileILi112ELi112ELi2ELi8ELb1EEvPKcS1_S1_S1_S1_PKiPfP15HIP_vector_typeIfLj2EEffffjfiS5_IjLj3EEiiiiiiiiiiiliiliiiiil,"axG",@progbits,_ZL15flash_attn_tileILi112ELi112ELi2ELi8ELb1EEvPKcS1_S1_S1_S1_PKiPfP15HIP_vector_typeIfLj2EEffffjfiS5_IjLj3EEiiiiiiiiiiiliiliiiiil,comdat
.Lfunc_end76:
	.size	_ZL15flash_attn_tileILi112ELi112ELi2ELi8ELb1EEvPKcS1_S1_S1_S1_PKiPfP15HIP_vector_typeIfLj2EEffffjfiS5_IjLj3EEiiiiiiiiiiiliiliiiiil, .Lfunc_end76-_ZL15flash_attn_tileILi112ELi112ELi2ELi8ELb1EEvPKcS1_S1_S1_S1_PKiPfP15HIP_vector_typeIfLj2EEffffjfiS5_IjLj3EEiiiiiiiiiiiliiliiiiil
                                        ; -- End function
	.set _ZL15flash_attn_tileILi112ELi112ELi2ELi8ELb1EEvPKcS1_S1_S1_S1_PKiPfP15HIP_vector_typeIfLj2EEffffjfiS5_IjLj3EEiiiiiiiiiiiliiliiiiil.num_vgpr, max(0, .L_ZL14no_device_codePKciS0_iS0_.num_vgpr)
	.set _ZL15flash_attn_tileILi112ELi112ELi2ELi8ELb1EEvPKcS1_S1_S1_S1_PKiPfP15HIP_vector_typeIfLj2EEffffjfiS5_IjLj3EEiiiiiiiiiiiliiliiiiil.num_agpr, max(0, .L_ZL14no_device_codePKciS0_iS0_.num_agpr)
	.set _ZL15flash_attn_tileILi112ELi112ELi2ELi8ELb1EEvPKcS1_S1_S1_S1_PKiPfP15HIP_vector_typeIfLj2EEffffjfiS5_IjLj3EEiiiiiiiiiiiliiliiiiil.numbered_sgpr, max(33, .L_ZL14no_device_codePKciS0_iS0_.numbered_sgpr)
	.set _ZL15flash_attn_tileILi112ELi112ELi2ELi8ELb1EEvPKcS1_S1_S1_S1_PKiPfP15HIP_vector_typeIfLj2EEffffjfiS5_IjLj3EEiiiiiiiiiiiliiliiiiil.num_named_barrier, max(0, .L_ZL14no_device_codePKciS0_iS0_.num_named_barrier)
	.set _ZL15flash_attn_tileILi112ELi112ELi2ELi8ELb1EEvPKcS1_S1_S1_S1_PKiPfP15HIP_vector_typeIfLj2EEffffjfiS5_IjLj3EEiiiiiiiiiiiliiliiiiil.private_seg_size, 0+max(.L_ZL14no_device_codePKciS0_iS0_.private_seg_size)
	.set _ZL15flash_attn_tileILi112ELi112ELi2ELi8ELb1EEvPKcS1_S1_S1_S1_PKiPfP15HIP_vector_typeIfLj2EEffffjfiS5_IjLj3EEiiiiiiiiiiiliiliiiiil.uses_vcc, or(1, .L_ZL14no_device_codePKciS0_iS0_.uses_vcc)
	.set _ZL15flash_attn_tileILi112ELi112ELi2ELi8ELb1EEvPKcS1_S1_S1_S1_PKiPfP15HIP_vector_typeIfLj2EEffffjfiS5_IjLj3EEiiiiiiiiiiiliiliiiiil.uses_flat_scratch, or(0, .L_ZL14no_device_codePKciS0_iS0_.uses_flat_scratch)
	.set _ZL15flash_attn_tileILi112ELi112ELi2ELi8ELb1EEvPKcS1_S1_S1_S1_PKiPfP15HIP_vector_typeIfLj2EEffffjfiS5_IjLj3EEiiiiiiiiiiiliiliiiiil.has_dyn_sized_stack, or(0, .L_ZL14no_device_codePKciS0_iS0_.has_dyn_sized_stack)
	.set _ZL15flash_attn_tileILi112ELi112ELi2ELi8ELb1EEvPKcS1_S1_S1_S1_PKiPfP15HIP_vector_typeIfLj2EEffffjfiS5_IjLj3EEiiiiiiiiiiiliiliiiiil.has_recursion, or(0, .L_ZL14no_device_codePKciS0_iS0_.has_recursion)
	.set _ZL15flash_attn_tileILi112ELi112ELi2ELi8ELb1EEvPKcS1_S1_S1_S1_PKiPfP15HIP_vector_typeIfLj2EEffffjfiS5_IjLj3EEiiiiiiiiiiiliiliiiiil.has_indirect_call, or(0, .L_ZL14no_device_codePKciS0_iS0_.has_indirect_call)
	.section	.AMDGPU.csdata,"",@progbits
; Kernel info:
; codeLenInByte = 48
; TotalNumSgprs: 36
; NumVgprs: 40
; ScratchSize: 16
; MemoryBound: 0
; FloatMode: 240
; IeeeMode: 1
; LDSByteSize: 0 bytes/workgroup (compile time only)
; SGPRBlocks: 0
; VGPRBlocks: 4
; NumSGPRsForWavesPerEU: 36
; NumVGPRsForWavesPerEU: 40
; Occupancy: 16
; WaveLimiterHint : 1
; COMPUTE_PGM_RSRC2:SCRATCH_EN: 1
; COMPUTE_PGM_RSRC2:USER_SGPR: 6
; COMPUTE_PGM_RSRC2:TRAP_HANDLER: 0
; COMPUTE_PGM_RSRC2:TGID_X_EN: 1
; COMPUTE_PGM_RSRC2:TGID_Y_EN: 0
; COMPUTE_PGM_RSRC2:TGID_Z_EN: 0
; COMPUTE_PGM_RSRC2:TIDIG_COMP_CNT: 0
	.section	.text._ZL15flash_attn_tileILi112ELi112ELi1ELi8ELb1EEvPKcS1_S1_S1_S1_PKiPfP15HIP_vector_typeIfLj2EEffffjfiS5_IjLj3EEiiiiiiiiiiiliiliiiiil,"axG",@progbits,_ZL15flash_attn_tileILi112ELi112ELi1ELi8ELb1EEvPKcS1_S1_S1_S1_PKiPfP15HIP_vector_typeIfLj2EEffffjfiS5_IjLj3EEiiiiiiiiiiiliiliiiiil,comdat
	.globl	_ZL15flash_attn_tileILi112ELi112ELi1ELi8ELb1EEvPKcS1_S1_S1_S1_PKiPfP15HIP_vector_typeIfLj2EEffffjfiS5_IjLj3EEiiiiiiiiiiiliiliiiiil ; -- Begin function _ZL15flash_attn_tileILi112ELi112ELi1ELi8ELb1EEvPKcS1_S1_S1_S1_PKiPfP15HIP_vector_typeIfLj2EEffffjfiS5_IjLj3EEiiiiiiiiiiiliiliiiiil
	.p2align	8
	.type	_ZL15flash_attn_tileILi112ELi112ELi1ELi8ELb1EEvPKcS1_S1_S1_S1_PKiPfP15HIP_vector_typeIfLj2EEffffjfiS5_IjLj3EEiiiiiiiiiiiliiliiiiil,@function
_ZL15flash_attn_tileILi112ELi112ELi1ELi8ELb1EEvPKcS1_S1_S1_S1_PKiPfP15HIP_vector_typeIfLj2EEffffjfiS5_IjLj3EEiiiiiiiiiiiliiliiiiil: ; @_ZL15flash_attn_tileILi112ELi112ELi1ELi8ELb1EEvPKcS1_S1_S1_S1_PKiPfP15HIP_vector_typeIfLj2EEffffjfiS5_IjLj3EEiiiiiiiiiiiliiliiiiil
; %bb.0:
	s_add_u32 s0, s0, s7
	s_addc_u32 s1, s1, 0
	s_add_u32 s8, s4, 0xd0
	s_addc_u32 s9, s5, 0
	s_getpc_b64 s[4:5]
	s_add_u32 s4, s4, _ZL14no_device_codePKciS0_iS0_@rel32@lo+4
	s_addc_u32 s5, s5, _ZL14no_device_codePKciS0_iS0_@rel32@hi+12
	s_mov_b32 s32, 0
	s_swappc_b64 s[30:31], s[4:5]
	.section	.rodata,"a",@progbits
	.p2align	6, 0x0
	.amdhsa_kernel _ZL15flash_attn_tileILi112ELi112ELi1ELi8ELb1EEvPKcS1_S1_S1_S1_PKiPfP15HIP_vector_typeIfLj2EEffffjfiS5_IjLj3EEiiiiiiiiiiiliiliiiiil
		.amdhsa_group_segment_fixed_size 0
		.amdhsa_private_segment_fixed_size 16
		.amdhsa_kernarg_size 464
		.amdhsa_user_sgpr_count 6
		.amdhsa_user_sgpr_private_segment_buffer 1
		.amdhsa_user_sgpr_dispatch_ptr 0
		.amdhsa_user_sgpr_queue_ptr 0
		.amdhsa_user_sgpr_kernarg_segment_ptr 1
		.amdhsa_user_sgpr_dispatch_id 0
		.amdhsa_user_sgpr_flat_scratch_init 0
		.amdhsa_user_sgpr_private_segment_size 0
		.amdhsa_wavefront_size32 1
		.amdhsa_uses_dynamic_stack 0
		.amdhsa_system_sgpr_private_segment_wavefront_offset 1
		.amdhsa_system_sgpr_workgroup_id_x 1
		.amdhsa_system_sgpr_workgroup_id_y 0
		.amdhsa_system_sgpr_workgroup_id_z 0
		.amdhsa_system_sgpr_workgroup_info 0
		.amdhsa_system_vgpr_workitem_id 0
		.amdhsa_next_free_vgpr 40
		.amdhsa_next_free_sgpr 34
		.amdhsa_reserve_vcc 1
		.amdhsa_reserve_flat_scratch 0
		.amdhsa_float_round_mode_32 0
		.amdhsa_float_round_mode_16_64 0
		.amdhsa_float_denorm_mode_32 3
		.amdhsa_float_denorm_mode_16_64 3
		.amdhsa_dx10_clamp 1
		.amdhsa_ieee_mode 1
		.amdhsa_fp16_overflow 0
		.amdhsa_workgroup_processor_mode 1
		.amdhsa_memory_ordered 1
		.amdhsa_forward_progress 1
		.amdhsa_shared_vgpr_count 0
		.amdhsa_exception_fp_ieee_invalid_op 0
		.amdhsa_exception_fp_denorm_src 0
		.amdhsa_exception_fp_ieee_div_zero 0
		.amdhsa_exception_fp_ieee_overflow 0
		.amdhsa_exception_fp_ieee_underflow 0
		.amdhsa_exception_fp_ieee_inexact 0
		.amdhsa_exception_int_div_zero 0
	.end_amdhsa_kernel
	.section	.text._ZL15flash_attn_tileILi112ELi112ELi1ELi8ELb1EEvPKcS1_S1_S1_S1_PKiPfP15HIP_vector_typeIfLj2EEffffjfiS5_IjLj3EEiiiiiiiiiiiliiliiiiil,"axG",@progbits,_ZL15flash_attn_tileILi112ELi112ELi1ELi8ELb1EEvPKcS1_S1_S1_S1_PKiPfP15HIP_vector_typeIfLj2EEffffjfiS5_IjLj3EEiiiiiiiiiiiliiliiiiil,comdat
.Lfunc_end77:
	.size	_ZL15flash_attn_tileILi112ELi112ELi1ELi8ELb1EEvPKcS1_S1_S1_S1_PKiPfP15HIP_vector_typeIfLj2EEffffjfiS5_IjLj3EEiiiiiiiiiiiliiliiiiil, .Lfunc_end77-_ZL15flash_attn_tileILi112ELi112ELi1ELi8ELb1EEvPKcS1_S1_S1_S1_PKiPfP15HIP_vector_typeIfLj2EEffffjfiS5_IjLj3EEiiiiiiiiiiiliiliiiiil
                                        ; -- End function
	.set _ZL15flash_attn_tileILi112ELi112ELi1ELi8ELb1EEvPKcS1_S1_S1_S1_PKiPfP15HIP_vector_typeIfLj2EEffffjfiS5_IjLj3EEiiiiiiiiiiiliiliiiiil.num_vgpr, max(0, .L_ZL14no_device_codePKciS0_iS0_.num_vgpr)
	.set _ZL15flash_attn_tileILi112ELi112ELi1ELi8ELb1EEvPKcS1_S1_S1_S1_PKiPfP15HIP_vector_typeIfLj2EEffffjfiS5_IjLj3EEiiiiiiiiiiiliiliiiiil.num_agpr, max(0, .L_ZL14no_device_codePKciS0_iS0_.num_agpr)
	.set _ZL15flash_attn_tileILi112ELi112ELi1ELi8ELb1EEvPKcS1_S1_S1_S1_PKiPfP15HIP_vector_typeIfLj2EEffffjfiS5_IjLj3EEiiiiiiiiiiiliiliiiiil.numbered_sgpr, max(33, .L_ZL14no_device_codePKciS0_iS0_.numbered_sgpr)
	.set _ZL15flash_attn_tileILi112ELi112ELi1ELi8ELb1EEvPKcS1_S1_S1_S1_PKiPfP15HIP_vector_typeIfLj2EEffffjfiS5_IjLj3EEiiiiiiiiiiiliiliiiiil.num_named_barrier, max(0, .L_ZL14no_device_codePKciS0_iS0_.num_named_barrier)
	.set _ZL15flash_attn_tileILi112ELi112ELi1ELi8ELb1EEvPKcS1_S1_S1_S1_PKiPfP15HIP_vector_typeIfLj2EEffffjfiS5_IjLj3EEiiiiiiiiiiiliiliiiiil.private_seg_size, 0+max(.L_ZL14no_device_codePKciS0_iS0_.private_seg_size)
	.set _ZL15flash_attn_tileILi112ELi112ELi1ELi8ELb1EEvPKcS1_S1_S1_S1_PKiPfP15HIP_vector_typeIfLj2EEffffjfiS5_IjLj3EEiiiiiiiiiiiliiliiiiil.uses_vcc, or(1, .L_ZL14no_device_codePKciS0_iS0_.uses_vcc)
	.set _ZL15flash_attn_tileILi112ELi112ELi1ELi8ELb1EEvPKcS1_S1_S1_S1_PKiPfP15HIP_vector_typeIfLj2EEffffjfiS5_IjLj3EEiiiiiiiiiiiliiliiiiil.uses_flat_scratch, or(0, .L_ZL14no_device_codePKciS0_iS0_.uses_flat_scratch)
	.set _ZL15flash_attn_tileILi112ELi112ELi1ELi8ELb1EEvPKcS1_S1_S1_S1_PKiPfP15HIP_vector_typeIfLj2EEffffjfiS5_IjLj3EEiiiiiiiiiiiliiliiiiil.has_dyn_sized_stack, or(0, .L_ZL14no_device_codePKciS0_iS0_.has_dyn_sized_stack)
	.set _ZL15flash_attn_tileILi112ELi112ELi1ELi8ELb1EEvPKcS1_S1_S1_S1_PKiPfP15HIP_vector_typeIfLj2EEffffjfiS5_IjLj3EEiiiiiiiiiiiliiliiiiil.has_recursion, or(0, .L_ZL14no_device_codePKciS0_iS0_.has_recursion)
	.set _ZL15flash_attn_tileILi112ELi112ELi1ELi8ELb1EEvPKcS1_S1_S1_S1_PKiPfP15HIP_vector_typeIfLj2EEffffjfiS5_IjLj3EEiiiiiiiiiiiliiliiiiil.has_indirect_call, or(0, .L_ZL14no_device_codePKciS0_iS0_.has_indirect_call)
	.section	.AMDGPU.csdata,"",@progbits
; Kernel info:
; codeLenInByte = 48
; TotalNumSgprs: 36
; NumVgprs: 40
; ScratchSize: 16
; MemoryBound: 0
; FloatMode: 240
; IeeeMode: 1
; LDSByteSize: 0 bytes/workgroup (compile time only)
; SGPRBlocks: 0
; VGPRBlocks: 4
; NumSGPRsForWavesPerEU: 36
; NumVGPRsForWavesPerEU: 40
; Occupancy: 16
; WaveLimiterHint : 1
; COMPUTE_PGM_RSRC2:SCRATCH_EN: 1
; COMPUTE_PGM_RSRC2:USER_SGPR: 6
; COMPUTE_PGM_RSRC2:TRAP_HANDLER: 0
; COMPUTE_PGM_RSRC2:TGID_X_EN: 1
; COMPUTE_PGM_RSRC2:TGID_Y_EN: 0
; COMPUTE_PGM_RSRC2:TGID_Z_EN: 0
; COMPUTE_PGM_RSRC2:TIDIG_COMP_CNT: 0
	.section	.text._ZL15flash_attn_tileILi112ELi112ELi16ELi4ELb1EEvPKcS1_S1_S1_S1_PKiPfP15HIP_vector_typeIfLj2EEffffjfiS5_IjLj3EEiiiiiiiiiiiliiliiiiil,"axG",@progbits,_ZL15flash_attn_tileILi112ELi112ELi16ELi4ELb1EEvPKcS1_S1_S1_S1_PKiPfP15HIP_vector_typeIfLj2EEffffjfiS5_IjLj3EEiiiiiiiiiiiliiliiiiil,comdat
	.globl	_ZL15flash_attn_tileILi112ELi112ELi16ELi4ELb1EEvPKcS1_S1_S1_S1_PKiPfP15HIP_vector_typeIfLj2EEffffjfiS5_IjLj3EEiiiiiiiiiiiliiliiiiil ; -- Begin function _ZL15flash_attn_tileILi112ELi112ELi16ELi4ELb1EEvPKcS1_S1_S1_S1_PKiPfP15HIP_vector_typeIfLj2EEffffjfiS5_IjLj3EEiiiiiiiiiiiliiliiiiil
	.p2align	8
	.type	_ZL15flash_attn_tileILi112ELi112ELi16ELi4ELb1EEvPKcS1_S1_S1_S1_PKiPfP15HIP_vector_typeIfLj2EEffffjfiS5_IjLj3EEiiiiiiiiiiiliiliiiiil,@function
_ZL15flash_attn_tileILi112ELi112ELi16ELi4ELb1EEvPKcS1_S1_S1_S1_PKiPfP15HIP_vector_typeIfLj2EEffffjfiS5_IjLj3EEiiiiiiiiiiiliiliiiiil: ; @_ZL15flash_attn_tileILi112ELi112ELi16ELi4ELb1EEvPKcS1_S1_S1_S1_PKiPfP15HIP_vector_typeIfLj2EEffffjfiS5_IjLj3EEiiiiiiiiiiiliiliiiiil
; %bb.0:
	s_add_u32 s0, s0, s7
	s_addc_u32 s1, s1, 0
	s_add_u32 s8, s4, 0xd0
	s_addc_u32 s9, s5, 0
	s_getpc_b64 s[4:5]
	s_add_u32 s4, s4, _ZL14no_device_codePKciS0_iS0_@rel32@lo+4
	s_addc_u32 s5, s5, _ZL14no_device_codePKciS0_iS0_@rel32@hi+12
	s_mov_b32 s32, 0
	s_swappc_b64 s[30:31], s[4:5]
	.section	.rodata,"a",@progbits
	.p2align	6, 0x0
	.amdhsa_kernel _ZL15flash_attn_tileILi112ELi112ELi16ELi4ELb1EEvPKcS1_S1_S1_S1_PKiPfP15HIP_vector_typeIfLj2EEffffjfiS5_IjLj3EEiiiiiiiiiiiliiliiiiil
		.amdhsa_group_segment_fixed_size 0
		.amdhsa_private_segment_fixed_size 16
		.amdhsa_kernarg_size 464
		.amdhsa_user_sgpr_count 6
		.amdhsa_user_sgpr_private_segment_buffer 1
		.amdhsa_user_sgpr_dispatch_ptr 0
		.amdhsa_user_sgpr_queue_ptr 0
		.amdhsa_user_sgpr_kernarg_segment_ptr 1
		.amdhsa_user_sgpr_dispatch_id 0
		.amdhsa_user_sgpr_flat_scratch_init 0
		.amdhsa_user_sgpr_private_segment_size 0
		.amdhsa_wavefront_size32 1
		.amdhsa_uses_dynamic_stack 0
		.amdhsa_system_sgpr_private_segment_wavefront_offset 1
		.amdhsa_system_sgpr_workgroup_id_x 1
		.amdhsa_system_sgpr_workgroup_id_y 0
		.amdhsa_system_sgpr_workgroup_id_z 0
		.amdhsa_system_sgpr_workgroup_info 0
		.amdhsa_system_vgpr_workitem_id 0
		.amdhsa_next_free_vgpr 40
		.amdhsa_next_free_sgpr 34
		.amdhsa_reserve_vcc 1
		.amdhsa_reserve_flat_scratch 0
		.amdhsa_float_round_mode_32 0
		.amdhsa_float_round_mode_16_64 0
		.amdhsa_float_denorm_mode_32 3
		.amdhsa_float_denorm_mode_16_64 3
		.amdhsa_dx10_clamp 1
		.amdhsa_ieee_mode 1
		.amdhsa_fp16_overflow 0
		.amdhsa_workgroup_processor_mode 1
		.amdhsa_memory_ordered 1
		.amdhsa_forward_progress 1
		.amdhsa_shared_vgpr_count 0
		.amdhsa_exception_fp_ieee_invalid_op 0
		.amdhsa_exception_fp_denorm_src 0
		.amdhsa_exception_fp_ieee_div_zero 0
		.amdhsa_exception_fp_ieee_overflow 0
		.amdhsa_exception_fp_ieee_underflow 0
		.amdhsa_exception_fp_ieee_inexact 0
		.amdhsa_exception_int_div_zero 0
	.end_amdhsa_kernel
	.section	.text._ZL15flash_attn_tileILi112ELi112ELi16ELi4ELb1EEvPKcS1_S1_S1_S1_PKiPfP15HIP_vector_typeIfLj2EEffffjfiS5_IjLj3EEiiiiiiiiiiiliiliiiiil,"axG",@progbits,_ZL15flash_attn_tileILi112ELi112ELi16ELi4ELb1EEvPKcS1_S1_S1_S1_PKiPfP15HIP_vector_typeIfLj2EEffffjfiS5_IjLj3EEiiiiiiiiiiiliiliiiiil,comdat
.Lfunc_end78:
	.size	_ZL15flash_attn_tileILi112ELi112ELi16ELi4ELb1EEvPKcS1_S1_S1_S1_PKiPfP15HIP_vector_typeIfLj2EEffffjfiS5_IjLj3EEiiiiiiiiiiiliiliiiiil, .Lfunc_end78-_ZL15flash_attn_tileILi112ELi112ELi16ELi4ELb1EEvPKcS1_S1_S1_S1_PKiPfP15HIP_vector_typeIfLj2EEffffjfiS5_IjLj3EEiiiiiiiiiiiliiliiiiil
                                        ; -- End function
	.set _ZL15flash_attn_tileILi112ELi112ELi16ELi4ELb1EEvPKcS1_S1_S1_S1_PKiPfP15HIP_vector_typeIfLj2EEffffjfiS5_IjLj3EEiiiiiiiiiiiliiliiiiil.num_vgpr, max(0, .L_ZL14no_device_codePKciS0_iS0_.num_vgpr)
	.set _ZL15flash_attn_tileILi112ELi112ELi16ELi4ELb1EEvPKcS1_S1_S1_S1_PKiPfP15HIP_vector_typeIfLj2EEffffjfiS5_IjLj3EEiiiiiiiiiiiliiliiiiil.num_agpr, max(0, .L_ZL14no_device_codePKciS0_iS0_.num_agpr)
	.set _ZL15flash_attn_tileILi112ELi112ELi16ELi4ELb1EEvPKcS1_S1_S1_S1_PKiPfP15HIP_vector_typeIfLj2EEffffjfiS5_IjLj3EEiiiiiiiiiiiliiliiiiil.numbered_sgpr, max(33, .L_ZL14no_device_codePKciS0_iS0_.numbered_sgpr)
	.set _ZL15flash_attn_tileILi112ELi112ELi16ELi4ELb1EEvPKcS1_S1_S1_S1_PKiPfP15HIP_vector_typeIfLj2EEffffjfiS5_IjLj3EEiiiiiiiiiiiliiliiiiil.num_named_barrier, max(0, .L_ZL14no_device_codePKciS0_iS0_.num_named_barrier)
	.set _ZL15flash_attn_tileILi112ELi112ELi16ELi4ELb1EEvPKcS1_S1_S1_S1_PKiPfP15HIP_vector_typeIfLj2EEffffjfiS5_IjLj3EEiiiiiiiiiiiliiliiiiil.private_seg_size, 0+max(.L_ZL14no_device_codePKciS0_iS0_.private_seg_size)
	.set _ZL15flash_attn_tileILi112ELi112ELi16ELi4ELb1EEvPKcS1_S1_S1_S1_PKiPfP15HIP_vector_typeIfLj2EEffffjfiS5_IjLj3EEiiiiiiiiiiiliiliiiiil.uses_vcc, or(1, .L_ZL14no_device_codePKciS0_iS0_.uses_vcc)
	.set _ZL15flash_attn_tileILi112ELi112ELi16ELi4ELb1EEvPKcS1_S1_S1_S1_PKiPfP15HIP_vector_typeIfLj2EEffffjfiS5_IjLj3EEiiiiiiiiiiiliiliiiiil.uses_flat_scratch, or(0, .L_ZL14no_device_codePKciS0_iS0_.uses_flat_scratch)
	.set _ZL15flash_attn_tileILi112ELi112ELi16ELi4ELb1EEvPKcS1_S1_S1_S1_PKiPfP15HIP_vector_typeIfLj2EEffffjfiS5_IjLj3EEiiiiiiiiiiiliiliiiiil.has_dyn_sized_stack, or(0, .L_ZL14no_device_codePKciS0_iS0_.has_dyn_sized_stack)
	.set _ZL15flash_attn_tileILi112ELi112ELi16ELi4ELb1EEvPKcS1_S1_S1_S1_PKiPfP15HIP_vector_typeIfLj2EEffffjfiS5_IjLj3EEiiiiiiiiiiiliiliiiiil.has_recursion, or(0, .L_ZL14no_device_codePKciS0_iS0_.has_recursion)
	.set _ZL15flash_attn_tileILi112ELi112ELi16ELi4ELb1EEvPKcS1_S1_S1_S1_PKiPfP15HIP_vector_typeIfLj2EEffffjfiS5_IjLj3EEiiiiiiiiiiiliiliiiiil.has_indirect_call, or(0, .L_ZL14no_device_codePKciS0_iS0_.has_indirect_call)
	.section	.AMDGPU.csdata,"",@progbits
; Kernel info:
; codeLenInByte = 48
; TotalNumSgprs: 36
; NumVgprs: 40
; ScratchSize: 16
; MemoryBound: 0
; FloatMode: 240
; IeeeMode: 1
; LDSByteSize: 0 bytes/workgroup (compile time only)
; SGPRBlocks: 0
; VGPRBlocks: 4
; NumSGPRsForWavesPerEU: 36
; NumVGPRsForWavesPerEU: 40
; Occupancy: 16
; WaveLimiterHint : 1
; COMPUTE_PGM_RSRC2:SCRATCH_EN: 1
; COMPUTE_PGM_RSRC2:USER_SGPR: 6
; COMPUTE_PGM_RSRC2:TRAP_HANDLER: 0
; COMPUTE_PGM_RSRC2:TGID_X_EN: 1
; COMPUTE_PGM_RSRC2:TGID_Y_EN: 0
; COMPUTE_PGM_RSRC2:TGID_Z_EN: 0
; COMPUTE_PGM_RSRC2:TIDIG_COMP_CNT: 0
	.section	.text._ZL15flash_attn_tileILi112ELi112ELi8ELi4ELb1EEvPKcS1_S1_S1_S1_PKiPfP15HIP_vector_typeIfLj2EEffffjfiS5_IjLj3EEiiiiiiiiiiiliiliiiiil,"axG",@progbits,_ZL15flash_attn_tileILi112ELi112ELi8ELi4ELb1EEvPKcS1_S1_S1_S1_PKiPfP15HIP_vector_typeIfLj2EEffffjfiS5_IjLj3EEiiiiiiiiiiiliiliiiiil,comdat
	.globl	_ZL15flash_attn_tileILi112ELi112ELi8ELi4ELb1EEvPKcS1_S1_S1_S1_PKiPfP15HIP_vector_typeIfLj2EEffffjfiS5_IjLj3EEiiiiiiiiiiiliiliiiiil ; -- Begin function _ZL15flash_attn_tileILi112ELi112ELi8ELi4ELb1EEvPKcS1_S1_S1_S1_PKiPfP15HIP_vector_typeIfLj2EEffffjfiS5_IjLj3EEiiiiiiiiiiiliiliiiiil
	.p2align	8
	.type	_ZL15flash_attn_tileILi112ELi112ELi8ELi4ELb1EEvPKcS1_S1_S1_S1_PKiPfP15HIP_vector_typeIfLj2EEffffjfiS5_IjLj3EEiiiiiiiiiiiliiliiiiil,@function
_ZL15flash_attn_tileILi112ELi112ELi8ELi4ELb1EEvPKcS1_S1_S1_S1_PKiPfP15HIP_vector_typeIfLj2EEffffjfiS5_IjLj3EEiiiiiiiiiiiliiliiiiil: ; @_ZL15flash_attn_tileILi112ELi112ELi8ELi4ELb1EEvPKcS1_S1_S1_S1_PKiPfP15HIP_vector_typeIfLj2EEffffjfiS5_IjLj3EEiiiiiiiiiiiliiliiiiil
; %bb.0:
	s_add_u32 s0, s0, s7
	s_addc_u32 s1, s1, 0
	s_add_u32 s8, s4, 0xd0
	s_addc_u32 s9, s5, 0
	s_getpc_b64 s[4:5]
	s_add_u32 s4, s4, _ZL14no_device_codePKciS0_iS0_@rel32@lo+4
	s_addc_u32 s5, s5, _ZL14no_device_codePKciS0_iS0_@rel32@hi+12
	s_mov_b32 s32, 0
	s_swappc_b64 s[30:31], s[4:5]
	.section	.rodata,"a",@progbits
	.p2align	6, 0x0
	.amdhsa_kernel _ZL15flash_attn_tileILi112ELi112ELi8ELi4ELb1EEvPKcS1_S1_S1_S1_PKiPfP15HIP_vector_typeIfLj2EEffffjfiS5_IjLj3EEiiiiiiiiiiiliiliiiiil
		.amdhsa_group_segment_fixed_size 0
		.amdhsa_private_segment_fixed_size 16
		.amdhsa_kernarg_size 464
		.amdhsa_user_sgpr_count 6
		.amdhsa_user_sgpr_private_segment_buffer 1
		.amdhsa_user_sgpr_dispatch_ptr 0
		.amdhsa_user_sgpr_queue_ptr 0
		.amdhsa_user_sgpr_kernarg_segment_ptr 1
		.amdhsa_user_sgpr_dispatch_id 0
		.amdhsa_user_sgpr_flat_scratch_init 0
		.amdhsa_user_sgpr_private_segment_size 0
		.amdhsa_wavefront_size32 1
		.amdhsa_uses_dynamic_stack 0
		.amdhsa_system_sgpr_private_segment_wavefront_offset 1
		.amdhsa_system_sgpr_workgroup_id_x 1
		.amdhsa_system_sgpr_workgroup_id_y 0
		.amdhsa_system_sgpr_workgroup_id_z 0
		.amdhsa_system_sgpr_workgroup_info 0
		.amdhsa_system_vgpr_workitem_id 0
		.amdhsa_next_free_vgpr 40
		.amdhsa_next_free_sgpr 34
		.amdhsa_reserve_vcc 1
		.amdhsa_reserve_flat_scratch 0
		.amdhsa_float_round_mode_32 0
		.amdhsa_float_round_mode_16_64 0
		.amdhsa_float_denorm_mode_32 3
		.amdhsa_float_denorm_mode_16_64 3
		.amdhsa_dx10_clamp 1
		.amdhsa_ieee_mode 1
		.amdhsa_fp16_overflow 0
		.amdhsa_workgroup_processor_mode 1
		.amdhsa_memory_ordered 1
		.amdhsa_forward_progress 1
		.amdhsa_shared_vgpr_count 0
		.amdhsa_exception_fp_ieee_invalid_op 0
		.amdhsa_exception_fp_denorm_src 0
		.amdhsa_exception_fp_ieee_div_zero 0
		.amdhsa_exception_fp_ieee_overflow 0
		.amdhsa_exception_fp_ieee_underflow 0
		.amdhsa_exception_fp_ieee_inexact 0
		.amdhsa_exception_int_div_zero 0
	.end_amdhsa_kernel
	.section	.text._ZL15flash_attn_tileILi112ELi112ELi8ELi4ELb1EEvPKcS1_S1_S1_S1_PKiPfP15HIP_vector_typeIfLj2EEffffjfiS5_IjLj3EEiiiiiiiiiiiliiliiiiil,"axG",@progbits,_ZL15flash_attn_tileILi112ELi112ELi8ELi4ELb1EEvPKcS1_S1_S1_S1_PKiPfP15HIP_vector_typeIfLj2EEffffjfiS5_IjLj3EEiiiiiiiiiiiliiliiiiil,comdat
.Lfunc_end79:
	.size	_ZL15flash_attn_tileILi112ELi112ELi8ELi4ELb1EEvPKcS1_S1_S1_S1_PKiPfP15HIP_vector_typeIfLj2EEffffjfiS5_IjLj3EEiiiiiiiiiiiliiliiiiil, .Lfunc_end79-_ZL15flash_attn_tileILi112ELi112ELi8ELi4ELb1EEvPKcS1_S1_S1_S1_PKiPfP15HIP_vector_typeIfLj2EEffffjfiS5_IjLj3EEiiiiiiiiiiiliiliiiiil
                                        ; -- End function
	.set _ZL15flash_attn_tileILi112ELi112ELi8ELi4ELb1EEvPKcS1_S1_S1_S1_PKiPfP15HIP_vector_typeIfLj2EEffffjfiS5_IjLj3EEiiiiiiiiiiiliiliiiiil.num_vgpr, max(0, .L_ZL14no_device_codePKciS0_iS0_.num_vgpr)
	.set _ZL15flash_attn_tileILi112ELi112ELi8ELi4ELb1EEvPKcS1_S1_S1_S1_PKiPfP15HIP_vector_typeIfLj2EEffffjfiS5_IjLj3EEiiiiiiiiiiiliiliiiiil.num_agpr, max(0, .L_ZL14no_device_codePKciS0_iS0_.num_agpr)
	.set _ZL15flash_attn_tileILi112ELi112ELi8ELi4ELb1EEvPKcS1_S1_S1_S1_PKiPfP15HIP_vector_typeIfLj2EEffffjfiS5_IjLj3EEiiiiiiiiiiiliiliiiiil.numbered_sgpr, max(33, .L_ZL14no_device_codePKciS0_iS0_.numbered_sgpr)
	.set _ZL15flash_attn_tileILi112ELi112ELi8ELi4ELb1EEvPKcS1_S1_S1_S1_PKiPfP15HIP_vector_typeIfLj2EEffffjfiS5_IjLj3EEiiiiiiiiiiiliiliiiiil.num_named_barrier, max(0, .L_ZL14no_device_codePKciS0_iS0_.num_named_barrier)
	.set _ZL15flash_attn_tileILi112ELi112ELi8ELi4ELb1EEvPKcS1_S1_S1_S1_PKiPfP15HIP_vector_typeIfLj2EEffffjfiS5_IjLj3EEiiiiiiiiiiiliiliiiiil.private_seg_size, 0+max(.L_ZL14no_device_codePKciS0_iS0_.private_seg_size)
	.set _ZL15flash_attn_tileILi112ELi112ELi8ELi4ELb1EEvPKcS1_S1_S1_S1_PKiPfP15HIP_vector_typeIfLj2EEffffjfiS5_IjLj3EEiiiiiiiiiiiliiliiiiil.uses_vcc, or(1, .L_ZL14no_device_codePKciS0_iS0_.uses_vcc)
	.set _ZL15flash_attn_tileILi112ELi112ELi8ELi4ELb1EEvPKcS1_S1_S1_S1_PKiPfP15HIP_vector_typeIfLj2EEffffjfiS5_IjLj3EEiiiiiiiiiiiliiliiiiil.uses_flat_scratch, or(0, .L_ZL14no_device_codePKciS0_iS0_.uses_flat_scratch)
	.set _ZL15flash_attn_tileILi112ELi112ELi8ELi4ELb1EEvPKcS1_S1_S1_S1_PKiPfP15HIP_vector_typeIfLj2EEffffjfiS5_IjLj3EEiiiiiiiiiiiliiliiiiil.has_dyn_sized_stack, or(0, .L_ZL14no_device_codePKciS0_iS0_.has_dyn_sized_stack)
	.set _ZL15flash_attn_tileILi112ELi112ELi8ELi4ELb1EEvPKcS1_S1_S1_S1_PKiPfP15HIP_vector_typeIfLj2EEffffjfiS5_IjLj3EEiiiiiiiiiiiliiliiiiil.has_recursion, or(0, .L_ZL14no_device_codePKciS0_iS0_.has_recursion)
	.set _ZL15flash_attn_tileILi112ELi112ELi8ELi4ELb1EEvPKcS1_S1_S1_S1_PKiPfP15HIP_vector_typeIfLj2EEffffjfiS5_IjLj3EEiiiiiiiiiiiliiliiiiil.has_indirect_call, or(0, .L_ZL14no_device_codePKciS0_iS0_.has_indirect_call)
	.section	.AMDGPU.csdata,"",@progbits
; Kernel info:
; codeLenInByte = 48
; TotalNumSgprs: 36
; NumVgprs: 40
; ScratchSize: 16
; MemoryBound: 0
; FloatMode: 240
; IeeeMode: 1
; LDSByteSize: 0 bytes/workgroup (compile time only)
; SGPRBlocks: 0
; VGPRBlocks: 4
; NumSGPRsForWavesPerEU: 36
; NumVGPRsForWavesPerEU: 40
; Occupancy: 16
; WaveLimiterHint : 1
; COMPUTE_PGM_RSRC2:SCRATCH_EN: 1
; COMPUTE_PGM_RSRC2:USER_SGPR: 6
; COMPUTE_PGM_RSRC2:TRAP_HANDLER: 0
; COMPUTE_PGM_RSRC2:TGID_X_EN: 1
; COMPUTE_PGM_RSRC2:TGID_Y_EN: 0
; COMPUTE_PGM_RSRC2:TGID_Z_EN: 0
; COMPUTE_PGM_RSRC2:TIDIG_COMP_CNT: 0
	.section	.text._ZL15flash_attn_tileILi112ELi112ELi4ELi4ELb1EEvPKcS1_S1_S1_S1_PKiPfP15HIP_vector_typeIfLj2EEffffjfiS5_IjLj3EEiiiiiiiiiiiliiliiiiil,"axG",@progbits,_ZL15flash_attn_tileILi112ELi112ELi4ELi4ELb1EEvPKcS1_S1_S1_S1_PKiPfP15HIP_vector_typeIfLj2EEffffjfiS5_IjLj3EEiiiiiiiiiiiliiliiiiil,comdat
	.globl	_ZL15flash_attn_tileILi112ELi112ELi4ELi4ELb1EEvPKcS1_S1_S1_S1_PKiPfP15HIP_vector_typeIfLj2EEffffjfiS5_IjLj3EEiiiiiiiiiiiliiliiiiil ; -- Begin function _ZL15flash_attn_tileILi112ELi112ELi4ELi4ELb1EEvPKcS1_S1_S1_S1_PKiPfP15HIP_vector_typeIfLj2EEffffjfiS5_IjLj3EEiiiiiiiiiiiliiliiiiil
	.p2align	8
	.type	_ZL15flash_attn_tileILi112ELi112ELi4ELi4ELb1EEvPKcS1_S1_S1_S1_PKiPfP15HIP_vector_typeIfLj2EEffffjfiS5_IjLj3EEiiiiiiiiiiiliiliiiiil,@function
_ZL15flash_attn_tileILi112ELi112ELi4ELi4ELb1EEvPKcS1_S1_S1_S1_PKiPfP15HIP_vector_typeIfLj2EEffffjfiS5_IjLj3EEiiiiiiiiiiiliiliiiiil: ; @_ZL15flash_attn_tileILi112ELi112ELi4ELi4ELb1EEvPKcS1_S1_S1_S1_PKiPfP15HIP_vector_typeIfLj2EEffffjfiS5_IjLj3EEiiiiiiiiiiiliiliiiiil
; %bb.0:
	s_add_u32 s0, s0, s7
	s_addc_u32 s1, s1, 0
	s_add_u32 s8, s4, 0xd0
	s_addc_u32 s9, s5, 0
	s_getpc_b64 s[4:5]
	s_add_u32 s4, s4, _ZL14no_device_codePKciS0_iS0_@rel32@lo+4
	s_addc_u32 s5, s5, _ZL14no_device_codePKciS0_iS0_@rel32@hi+12
	s_mov_b32 s32, 0
	s_swappc_b64 s[30:31], s[4:5]
	.section	.rodata,"a",@progbits
	.p2align	6, 0x0
	.amdhsa_kernel _ZL15flash_attn_tileILi112ELi112ELi4ELi4ELb1EEvPKcS1_S1_S1_S1_PKiPfP15HIP_vector_typeIfLj2EEffffjfiS5_IjLj3EEiiiiiiiiiiiliiliiiiil
		.amdhsa_group_segment_fixed_size 0
		.amdhsa_private_segment_fixed_size 16
		.amdhsa_kernarg_size 464
		.amdhsa_user_sgpr_count 6
		.amdhsa_user_sgpr_private_segment_buffer 1
		.amdhsa_user_sgpr_dispatch_ptr 0
		.amdhsa_user_sgpr_queue_ptr 0
		.amdhsa_user_sgpr_kernarg_segment_ptr 1
		.amdhsa_user_sgpr_dispatch_id 0
		.amdhsa_user_sgpr_flat_scratch_init 0
		.amdhsa_user_sgpr_private_segment_size 0
		.amdhsa_wavefront_size32 1
		.amdhsa_uses_dynamic_stack 0
		.amdhsa_system_sgpr_private_segment_wavefront_offset 1
		.amdhsa_system_sgpr_workgroup_id_x 1
		.amdhsa_system_sgpr_workgroup_id_y 0
		.amdhsa_system_sgpr_workgroup_id_z 0
		.amdhsa_system_sgpr_workgroup_info 0
		.amdhsa_system_vgpr_workitem_id 0
		.amdhsa_next_free_vgpr 40
		.amdhsa_next_free_sgpr 34
		.amdhsa_reserve_vcc 1
		.amdhsa_reserve_flat_scratch 0
		.amdhsa_float_round_mode_32 0
		.amdhsa_float_round_mode_16_64 0
		.amdhsa_float_denorm_mode_32 3
		.amdhsa_float_denorm_mode_16_64 3
		.amdhsa_dx10_clamp 1
		.amdhsa_ieee_mode 1
		.amdhsa_fp16_overflow 0
		.amdhsa_workgroup_processor_mode 1
		.amdhsa_memory_ordered 1
		.amdhsa_forward_progress 1
		.amdhsa_shared_vgpr_count 0
		.amdhsa_exception_fp_ieee_invalid_op 0
		.amdhsa_exception_fp_denorm_src 0
		.amdhsa_exception_fp_ieee_div_zero 0
		.amdhsa_exception_fp_ieee_overflow 0
		.amdhsa_exception_fp_ieee_underflow 0
		.amdhsa_exception_fp_ieee_inexact 0
		.amdhsa_exception_int_div_zero 0
	.end_amdhsa_kernel
	.section	.text._ZL15flash_attn_tileILi112ELi112ELi4ELi4ELb1EEvPKcS1_S1_S1_S1_PKiPfP15HIP_vector_typeIfLj2EEffffjfiS5_IjLj3EEiiiiiiiiiiiliiliiiiil,"axG",@progbits,_ZL15flash_attn_tileILi112ELi112ELi4ELi4ELb1EEvPKcS1_S1_S1_S1_PKiPfP15HIP_vector_typeIfLj2EEffffjfiS5_IjLj3EEiiiiiiiiiiiliiliiiiil,comdat
.Lfunc_end80:
	.size	_ZL15flash_attn_tileILi112ELi112ELi4ELi4ELb1EEvPKcS1_S1_S1_S1_PKiPfP15HIP_vector_typeIfLj2EEffffjfiS5_IjLj3EEiiiiiiiiiiiliiliiiiil, .Lfunc_end80-_ZL15flash_attn_tileILi112ELi112ELi4ELi4ELb1EEvPKcS1_S1_S1_S1_PKiPfP15HIP_vector_typeIfLj2EEffffjfiS5_IjLj3EEiiiiiiiiiiiliiliiiiil
                                        ; -- End function
	.set _ZL15flash_attn_tileILi112ELi112ELi4ELi4ELb1EEvPKcS1_S1_S1_S1_PKiPfP15HIP_vector_typeIfLj2EEffffjfiS5_IjLj3EEiiiiiiiiiiiliiliiiiil.num_vgpr, max(0, .L_ZL14no_device_codePKciS0_iS0_.num_vgpr)
	.set _ZL15flash_attn_tileILi112ELi112ELi4ELi4ELb1EEvPKcS1_S1_S1_S1_PKiPfP15HIP_vector_typeIfLj2EEffffjfiS5_IjLj3EEiiiiiiiiiiiliiliiiiil.num_agpr, max(0, .L_ZL14no_device_codePKciS0_iS0_.num_agpr)
	.set _ZL15flash_attn_tileILi112ELi112ELi4ELi4ELb1EEvPKcS1_S1_S1_S1_PKiPfP15HIP_vector_typeIfLj2EEffffjfiS5_IjLj3EEiiiiiiiiiiiliiliiiiil.numbered_sgpr, max(33, .L_ZL14no_device_codePKciS0_iS0_.numbered_sgpr)
	.set _ZL15flash_attn_tileILi112ELi112ELi4ELi4ELb1EEvPKcS1_S1_S1_S1_PKiPfP15HIP_vector_typeIfLj2EEffffjfiS5_IjLj3EEiiiiiiiiiiiliiliiiiil.num_named_barrier, max(0, .L_ZL14no_device_codePKciS0_iS0_.num_named_barrier)
	.set _ZL15flash_attn_tileILi112ELi112ELi4ELi4ELb1EEvPKcS1_S1_S1_S1_PKiPfP15HIP_vector_typeIfLj2EEffffjfiS5_IjLj3EEiiiiiiiiiiiliiliiiiil.private_seg_size, 0+max(.L_ZL14no_device_codePKciS0_iS0_.private_seg_size)
	.set _ZL15flash_attn_tileILi112ELi112ELi4ELi4ELb1EEvPKcS1_S1_S1_S1_PKiPfP15HIP_vector_typeIfLj2EEffffjfiS5_IjLj3EEiiiiiiiiiiiliiliiiiil.uses_vcc, or(1, .L_ZL14no_device_codePKciS0_iS0_.uses_vcc)
	.set _ZL15flash_attn_tileILi112ELi112ELi4ELi4ELb1EEvPKcS1_S1_S1_S1_PKiPfP15HIP_vector_typeIfLj2EEffffjfiS5_IjLj3EEiiiiiiiiiiiliiliiiiil.uses_flat_scratch, or(0, .L_ZL14no_device_codePKciS0_iS0_.uses_flat_scratch)
	.set _ZL15flash_attn_tileILi112ELi112ELi4ELi4ELb1EEvPKcS1_S1_S1_S1_PKiPfP15HIP_vector_typeIfLj2EEffffjfiS5_IjLj3EEiiiiiiiiiiiliiliiiiil.has_dyn_sized_stack, or(0, .L_ZL14no_device_codePKciS0_iS0_.has_dyn_sized_stack)
	.set _ZL15flash_attn_tileILi112ELi112ELi4ELi4ELb1EEvPKcS1_S1_S1_S1_PKiPfP15HIP_vector_typeIfLj2EEffffjfiS5_IjLj3EEiiiiiiiiiiiliiliiiiil.has_recursion, or(0, .L_ZL14no_device_codePKciS0_iS0_.has_recursion)
	.set _ZL15flash_attn_tileILi112ELi112ELi4ELi4ELb1EEvPKcS1_S1_S1_S1_PKiPfP15HIP_vector_typeIfLj2EEffffjfiS5_IjLj3EEiiiiiiiiiiiliiliiiiil.has_indirect_call, or(0, .L_ZL14no_device_codePKciS0_iS0_.has_indirect_call)
	.section	.AMDGPU.csdata,"",@progbits
; Kernel info:
; codeLenInByte = 48
; TotalNumSgprs: 36
; NumVgprs: 40
; ScratchSize: 16
; MemoryBound: 0
; FloatMode: 240
; IeeeMode: 1
; LDSByteSize: 0 bytes/workgroup (compile time only)
; SGPRBlocks: 0
; VGPRBlocks: 4
; NumSGPRsForWavesPerEU: 36
; NumVGPRsForWavesPerEU: 40
; Occupancy: 16
; WaveLimiterHint : 1
; COMPUTE_PGM_RSRC2:SCRATCH_EN: 1
; COMPUTE_PGM_RSRC2:USER_SGPR: 6
; COMPUTE_PGM_RSRC2:TRAP_HANDLER: 0
; COMPUTE_PGM_RSRC2:TGID_X_EN: 1
; COMPUTE_PGM_RSRC2:TGID_Y_EN: 0
; COMPUTE_PGM_RSRC2:TGID_Z_EN: 0
; COMPUTE_PGM_RSRC2:TIDIG_COMP_CNT: 0
	.section	.text._ZL15flash_attn_tileILi112ELi112ELi2ELi4ELb1EEvPKcS1_S1_S1_S1_PKiPfP15HIP_vector_typeIfLj2EEffffjfiS5_IjLj3EEiiiiiiiiiiiliiliiiiil,"axG",@progbits,_ZL15flash_attn_tileILi112ELi112ELi2ELi4ELb1EEvPKcS1_S1_S1_S1_PKiPfP15HIP_vector_typeIfLj2EEffffjfiS5_IjLj3EEiiiiiiiiiiiliiliiiiil,comdat
	.globl	_ZL15flash_attn_tileILi112ELi112ELi2ELi4ELb1EEvPKcS1_S1_S1_S1_PKiPfP15HIP_vector_typeIfLj2EEffffjfiS5_IjLj3EEiiiiiiiiiiiliiliiiiil ; -- Begin function _ZL15flash_attn_tileILi112ELi112ELi2ELi4ELb1EEvPKcS1_S1_S1_S1_PKiPfP15HIP_vector_typeIfLj2EEffffjfiS5_IjLj3EEiiiiiiiiiiiliiliiiiil
	.p2align	8
	.type	_ZL15flash_attn_tileILi112ELi112ELi2ELi4ELb1EEvPKcS1_S1_S1_S1_PKiPfP15HIP_vector_typeIfLj2EEffffjfiS5_IjLj3EEiiiiiiiiiiiliiliiiiil,@function
_ZL15flash_attn_tileILi112ELi112ELi2ELi4ELb1EEvPKcS1_S1_S1_S1_PKiPfP15HIP_vector_typeIfLj2EEffffjfiS5_IjLj3EEiiiiiiiiiiiliiliiiiil: ; @_ZL15flash_attn_tileILi112ELi112ELi2ELi4ELb1EEvPKcS1_S1_S1_S1_PKiPfP15HIP_vector_typeIfLj2EEffffjfiS5_IjLj3EEiiiiiiiiiiiliiliiiiil
; %bb.0:
	s_add_u32 s0, s0, s7
	s_addc_u32 s1, s1, 0
	s_add_u32 s8, s4, 0xd0
	s_addc_u32 s9, s5, 0
	s_getpc_b64 s[4:5]
	s_add_u32 s4, s4, _ZL14no_device_codePKciS0_iS0_@rel32@lo+4
	s_addc_u32 s5, s5, _ZL14no_device_codePKciS0_iS0_@rel32@hi+12
	s_mov_b32 s32, 0
	s_swappc_b64 s[30:31], s[4:5]
	.section	.rodata,"a",@progbits
	.p2align	6, 0x0
	.amdhsa_kernel _ZL15flash_attn_tileILi112ELi112ELi2ELi4ELb1EEvPKcS1_S1_S1_S1_PKiPfP15HIP_vector_typeIfLj2EEffffjfiS5_IjLj3EEiiiiiiiiiiiliiliiiiil
		.amdhsa_group_segment_fixed_size 0
		.amdhsa_private_segment_fixed_size 16
		.amdhsa_kernarg_size 464
		.amdhsa_user_sgpr_count 6
		.amdhsa_user_sgpr_private_segment_buffer 1
		.amdhsa_user_sgpr_dispatch_ptr 0
		.amdhsa_user_sgpr_queue_ptr 0
		.amdhsa_user_sgpr_kernarg_segment_ptr 1
		.amdhsa_user_sgpr_dispatch_id 0
		.amdhsa_user_sgpr_flat_scratch_init 0
		.amdhsa_user_sgpr_private_segment_size 0
		.amdhsa_wavefront_size32 1
		.amdhsa_uses_dynamic_stack 0
		.amdhsa_system_sgpr_private_segment_wavefront_offset 1
		.amdhsa_system_sgpr_workgroup_id_x 1
		.amdhsa_system_sgpr_workgroup_id_y 0
		.amdhsa_system_sgpr_workgroup_id_z 0
		.amdhsa_system_sgpr_workgroup_info 0
		.amdhsa_system_vgpr_workitem_id 0
		.amdhsa_next_free_vgpr 40
		.amdhsa_next_free_sgpr 34
		.amdhsa_reserve_vcc 1
		.amdhsa_reserve_flat_scratch 0
		.amdhsa_float_round_mode_32 0
		.amdhsa_float_round_mode_16_64 0
		.amdhsa_float_denorm_mode_32 3
		.amdhsa_float_denorm_mode_16_64 3
		.amdhsa_dx10_clamp 1
		.amdhsa_ieee_mode 1
		.amdhsa_fp16_overflow 0
		.amdhsa_workgroup_processor_mode 1
		.amdhsa_memory_ordered 1
		.amdhsa_forward_progress 1
		.amdhsa_shared_vgpr_count 0
		.amdhsa_exception_fp_ieee_invalid_op 0
		.amdhsa_exception_fp_denorm_src 0
		.amdhsa_exception_fp_ieee_div_zero 0
		.amdhsa_exception_fp_ieee_overflow 0
		.amdhsa_exception_fp_ieee_underflow 0
		.amdhsa_exception_fp_ieee_inexact 0
		.amdhsa_exception_int_div_zero 0
	.end_amdhsa_kernel
	.section	.text._ZL15flash_attn_tileILi112ELi112ELi2ELi4ELb1EEvPKcS1_S1_S1_S1_PKiPfP15HIP_vector_typeIfLj2EEffffjfiS5_IjLj3EEiiiiiiiiiiiliiliiiiil,"axG",@progbits,_ZL15flash_attn_tileILi112ELi112ELi2ELi4ELb1EEvPKcS1_S1_S1_S1_PKiPfP15HIP_vector_typeIfLj2EEffffjfiS5_IjLj3EEiiiiiiiiiiiliiliiiiil,comdat
.Lfunc_end81:
	.size	_ZL15flash_attn_tileILi112ELi112ELi2ELi4ELb1EEvPKcS1_S1_S1_S1_PKiPfP15HIP_vector_typeIfLj2EEffffjfiS5_IjLj3EEiiiiiiiiiiiliiliiiiil, .Lfunc_end81-_ZL15flash_attn_tileILi112ELi112ELi2ELi4ELb1EEvPKcS1_S1_S1_S1_PKiPfP15HIP_vector_typeIfLj2EEffffjfiS5_IjLj3EEiiiiiiiiiiiliiliiiiil
                                        ; -- End function
	.set _ZL15flash_attn_tileILi112ELi112ELi2ELi4ELb1EEvPKcS1_S1_S1_S1_PKiPfP15HIP_vector_typeIfLj2EEffffjfiS5_IjLj3EEiiiiiiiiiiiliiliiiiil.num_vgpr, max(0, .L_ZL14no_device_codePKciS0_iS0_.num_vgpr)
	.set _ZL15flash_attn_tileILi112ELi112ELi2ELi4ELb1EEvPKcS1_S1_S1_S1_PKiPfP15HIP_vector_typeIfLj2EEffffjfiS5_IjLj3EEiiiiiiiiiiiliiliiiiil.num_agpr, max(0, .L_ZL14no_device_codePKciS0_iS0_.num_agpr)
	.set _ZL15flash_attn_tileILi112ELi112ELi2ELi4ELb1EEvPKcS1_S1_S1_S1_PKiPfP15HIP_vector_typeIfLj2EEffffjfiS5_IjLj3EEiiiiiiiiiiiliiliiiiil.numbered_sgpr, max(33, .L_ZL14no_device_codePKciS0_iS0_.numbered_sgpr)
	.set _ZL15flash_attn_tileILi112ELi112ELi2ELi4ELb1EEvPKcS1_S1_S1_S1_PKiPfP15HIP_vector_typeIfLj2EEffffjfiS5_IjLj3EEiiiiiiiiiiiliiliiiiil.num_named_barrier, max(0, .L_ZL14no_device_codePKciS0_iS0_.num_named_barrier)
	.set _ZL15flash_attn_tileILi112ELi112ELi2ELi4ELb1EEvPKcS1_S1_S1_S1_PKiPfP15HIP_vector_typeIfLj2EEffffjfiS5_IjLj3EEiiiiiiiiiiiliiliiiiil.private_seg_size, 0+max(.L_ZL14no_device_codePKciS0_iS0_.private_seg_size)
	.set _ZL15flash_attn_tileILi112ELi112ELi2ELi4ELb1EEvPKcS1_S1_S1_S1_PKiPfP15HIP_vector_typeIfLj2EEffffjfiS5_IjLj3EEiiiiiiiiiiiliiliiiiil.uses_vcc, or(1, .L_ZL14no_device_codePKciS0_iS0_.uses_vcc)
	.set _ZL15flash_attn_tileILi112ELi112ELi2ELi4ELb1EEvPKcS1_S1_S1_S1_PKiPfP15HIP_vector_typeIfLj2EEffffjfiS5_IjLj3EEiiiiiiiiiiiliiliiiiil.uses_flat_scratch, or(0, .L_ZL14no_device_codePKciS0_iS0_.uses_flat_scratch)
	.set _ZL15flash_attn_tileILi112ELi112ELi2ELi4ELb1EEvPKcS1_S1_S1_S1_PKiPfP15HIP_vector_typeIfLj2EEffffjfiS5_IjLj3EEiiiiiiiiiiiliiliiiiil.has_dyn_sized_stack, or(0, .L_ZL14no_device_codePKciS0_iS0_.has_dyn_sized_stack)
	.set _ZL15flash_attn_tileILi112ELi112ELi2ELi4ELb1EEvPKcS1_S1_S1_S1_PKiPfP15HIP_vector_typeIfLj2EEffffjfiS5_IjLj3EEiiiiiiiiiiiliiliiiiil.has_recursion, or(0, .L_ZL14no_device_codePKciS0_iS0_.has_recursion)
	.set _ZL15flash_attn_tileILi112ELi112ELi2ELi4ELb1EEvPKcS1_S1_S1_S1_PKiPfP15HIP_vector_typeIfLj2EEffffjfiS5_IjLj3EEiiiiiiiiiiiliiliiiiil.has_indirect_call, or(0, .L_ZL14no_device_codePKciS0_iS0_.has_indirect_call)
	.section	.AMDGPU.csdata,"",@progbits
; Kernel info:
; codeLenInByte = 48
; TotalNumSgprs: 36
; NumVgprs: 40
; ScratchSize: 16
; MemoryBound: 0
; FloatMode: 240
; IeeeMode: 1
; LDSByteSize: 0 bytes/workgroup (compile time only)
; SGPRBlocks: 0
; VGPRBlocks: 4
; NumSGPRsForWavesPerEU: 36
; NumVGPRsForWavesPerEU: 40
; Occupancy: 16
; WaveLimiterHint : 1
; COMPUTE_PGM_RSRC2:SCRATCH_EN: 1
; COMPUTE_PGM_RSRC2:USER_SGPR: 6
; COMPUTE_PGM_RSRC2:TRAP_HANDLER: 0
; COMPUTE_PGM_RSRC2:TGID_X_EN: 1
; COMPUTE_PGM_RSRC2:TGID_Y_EN: 0
; COMPUTE_PGM_RSRC2:TGID_Z_EN: 0
; COMPUTE_PGM_RSRC2:TIDIG_COMP_CNT: 0
	.section	.text._ZL15flash_attn_tileILi112ELi112ELi1ELi4ELb1EEvPKcS1_S1_S1_S1_PKiPfP15HIP_vector_typeIfLj2EEffffjfiS5_IjLj3EEiiiiiiiiiiiliiliiiiil,"axG",@progbits,_ZL15flash_attn_tileILi112ELi112ELi1ELi4ELb1EEvPKcS1_S1_S1_S1_PKiPfP15HIP_vector_typeIfLj2EEffffjfiS5_IjLj3EEiiiiiiiiiiiliiliiiiil,comdat
	.globl	_ZL15flash_attn_tileILi112ELi112ELi1ELi4ELb1EEvPKcS1_S1_S1_S1_PKiPfP15HIP_vector_typeIfLj2EEffffjfiS5_IjLj3EEiiiiiiiiiiiliiliiiiil ; -- Begin function _ZL15flash_attn_tileILi112ELi112ELi1ELi4ELb1EEvPKcS1_S1_S1_S1_PKiPfP15HIP_vector_typeIfLj2EEffffjfiS5_IjLj3EEiiiiiiiiiiiliiliiiiil
	.p2align	8
	.type	_ZL15flash_attn_tileILi112ELi112ELi1ELi4ELb1EEvPKcS1_S1_S1_S1_PKiPfP15HIP_vector_typeIfLj2EEffffjfiS5_IjLj3EEiiiiiiiiiiiliiliiiiil,@function
_ZL15flash_attn_tileILi112ELi112ELi1ELi4ELb1EEvPKcS1_S1_S1_S1_PKiPfP15HIP_vector_typeIfLj2EEffffjfiS5_IjLj3EEiiiiiiiiiiiliiliiiiil: ; @_ZL15flash_attn_tileILi112ELi112ELi1ELi4ELb1EEvPKcS1_S1_S1_S1_PKiPfP15HIP_vector_typeIfLj2EEffffjfiS5_IjLj3EEiiiiiiiiiiiliiliiiiil
; %bb.0:
	s_add_u32 s0, s0, s7
	s_addc_u32 s1, s1, 0
	s_add_u32 s8, s4, 0xd0
	s_addc_u32 s9, s5, 0
	s_getpc_b64 s[4:5]
	s_add_u32 s4, s4, _ZL14no_device_codePKciS0_iS0_@rel32@lo+4
	s_addc_u32 s5, s5, _ZL14no_device_codePKciS0_iS0_@rel32@hi+12
	s_mov_b32 s32, 0
	s_swappc_b64 s[30:31], s[4:5]
	.section	.rodata,"a",@progbits
	.p2align	6, 0x0
	.amdhsa_kernel _ZL15flash_attn_tileILi112ELi112ELi1ELi4ELb1EEvPKcS1_S1_S1_S1_PKiPfP15HIP_vector_typeIfLj2EEffffjfiS5_IjLj3EEiiiiiiiiiiiliiliiiiil
		.amdhsa_group_segment_fixed_size 0
		.amdhsa_private_segment_fixed_size 16
		.amdhsa_kernarg_size 464
		.amdhsa_user_sgpr_count 6
		.amdhsa_user_sgpr_private_segment_buffer 1
		.amdhsa_user_sgpr_dispatch_ptr 0
		.amdhsa_user_sgpr_queue_ptr 0
		.amdhsa_user_sgpr_kernarg_segment_ptr 1
		.amdhsa_user_sgpr_dispatch_id 0
		.amdhsa_user_sgpr_flat_scratch_init 0
		.amdhsa_user_sgpr_private_segment_size 0
		.amdhsa_wavefront_size32 1
		.amdhsa_uses_dynamic_stack 0
		.amdhsa_system_sgpr_private_segment_wavefront_offset 1
		.amdhsa_system_sgpr_workgroup_id_x 1
		.amdhsa_system_sgpr_workgroup_id_y 0
		.amdhsa_system_sgpr_workgroup_id_z 0
		.amdhsa_system_sgpr_workgroup_info 0
		.amdhsa_system_vgpr_workitem_id 0
		.amdhsa_next_free_vgpr 40
		.amdhsa_next_free_sgpr 34
		.amdhsa_reserve_vcc 1
		.amdhsa_reserve_flat_scratch 0
		.amdhsa_float_round_mode_32 0
		.amdhsa_float_round_mode_16_64 0
		.amdhsa_float_denorm_mode_32 3
		.amdhsa_float_denorm_mode_16_64 3
		.amdhsa_dx10_clamp 1
		.amdhsa_ieee_mode 1
		.amdhsa_fp16_overflow 0
		.amdhsa_workgroup_processor_mode 1
		.amdhsa_memory_ordered 1
		.amdhsa_forward_progress 1
		.amdhsa_shared_vgpr_count 0
		.amdhsa_exception_fp_ieee_invalid_op 0
		.amdhsa_exception_fp_denorm_src 0
		.amdhsa_exception_fp_ieee_div_zero 0
		.amdhsa_exception_fp_ieee_overflow 0
		.amdhsa_exception_fp_ieee_underflow 0
		.amdhsa_exception_fp_ieee_inexact 0
		.amdhsa_exception_int_div_zero 0
	.end_amdhsa_kernel
	.section	.text._ZL15flash_attn_tileILi112ELi112ELi1ELi4ELb1EEvPKcS1_S1_S1_S1_PKiPfP15HIP_vector_typeIfLj2EEffffjfiS5_IjLj3EEiiiiiiiiiiiliiliiiiil,"axG",@progbits,_ZL15flash_attn_tileILi112ELi112ELi1ELi4ELb1EEvPKcS1_S1_S1_S1_PKiPfP15HIP_vector_typeIfLj2EEffffjfiS5_IjLj3EEiiiiiiiiiiiliiliiiiil,comdat
.Lfunc_end82:
	.size	_ZL15flash_attn_tileILi112ELi112ELi1ELi4ELb1EEvPKcS1_S1_S1_S1_PKiPfP15HIP_vector_typeIfLj2EEffffjfiS5_IjLj3EEiiiiiiiiiiiliiliiiiil, .Lfunc_end82-_ZL15flash_attn_tileILi112ELi112ELi1ELi4ELb1EEvPKcS1_S1_S1_S1_PKiPfP15HIP_vector_typeIfLj2EEffffjfiS5_IjLj3EEiiiiiiiiiiiliiliiiiil
                                        ; -- End function
	.set _ZL15flash_attn_tileILi112ELi112ELi1ELi4ELb1EEvPKcS1_S1_S1_S1_PKiPfP15HIP_vector_typeIfLj2EEffffjfiS5_IjLj3EEiiiiiiiiiiiliiliiiiil.num_vgpr, max(0, .L_ZL14no_device_codePKciS0_iS0_.num_vgpr)
	.set _ZL15flash_attn_tileILi112ELi112ELi1ELi4ELb1EEvPKcS1_S1_S1_S1_PKiPfP15HIP_vector_typeIfLj2EEffffjfiS5_IjLj3EEiiiiiiiiiiiliiliiiiil.num_agpr, max(0, .L_ZL14no_device_codePKciS0_iS0_.num_agpr)
	.set _ZL15flash_attn_tileILi112ELi112ELi1ELi4ELb1EEvPKcS1_S1_S1_S1_PKiPfP15HIP_vector_typeIfLj2EEffffjfiS5_IjLj3EEiiiiiiiiiiiliiliiiiil.numbered_sgpr, max(33, .L_ZL14no_device_codePKciS0_iS0_.numbered_sgpr)
	.set _ZL15flash_attn_tileILi112ELi112ELi1ELi4ELb1EEvPKcS1_S1_S1_S1_PKiPfP15HIP_vector_typeIfLj2EEffffjfiS5_IjLj3EEiiiiiiiiiiiliiliiiiil.num_named_barrier, max(0, .L_ZL14no_device_codePKciS0_iS0_.num_named_barrier)
	.set _ZL15flash_attn_tileILi112ELi112ELi1ELi4ELb1EEvPKcS1_S1_S1_S1_PKiPfP15HIP_vector_typeIfLj2EEffffjfiS5_IjLj3EEiiiiiiiiiiiliiliiiiil.private_seg_size, 0+max(.L_ZL14no_device_codePKciS0_iS0_.private_seg_size)
	.set _ZL15flash_attn_tileILi112ELi112ELi1ELi4ELb1EEvPKcS1_S1_S1_S1_PKiPfP15HIP_vector_typeIfLj2EEffffjfiS5_IjLj3EEiiiiiiiiiiiliiliiiiil.uses_vcc, or(1, .L_ZL14no_device_codePKciS0_iS0_.uses_vcc)
	.set _ZL15flash_attn_tileILi112ELi112ELi1ELi4ELb1EEvPKcS1_S1_S1_S1_PKiPfP15HIP_vector_typeIfLj2EEffffjfiS5_IjLj3EEiiiiiiiiiiiliiliiiiil.uses_flat_scratch, or(0, .L_ZL14no_device_codePKciS0_iS0_.uses_flat_scratch)
	.set _ZL15flash_attn_tileILi112ELi112ELi1ELi4ELb1EEvPKcS1_S1_S1_S1_PKiPfP15HIP_vector_typeIfLj2EEffffjfiS5_IjLj3EEiiiiiiiiiiiliiliiiiil.has_dyn_sized_stack, or(0, .L_ZL14no_device_codePKciS0_iS0_.has_dyn_sized_stack)
	.set _ZL15flash_attn_tileILi112ELi112ELi1ELi4ELb1EEvPKcS1_S1_S1_S1_PKiPfP15HIP_vector_typeIfLj2EEffffjfiS5_IjLj3EEiiiiiiiiiiiliiliiiiil.has_recursion, or(0, .L_ZL14no_device_codePKciS0_iS0_.has_recursion)
	.set _ZL15flash_attn_tileILi112ELi112ELi1ELi4ELb1EEvPKcS1_S1_S1_S1_PKiPfP15HIP_vector_typeIfLj2EEffffjfiS5_IjLj3EEiiiiiiiiiiiliiliiiiil.has_indirect_call, or(0, .L_ZL14no_device_codePKciS0_iS0_.has_indirect_call)
	.section	.AMDGPU.csdata,"",@progbits
; Kernel info:
; codeLenInByte = 48
; TotalNumSgprs: 36
; NumVgprs: 40
; ScratchSize: 16
; MemoryBound: 0
; FloatMode: 240
; IeeeMode: 1
; LDSByteSize: 0 bytes/workgroup (compile time only)
; SGPRBlocks: 0
; VGPRBlocks: 4
; NumSGPRsForWavesPerEU: 36
; NumVGPRsForWavesPerEU: 40
; Occupancy: 16
; WaveLimiterHint : 1
; COMPUTE_PGM_RSRC2:SCRATCH_EN: 1
; COMPUTE_PGM_RSRC2:USER_SGPR: 6
; COMPUTE_PGM_RSRC2:TRAP_HANDLER: 0
; COMPUTE_PGM_RSRC2:TGID_X_EN: 1
; COMPUTE_PGM_RSRC2:TGID_Y_EN: 0
; COMPUTE_PGM_RSRC2:TGID_Z_EN: 0
; COMPUTE_PGM_RSRC2:TIDIG_COMP_CNT: 0
	.section	.text._ZL15flash_attn_tileILi112ELi112ELi32ELi2ELb1EEvPKcS1_S1_S1_S1_PKiPfP15HIP_vector_typeIfLj2EEffffjfiS5_IjLj3EEiiiiiiiiiiiliiliiiiil,"axG",@progbits,_ZL15flash_attn_tileILi112ELi112ELi32ELi2ELb1EEvPKcS1_S1_S1_S1_PKiPfP15HIP_vector_typeIfLj2EEffffjfiS5_IjLj3EEiiiiiiiiiiiliiliiiiil,comdat
	.globl	_ZL15flash_attn_tileILi112ELi112ELi32ELi2ELb1EEvPKcS1_S1_S1_S1_PKiPfP15HIP_vector_typeIfLj2EEffffjfiS5_IjLj3EEiiiiiiiiiiiliiliiiiil ; -- Begin function _ZL15flash_attn_tileILi112ELi112ELi32ELi2ELb1EEvPKcS1_S1_S1_S1_PKiPfP15HIP_vector_typeIfLj2EEffffjfiS5_IjLj3EEiiiiiiiiiiiliiliiiiil
	.p2align	8
	.type	_ZL15flash_attn_tileILi112ELi112ELi32ELi2ELb1EEvPKcS1_S1_S1_S1_PKiPfP15HIP_vector_typeIfLj2EEffffjfiS5_IjLj3EEiiiiiiiiiiiliiliiiiil,@function
_ZL15flash_attn_tileILi112ELi112ELi32ELi2ELb1EEvPKcS1_S1_S1_S1_PKiPfP15HIP_vector_typeIfLj2EEffffjfiS5_IjLj3EEiiiiiiiiiiiliiliiiiil: ; @_ZL15flash_attn_tileILi112ELi112ELi32ELi2ELb1EEvPKcS1_S1_S1_S1_PKiPfP15HIP_vector_typeIfLj2EEffffjfiS5_IjLj3EEiiiiiiiiiiiliiliiiiil
; %bb.0:
	s_add_u32 s0, s0, s7
	s_addc_u32 s1, s1, 0
	s_add_u32 s8, s4, 0xd0
	s_addc_u32 s9, s5, 0
	s_getpc_b64 s[4:5]
	s_add_u32 s4, s4, _ZL14no_device_codePKciS0_iS0_@rel32@lo+4
	s_addc_u32 s5, s5, _ZL14no_device_codePKciS0_iS0_@rel32@hi+12
	s_mov_b32 s32, 0
	s_swappc_b64 s[30:31], s[4:5]
	.section	.rodata,"a",@progbits
	.p2align	6, 0x0
	.amdhsa_kernel _ZL15flash_attn_tileILi112ELi112ELi32ELi2ELb1EEvPKcS1_S1_S1_S1_PKiPfP15HIP_vector_typeIfLj2EEffffjfiS5_IjLj3EEiiiiiiiiiiiliiliiiiil
		.amdhsa_group_segment_fixed_size 0
		.amdhsa_private_segment_fixed_size 16
		.amdhsa_kernarg_size 464
		.amdhsa_user_sgpr_count 6
		.amdhsa_user_sgpr_private_segment_buffer 1
		.amdhsa_user_sgpr_dispatch_ptr 0
		.amdhsa_user_sgpr_queue_ptr 0
		.amdhsa_user_sgpr_kernarg_segment_ptr 1
		.amdhsa_user_sgpr_dispatch_id 0
		.amdhsa_user_sgpr_flat_scratch_init 0
		.amdhsa_user_sgpr_private_segment_size 0
		.amdhsa_wavefront_size32 1
		.amdhsa_uses_dynamic_stack 0
		.amdhsa_system_sgpr_private_segment_wavefront_offset 1
		.amdhsa_system_sgpr_workgroup_id_x 1
		.amdhsa_system_sgpr_workgroup_id_y 0
		.amdhsa_system_sgpr_workgroup_id_z 0
		.amdhsa_system_sgpr_workgroup_info 0
		.amdhsa_system_vgpr_workitem_id 0
		.amdhsa_next_free_vgpr 40
		.amdhsa_next_free_sgpr 34
		.amdhsa_reserve_vcc 1
		.amdhsa_reserve_flat_scratch 0
		.amdhsa_float_round_mode_32 0
		.amdhsa_float_round_mode_16_64 0
		.amdhsa_float_denorm_mode_32 3
		.amdhsa_float_denorm_mode_16_64 3
		.amdhsa_dx10_clamp 1
		.amdhsa_ieee_mode 1
		.amdhsa_fp16_overflow 0
		.amdhsa_workgroup_processor_mode 1
		.amdhsa_memory_ordered 1
		.amdhsa_forward_progress 1
		.amdhsa_shared_vgpr_count 0
		.amdhsa_exception_fp_ieee_invalid_op 0
		.amdhsa_exception_fp_denorm_src 0
		.amdhsa_exception_fp_ieee_div_zero 0
		.amdhsa_exception_fp_ieee_overflow 0
		.amdhsa_exception_fp_ieee_underflow 0
		.amdhsa_exception_fp_ieee_inexact 0
		.amdhsa_exception_int_div_zero 0
	.end_amdhsa_kernel
	.section	.text._ZL15flash_attn_tileILi112ELi112ELi32ELi2ELb1EEvPKcS1_S1_S1_S1_PKiPfP15HIP_vector_typeIfLj2EEffffjfiS5_IjLj3EEiiiiiiiiiiiliiliiiiil,"axG",@progbits,_ZL15flash_attn_tileILi112ELi112ELi32ELi2ELb1EEvPKcS1_S1_S1_S1_PKiPfP15HIP_vector_typeIfLj2EEffffjfiS5_IjLj3EEiiiiiiiiiiiliiliiiiil,comdat
.Lfunc_end83:
	.size	_ZL15flash_attn_tileILi112ELi112ELi32ELi2ELb1EEvPKcS1_S1_S1_S1_PKiPfP15HIP_vector_typeIfLj2EEffffjfiS5_IjLj3EEiiiiiiiiiiiliiliiiiil, .Lfunc_end83-_ZL15flash_attn_tileILi112ELi112ELi32ELi2ELb1EEvPKcS1_S1_S1_S1_PKiPfP15HIP_vector_typeIfLj2EEffffjfiS5_IjLj3EEiiiiiiiiiiiliiliiiiil
                                        ; -- End function
	.set _ZL15flash_attn_tileILi112ELi112ELi32ELi2ELb1EEvPKcS1_S1_S1_S1_PKiPfP15HIP_vector_typeIfLj2EEffffjfiS5_IjLj3EEiiiiiiiiiiiliiliiiiil.num_vgpr, max(0, .L_ZL14no_device_codePKciS0_iS0_.num_vgpr)
	.set _ZL15flash_attn_tileILi112ELi112ELi32ELi2ELb1EEvPKcS1_S1_S1_S1_PKiPfP15HIP_vector_typeIfLj2EEffffjfiS5_IjLj3EEiiiiiiiiiiiliiliiiiil.num_agpr, max(0, .L_ZL14no_device_codePKciS0_iS0_.num_agpr)
	.set _ZL15flash_attn_tileILi112ELi112ELi32ELi2ELb1EEvPKcS1_S1_S1_S1_PKiPfP15HIP_vector_typeIfLj2EEffffjfiS5_IjLj3EEiiiiiiiiiiiliiliiiiil.numbered_sgpr, max(33, .L_ZL14no_device_codePKciS0_iS0_.numbered_sgpr)
	.set _ZL15flash_attn_tileILi112ELi112ELi32ELi2ELb1EEvPKcS1_S1_S1_S1_PKiPfP15HIP_vector_typeIfLj2EEffffjfiS5_IjLj3EEiiiiiiiiiiiliiliiiiil.num_named_barrier, max(0, .L_ZL14no_device_codePKciS0_iS0_.num_named_barrier)
	.set _ZL15flash_attn_tileILi112ELi112ELi32ELi2ELb1EEvPKcS1_S1_S1_S1_PKiPfP15HIP_vector_typeIfLj2EEffffjfiS5_IjLj3EEiiiiiiiiiiiliiliiiiil.private_seg_size, 0+max(.L_ZL14no_device_codePKciS0_iS0_.private_seg_size)
	.set _ZL15flash_attn_tileILi112ELi112ELi32ELi2ELb1EEvPKcS1_S1_S1_S1_PKiPfP15HIP_vector_typeIfLj2EEffffjfiS5_IjLj3EEiiiiiiiiiiiliiliiiiil.uses_vcc, or(1, .L_ZL14no_device_codePKciS0_iS0_.uses_vcc)
	.set _ZL15flash_attn_tileILi112ELi112ELi32ELi2ELb1EEvPKcS1_S1_S1_S1_PKiPfP15HIP_vector_typeIfLj2EEffffjfiS5_IjLj3EEiiiiiiiiiiiliiliiiiil.uses_flat_scratch, or(0, .L_ZL14no_device_codePKciS0_iS0_.uses_flat_scratch)
	.set _ZL15flash_attn_tileILi112ELi112ELi32ELi2ELb1EEvPKcS1_S1_S1_S1_PKiPfP15HIP_vector_typeIfLj2EEffffjfiS5_IjLj3EEiiiiiiiiiiiliiliiiiil.has_dyn_sized_stack, or(0, .L_ZL14no_device_codePKciS0_iS0_.has_dyn_sized_stack)
	.set _ZL15flash_attn_tileILi112ELi112ELi32ELi2ELb1EEvPKcS1_S1_S1_S1_PKiPfP15HIP_vector_typeIfLj2EEffffjfiS5_IjLj3EEiiiiiiiiiiiliiliiiiil.has_recursion, or(0, .L_ZL14no_device_codePKciS0_iS0_.has_recursion)
	.set _ZL15flash_attn_tileILi112ELi112ELi32ELi2ELb1EEvPKcS1_S1_S1_S1_PKiPfP15HIP_vector_typeIfLj2EEffffjfiS5_IjLj3EEiiiiiiiiiiiliiliiiiil.has_indirect_call, or(0, .L_ZL14no_device_codePKciS0_iS0_.has_indirect_call)
	.section	.AMDGPU.csdata,"",@progbits
; Kernel info:
; codeLenInByte = 48
; TotalNumSgprs: 36
; NumVgprs: 40
; ScratchSize: 16
; MemoryBound: 0
; FloatMode: 240
; IeeeMode: 1
; LDSByteSize: 0 bytes/workgroup (compile time only)
; SGPRBlocks: 0
; VGPRBlocks: 4
; NumSGPRsForWavesPerEU: 36
; NumVGPRsForWavesPerEU: 40
; Occupancy: 16
; WaveLimiterHint : 1
; COMPUTE_PGM_RSRC2:SCRATCH_EN: 1
; COMPUTE_PGM_RSRC2:USER_SGPR: 6
; COMPUTE_PGM_RSRC2:TRAP_HANDLER: 0
; COMPUTE_PGM_RSRC2:TGID_X_EN: 1
; COMPUTE_PGM_RSRC2:TGID_Y_EN: 0
; COMPUTE_PGM_RSRC2:TGID_Z_EN: 0
; COMPUTE_PGM_RSRC2:TIDIG_COMP_CNT: 0
	.section	.text._ZL15flash_attn_tileILi112ELi112ELi16ELi2ELb1EEvPKcS1_S1_S1_S1_PKiPfP15HIP_vector_typeIfLj2EEffffjfiS5_IjLj3EEiiiiiiiiiiiliiliiiiil,"axG",@progbits,_ZL15flash_attn_tileILi112ELi112ELi16ELi2ELb1EEvPKcS1_S1_S1_S1_PKiPfP15HIP_vector_typeIfLj2EEffffjfiS5_IjLj3EEiiiiiiiiiiiliiliiiiil,comdat
	.globl	_ZL15flash_attn_tileILi112ELi112ELi16ELi2ELb1EEvPKcS1_S1_S1_S1_PKiPfP15HIP_vector_typeIfLj2EEffffjfiS5_IjLj3EEiiiiiiiiiiiliiliiiiil ; -- Begin function _ZL15flash_attn_tileILi112ELi112ELi16ELi2ELb1EEvPKcS1_S1_S1_S1_PKiPfP15HIP_vector_typeIfLj2EEffffjfiS5_IjLj3EEiiiiiiiiiiiliiliiiiil
	.p2align	8
	.type	_ZL15flash_attn_tileILi112ELi112ELi16ELi2ELb1EEvPKcS1_S1_S1_S1_PKiPfP15HIP_vector_typeIfLj2EEffffjfiS5_IjLj3EEiiiiiiiiiiiliiliiiiil,@function
_ZL15flash_attn_tileILi112ELi112ELi16ELi2ELb1EEvPKcS1_S1_S1_S1_PKiPfP15HIP_vector_typeIfLj2EEffffjfiS5_IjLj3EEiiiiiiiiiiiliiliiiiil: ; @_ZL15flash_attn_tileILi112ELi112ELi16ELi2ELb1EEvPKcS1_S1_S1_S1_PKiPfP15HIP_vector_typeIfLj2EEffffjfiS5_IjLj3EEiiiiiiiiiiiliiliiiiil
; %bb.0:
	s_add_u32 s0, s0, s7
	s_addc_u32 s1, s1, 0
	s_add_u32 s8, s4, 0xd0
	s_addc_u32 s9, s5, 0
	s_getpc_b64 s[4:5]
	s_add_u32 s4, s4, _ZL14no_device_codePKciS0_iS0_@rel32@lo+4
	s_addc_u32 s5, s5, _ZL14no_device_codePKciS0_iS0_@rel32@hi+12
	s_mov_b32 s32, 0
	s_swappc_b64 s[30:31], s[4:5]
	.section	.rodata,"a",@progbits
	.p2align	6, 0x0
	.amdhsa_kernel _ZL15flash_attn_tileILi112ELi112ELi16ELi2ELb1EEvPKcS1_S1_S1_S1_PKiPfP15HIP_vector_typeIfLj2EEffffjfiS5_IjLj3EEiiiiiiiiiiiliiliiiiil
		.amdhsa_group_segment_fixed_size 0
		.amdhsa_private_segment_fixed_size 16
		.amdhsa_kernarg_size 464
		.amdhsa_user_sgpr_count 6
		.amdhsa_user_sgpr_private_segment_buffer 1
		.amdhsa_user_sgpr_dispatch_ptr 0
		.amdhsa_user_sgpr_queue_ptr 0
		.amdhsa_user_sgpr_kernarg_segment_ptr 1
		.amdhsa_user_sgpr_dispatch_id 0
		.amdhsa_user_sgpr_flat_scratch_init 0
		.amdhsa_user_sgpr_private_segment_size 0
		.amdhsa_wavefront_size32 1
		.amdhsa_uses_dynamic_stack 0
		.amdhsa_system_sgpr_private_segment_wavefront_offset 1
		.amdhsa_system_sgpr_workgroup_id_x 1
		.amdhsa_system_sgpr_workgroup_id_y 0
		.amdhsa_system_sgpr_workgroup_id_z 0
		.amdhsa_system_sgpr_workgroup_info 0
		.amdhsa_system_vgpr_workitem_id 0
		.amdhsa_next_free_vgpr 40
		.amdhsa_next_free_sgpr 34
		.amdhsa_reserve_vcc 1
		.amdhsa_reserve_flat_scratch 0
		.amdhsa_float_round_mode_32 0
		.amdhsa_float_round_mode_16_64 0
		.amdhsa_float_denorm_mode_32 3
		.amdhsa_float_denorm_mode_16_64 3
		.amdhsa_dx10_clamp 1
		.amdhsa_ieee_mode 1
		.amdhsa_fp16_overflow 0
		.amdhsa_workgroup_processor_mode 1
		.amdhsa_memory_ordered 1
		.amdhsa_forward_progress 1
		.amdhsa_shared_vgpr_count 0
		.amdhsa_exception_fp_ieee_invalid_op 0
		.amdhsa_exception_fp_denorm_src 0
		.amdhsa_exception_fp_ieee_div_zero 0
		.amdhsa_exception_fp_ieee_overflow 0
		.amdhsa_exception_fp_ieee_underflow 0
		.amdhsa_exception_fp_ieee_inexact 0
		.amdhsa_exception_int_div_zero 0
	.end_amdhsa_kernel
	.section	.text._ZL15flash_attn_tileILi112ELi112ELi16ELi2ELb1EEvPKcS1_S1_S1_S1_PKiPfP15HIP_vector_typeIfLj2EEffffjfiS5_IjLj3EEiiiiiiiiiiiliiliiiiil,"axG",@progbits,_ZL15flash_attn_tileILi112ELi112ELi16ELi2ELb1EEvPKcS1_S1_S1_S1_PKiPfP15HIP_vector_typeIfLj2EEffffjfiS5_IjLj3EEiiiiiiiiiiiliiliiiiil,comdat
.Lfunc_end84:
	.size	_ZL15flash_attn_tileILi112ELi112ELi16ELi2ELb1EEvPKcS1_S1_S1_S1_PKiPfP15HIP_vector_typeIfLj2EEffffjfiS5_IjLj3EEiiiiiiiiiiiliiliiiiil, .Lfunc_end84-_ZL15flash_attn_tileILi112ELi112ELi16ELi2ELb1EEvPKcS1_S1_S1_S1_PKiPfP15HIP_vector_typeIfLj2EEffffjfiS5_IjLj3EEiiiiiiiiiiiliiliiiiil
                                        ; -- End function
	.set _ZL15flash_attn_tileILi112ELi112ELi16ELi2ELb1EEvPKcS1_S1_S1_S1_PKiPfP15HIP_vector_typeIfLj2EEffffjfiS5_IjLj3EEiiiiiiiiiiiliiliiiiil.num_vgpr, max(0, .L_ZL14no_device_codePKciS0_iS0_.num_vgpr)
	.set _ZL15flash_attn_tileILi112ELi112ELi16ELi2ELb1EEvPKcS1_S1_S1_S1_PKiPfP15HIP_vector_typeIfLj2EEffffjfiS5_IjLj3EEiiiiiiiiiiiliiliiiiil.num_agpr, max(0, .L_ZL14no_device_codePKciS0_iS0_.num_agpr)
	.set _ZL15flash_attn_tileILi112ELi112ELi16ELi2ELb1EEvPKcS1_S1_S1_S1_PKiPfP15HIP_vector_typeIfLj2EEffffjfiS5_IjLj3EEiiiiiiiiiiiliiliiiiil.numbered_sgpr, max(33, .L_ZL14no_device_codePKciS0_iS0_.numbered_sgpr)
	.set _ZL15flash_attn_tileILi112ELi112ELi16ELi2ELb1EEvPKcS1_S1_S1_S1_PKiPfP15HIP_vector_typeIfLj2EEffffjfiS5_IjLj3EEiiiiiiiiiiiliiliiiiil.num_named_barrier, max(0, .L_ZL14no_device_codePKciS0_iS0_.num_named_barrier)
	.set _ZL15flash_attn_tileILi112ELi112ELi16ELi2ELb1EEvPKcS1_S1_S1_S1_PKiPfP15HIP_vector_typeIfLj2EEffffjfiS5_IjLj3EEiiiiiiiiiiiliiliiiiil.private_seg_size, 0+max(.L_ZL14no_device_codePKciS0_iS0_.private_seg_size)
	.set _ZL15flash_attn_tileILi112ELi112ELi16ELi2ELb1EEvPKcS1_S1_S1_S1_PKiPfP15HIP_vector_typeIfLj2EEffffjfiS5_IjLj3EEiiiiiiiiiiiliiliiiiil.uses_vcc, or(1, .L_ZL14no_device_codePKciS0_iS0_.uses_vcc)
	.set _ZL15flash_attn_tileILi112ELi112ELi16ELi2ELb1EEvPKcS1_S1_S1_S1_PKiPfP15HIP_vector_typeIfLj2EEffffjfiS5_IjLj3EEiiiiiiiiiiiliiliiiiil.uses_flat_scratch, or(0, .L_ZL14no_device_codePKciS0_iS0_.uses_flat_scratch)
	.set _ZL15flash_attn_tileILi112ELi112ELi16ELi2ELb1EEvPKcS1_S1_S1_S1_PKiPfP15HIP_vector_typeIfLj2EEffffjfiS5_IjLj3EEiiiiiiiiiiiliiliiiiil.has_dyn_sized_stack, or(0, .L_ZL14no_device_codePKciS0_iS0_.has_dyn_sized_stack)
	.set _ZL15flash_attn_tileILi112ELi112ELi16ELi2ELb1EEvPKcS1_S1_S1_S1_PKiPfP15HIP_vector_typeIfLj2EEffffjfiS5_IjLj3EEiiiiiiiiiiiliiliiiiil.has_recursion, or(0, .L_ZL14no_device_codePKciS0_iS0_.has_recursion)
	.set _ZL15flash_attn_tileILi112ELi112ELi16ELi2ELb1EEvPKcS1_S1_S1_S1_PKiPfP15HIP_vector_typeIfLj2EEffffjfiS5_IjLj3EEiiiiiiiiiiiliiliiiiil.has_indirect_call, or(0, .L_ZL14no_device_codePKciS0_iS0_.has_indirect_call)
	.section	.AMDGPU.csdata,"",@progbits
; Kernel info:
; codeLenInByte = 48
; TotalNumSgprs: 36
; NumVgprs: 40
; ScratchSize: 16
; MemoryBound: 0
; FloatMode: 240
; IeeeMode: 1
; LDSByteSize: 0 bytes/workgroup (compile time only)
; SGPRBlocks: 0
; VGPRBlocks: 4
; NumSGPRsForWavesPerEU: 36
; NumVGPRsForWavesPerEU: 40
; Occupancy: 16
; WaveLimiterHint : 1
; COMPUTE_PGM_RSRC2:SCRATCH_EN: 1
; COMPUTE_PGM_RSRC2:USER_SGPR: 6
; COMPUTE_PGM_RSRC2:TRAP_HANDLER: 0
; COMPUTE_PGM_RSRC2:TGID_X_EN: 1
; COMPUTE_PGM_RSRC2:TGID_Y_EN: 0
; COMPUTE_PGM_RSRC2:TGID_Z_EN: 0
; COMPUTE_PGM_RSRC2:TIDIG_COMP_CNT: 0
	.section	.text._ZL15flash_attn_tileILi112ELi112ELi8ELi2ELb1EEvPKcS1_S1_S1_S1_PKiPfP15HIP_vector_typeIfLj2EEffffjfiS5_IjLj3EEiiiiiiiiiiiliiliiiiil,"axG",@progbits,_ZL15flash_attn_tileILi112ELi112ELi8ELi2ELb1EEvPKcS1_S1_S1_S1_PKiPfP15HIP_vector_typeIfLj2EEffffjfiS5_IjLj3EEiiiiiiiiiiiliiliiiiil,comdat
	.globl	_ZL15flash_attn_tileILi112ELi112ELi8ELi2ELb1EEvPKcS1_S1_S1_S1_PKiPfP15HIP_vector_typeIfLj2EEffffjfiS5_IjLj3EEiiiiiiiiiiiliiliiiiil ; -- Begin function _ZL15flash_attn_tileILi112ELi112ELi8ELi2ELb1EEvPKcS1_S1_S1_S1_PKiPfP15HIP_vector_typeIfLj2EEffffjfiS5_IjLj3EEiiiiiiiiiiiliiliiiiil
	.p2align	8
	.type	_ZL15flash_attn_tileILi112ELi112ELi8ELi2ELb1EEvPKcS1_S1_S1_S1_PKiPfP15HIP_vector_typeIfLj2EEffffjfiS5_IjLj3EEiiiiiiiiiiiliiliiiiil,@function
_ZL15flash_attn_tileILi112ELi112ELi8ELi2ELb1EEvPKcS1_S1_S1_S1_PKiPfP15HIP_vector_typeIfLj2EEffffjfiS5_IjLj3EEiiiiiiiiiiiliiliiiiil: ; @_ZL15flash_attn_tileILi112ELi112ELi8ELi2ELb1EEvPKcS1_S1_S1_S1_PKiPfP15HIP_vector_typeIfLj2EEffffjfiS5_IjLj3EEiiiiiiiiiiiliiliiiiil
; %bb.0:
	s_add_u32 s0, s0, s7
	s_addc_u32 s1, s1, 0
	s_add_u32 s8, s4, 0xd0
	s_addc_u32 s9, s5, 0
	s_getpc_b64 s[4:5]
	s_add_u32 s4, s4, _ZL14no_device_codePKciS0_iS0_@rel32@lo+4
	s_addc_u32 s5, s5, _ZL14no_device_codePKciS0_iS0_@rel32@hi+12
	s_mov_b32 s32, 0
	s_swappc_b64 s[30:31], s[4:5]
	.section	.rodata,"a",@progbits
	.p2align	6, 0x0
	.amdhsa_kernel _ZL15flash_attn_tileILi112ELi112ELi8ELi2ELb1EEvPKcS1_S1_S1_S1_PKiPfP15HIP_vector_typeIfLj2EEffffjfiS5_IjLj3EEiiiiiiiiiiiliiliiiiil
		.amdhsa_group_segment_fixed_size 0
		.amdhsa_private_segment_fixed_size 16
		.amdhsa_kernarg_size 464
		.amdhsa_user_sgpr_count 6
		.amdhsa_user_sgpr_private_segment_buffer 1
		.amdhsa_user_sgpr_dispatch_ptr 0
		.amdhsa_user_sgpr_queue_ptr 0
		.amdhsa_user_sgpr_kernarg_segment_ptr 1
		.amdhsa_user_sgpr_dispatch_id 0
		.amdhsa_user_sgpr_flat_scratch_init 0
		.amdhsa_user_sgpr_private_segment_size 0
		.amdhsa_wavefront_size32 1
		.amdhsa_uses_dynamic_stack 0
		.amdhsa_system_sgpr_private_segment_wavefront_offset 1
		.amdhsa_system_sgpr_workgroup_id_x 1
		.amdhsa_system_sgpr_workgroup_id_y 0
		.amdhsa_system_sgpr_workgroup_id_z 0
		.amdhsa_system_sgpr_workgroup_info 0
		.amdhsa_system_vgpr_workitem_id 0
		.amdhsa_next_free_vgpr 40
		.amdhsa_next_free_sgpr 34
		.amdhsa_reserve_vcc 1
		.amdhsa_reserve_flat_scratch 0
		.amdhsa_float_round_mode_32 0
		.amdhsa_float_round_mode_16_64 0
		.amdhsa_float_denorm_mode_32 3
		.amdhsa_float_denorm_mode_16_64 3
		.amdhsa_dx10_clamp 1
		.amdhsa_ieee_mode 1
		.amdhsa_fp16_overflow 0
		.amdhsa_workgroup_processor_mode 1
		.amdhsa_memory_ordered 1
		.amdhsa_forward_progress 1
		.amdhsa_shared_vgpr_count 0
		.amdhsa_exception_fp_ieee_invalid_op 0
		.amdhsa_exception_fp_denorm_src 0
		.amdhsa_exception_fp_ieee_div_zero 0
		.amdhsa_exception_fp_ieee_overflow 0
		.amdhsa_exception_fp_ieee_underflow 0
		.amdhsa_exception_fp_ieee_inexact 0
		.amdhsa_exception_int_div_zero 0
	.end_amdhsa_kernel
	.section	.text._ZL15flash_attn_tileILi112ELi112ELi8ELi2ELb1EEvPKcS1_S1_S1_S1_PKiPfP15HIP_vector_typeIfLj2EEffffjfiS5_IjLj3EEiiiiiiiiiiiliiliiiiil,"axG",@progbits,_ZL15flash_attn_tileILi112ELi112ELi8ELi2ELb1EEvPKcS1_S1_S1_S1_PKiPfP15HIP_vector_typeIfLj2EEffffjfiS5_IjLj3EEiiiiiiiiiiiliiliiiiil,comdat
.Lfunc_end85:
	.size	_ZL15flash_attn_tileILi112ELi112ELi8ELi2ELb1EEvPKcS1_S1_S1_S1_PKiPfP15HIP_vector_typeIfLj2EEffffjfiS5_IjLj3EEiiiiiiiiiiiliiliiiiil, .Lfunc_end85-_ZL15flash_attn_tileILi112ELi112ELi8ELi2ELb1EEvPKcS1_S1_S1_S1_PKiPfP15HIP_vector_typeIfLj2EEffffjfiS5_IjLj3EEiiiiiiiiiiiliiliiiiil
                                        ; -- End function
	.set _ZL15flash_attn_tileILi112ELi112ELi8ELi2ELb1EEvPKcS1_S1_S1_S1_PKiPfP15HIP_vector_typeIfLj2EEffffjfiS5_IjLj3EEiiiiiiiiiiiliiliiiiil.num_vgpr, max(0, .L_ZL14no_device_codePKciS0_iS0_.num_vgpr)
	.set _ZL15flash_attn_tileILi112ELi112ELi8ELi2ELb1EEvPKcS1_S1_S1_S1_PKiPfP15HIP_vector_typeIfLj2EEffffjfiS5_IjLj3EEiiiiiiiiiiiliiliiiiil.num_agpr, max(0, .L_ZL14no_device_codePKciS0_iS0_.num_agpr)
	.set _ZL15flash_attn_tileILi112ELi112ELi8ELi2ELb1EEvPKcS1_S1_S1_S1_PKiPfP15HIP_vector_typeIfLj2EEffffjfiS5_IjLj3EEiiiiiiiiiiiliiliiiiil.numbered_sgpr, max(33, .L_ZL14no_device_codePKciS0_iS0_.numbered_sgpr)
	.set _ZL15flash_attn_tileILi112ELi112ELi8ELi2ELb1EEvPKcS1_S1_S1_S1_PKiPfP15HIP_vector_typeIfLj2EEffffjfiS5_IjLj3EEiiiiiiiiiiiliiliiiiil.num_named_barrier, max(0, .L_ZL14no_device_codePKciS0_iS0_.num_named_barrier)
	.set _ZL15flash_attn_tileILi112ELi112ELi8ELi2ELb1EEvPKcS1_S1_S1_S1_PKiPfP15HIP_vector_typeIfLj2EEffffjfiS5_IjLj3EEiiiiiiiiiiiliiliiiiil.private_seg_size, 0+max(.L_ZL14no_device_codePKciS0_iS0_.private_seg_size)
	.set _ZL15flash_attn_tileILi112ELi112ELi8ELi2ELb1EEvPKcS1_S1_S1_S1_PKiPfP15HIP_vector_typeIfLj2EEffffjfiS5_IjLj3EEiiiiiiiiiiiliiliiiiil.uses_vcc, or(1, .L_ZL14no_device_codePKciS0_iS0_.uses_vcc)
	.set _ZL15flash_attn_tileILi112ELi112ELi8ELi2ELb1EEvPKcS1_S1_S1_S1_PKiPfP15HIP_vector_typeIfLj2EEffffjfiS5_IjLj3EEiiiiiiiiiiiliiliiiiil.uses_flat_scratch, or(0, .L_ZL14no_device_codePKciS0_iS0_.uses_flat_scratch)
	.set _ZL15flash_attn_tileILi112ELi112ELi8ELi2ELb1EEvPKcS1_S1_S1_S1_PKiPfP15HIP_vector_typeIfLj2EEffffjfiS5_IjLj3EEiiiiiiiiiiiliiliiiiil.has_dyn_sized_stack, or(0, .L_ZL14no_device_codePKciS0_iS0_.has_dyn_sized_stack)
	.set _ZL15flash_attn_tileILi112ELi112ELi8ELi2ELb1EEvPKcS1_S1_S1_S1_PKiPfP15HIP_vector_typeIfLj2EEffffjfiS5_IjLj3EEiiiiiiiiiiiliiliiiiil.has_recursion, or(0, .L_ZL14no_device_codePKciS0_iS0_.has_recursion)
	.set _ZL15flash_attn_tileILi112ELi112ELi8ELi2ELb1EEvPKcS1_S1_S1_S1_PKiPfP15HIP_vector_typeIfLj2EEffffjfiS5_IjLj3EEiiiiiiiiiiiliiliiiiil.has_indirect_call, or(0, .L_ZL14no_device_codePKciS0_iS0_.has_indirect_call)
	.section	.AMDGPU.csdata,"",@progbits
; Kernel info:
; codeLenInByte = 48
; TotalNumSgprs: 36
; NumVgprs: 40
; ScratchSize: 16
; MemoryBound: 0
; FloatMode: 240
; IeeeMode: 1
; LDSByteSize: 0 bytes/workgroup (compile time only)
; SGPRBlocks: 0
; VGPRBlocks: 4
; NumSGPRsForWavesPerEU: 36
; NumVGPRsForWavesPerEU: 40
; Occupancy: 16
; WaveLimiterHint : 1
; COMPUTE_PGM_RSRC2:SCRATCH_EN: 1
; COMPUTE_PGM_RSRC2:USER_SGPR: 6
; COMPUTE_PGM_RSRC2:TRAP_HANDLER: 0
; COMPUTE_PGM_RSRC2:TGID_X_EN: 1
; COMPUTE_PGM_RSRC2:TGID_Y_EN: 0
; COMPUTE_PGM_RSRC2:TGID_Z_EN: 0
; COMPUTE_PGM_RSRC2:TIDIG_COMP_CNT: 0
	.section	.text._ZL15flash_attn_tileILi112ELi112ELi4ELi2ELb1EEvPKcS1_S1_S1_S1_PKiPfP15HIP_vector_typeIfLj2EEffffjfiS5_IjLj3EEiiiiiiiiiiiliiliiiiil,"axG",@progbits,_ZL15flash_attn_tileILi112ELi112ELi4ELi2ELb1EEvPKcS1_S1_S1_S1_PKiPfP15HIP_vector_typeIfLj2EEffffjfiS5_IjLj3EEiiiiiiiiiiiliiliiiiil,comdat
	.globl	_ZL15flash_attn_tileILi112ELi112ELi4ELi2ELb1EEvPKcS1_S1_S1_S1_PKiPfP15HIP_vector_typeIfLj2EEffffjfiS5_IjLj3EEiiiiiiiiiiiliiliiiiil ; -- Begin function _ZL15flash_attn_tileILi112ELi112ELi4ELi2ELb1EEvPKcS1_S1_S1_S1_PKiPfP15HIP_vector_typeIfLj2EEffffjfiS5_IjLj3EEiiiiiiiiiiiliiliiiiil
	.p2align	8
	.type	_ZL15flash_attn_tileILi112ELi112ELi4ELi2ELb1EEvPKcS1_S1_S1_S1_PKiPfP15HIP_vector_typeIfLj2EEffffjfiS5_IjLj3EEiiiiiiiiiiiliiliiiiil,@function
_ZL15flash_attn_tileILi112ELi112ELi4ELi2ELb1EEvPKcS1_S1_S1_S1_PKiPfP15HIP_vector_typeIfLj2EEffffjfiS5_IjLj3EEiiiiiiiiiiiliiliiiiil: ; @_ZL15flash_attn_tileILi112ELi112ELi4ELi2ELb1EEvPKcS1_S1_S1_S1_PKiPfP15HIP_vector_typeIfLj2EEffffjfiS5_IjLj3EEiiiiiiiiiiiliiliiiiil
; %bb.0:
	s_add_u32 s0, s0, s7
	s_addc_u32 s1, s1, 0
	s_add_u32 s8, s4, 0xd0
	s_addc_u32 s9, s5, 0
	s_getpc_b64 s[4:5]
	s_add_u32 s4, s4, _ZL14no_device_codePKciS0_iS0_@rel32@lo+4
	s_addc_u32 s5, s5, _ZL14no_device_codePKciS0_iS0_@rel32@hi+12
	s_mov_b32 s32, 0
	s_swappc_b64 s[30:31], s[4:5]
	.section	.rodata,"a",@progbits
	.p2align	6, 0x0
	.amdhsa_kernel _ZL15flash_attn_tileILi112ELi112ELi4ELi2ELb1EEvPKcS1_S1_S1_S1_PKiPfP15HIP_vector_typeIfLj2EEffffjfiS5_IjLj3EEiiiiiiiiiiiliiliiiiil
		.amdhsa_group_segment_fixed_size 0
		.amdhsa_private_segment_fixed_size 16
		.amdhsa_kernarg_size 464
		.amdhsa_user_sgpr_count 6
		.amdhsa_user_sgpr_private_segment_buffer 1
		.amdhsa_user_sgpr_dispatch_ptr 0
		.amdhsa_user_sgpr_queue_ptr 0
		.amdhsa_user_sgpr_kernarg_segment_ptr 1
		.amdhsa_user_sgpr_dispatch_id 0
		.amdhsa_user_sgpr_flat_scratch_init 0
		.amdhsa_user_sgpr_private_segment_size 0
		.amdhsa_wavefront_size32 1
		.amdhsa_uses_dynamic_stack 0
		.amdhsa_system_sgpr_private_segment_wavefront_offset 1
		.amdhsa_system_sgpr_workgroup_id_x 1
		.amdhsa_system_sgpr_workgroup_id_y 0
		.amdhsa_system_sgpr_workgroup_id_z 0
		.amdhsa_system_sgpr_workgroup_info 0
		.amdhsa_system_vgpr_workitem_id 0
		.amdhsa_next_free_vgpr 40
		.amdhsa_next_free_sgpr 34
		.amdhsa_reserve_vcc 1
		.amdhsa_reserve_flat_scratch 0
		.amdhsa_float_round_mode_32 0
		.amdhsa_float_round_mode_16_64 0
		.amdhsa_float_denorm_mode_32 3
		.amdhsa_float_denorm_mode_16_64 3
		.amdhsa_dx10_clamp 1
		.amdhsa_ieee_mode 1
		.amdhsa_fp16_overflow 0
		.amdhsa_workgroup_processor_mode 1
		.amdhsa_memory_ordered 1
		.amdhsa_forward_progress 1
		.amdhsa_shared_vgpr_count 0
		.amdhsa_exception_fp_ieee_invalid_op 0
		.amdhsa_exception_fp_denorm_src 0
		.amdhsa_exception_fp_ieee_div_zero 0
		.amdhsa_exception_fp_ieee_overflow 0
		.amdhsa_exception_fp_ieee_underflow 0
		.amdhsa_exception_fp_ieee_inexact 0
		.amdhsa_exception_int_div_zero 0
	.end_amdhsa_kernel
	.section	.text._ZL15flash_attn_tileILi112ELi112ELi4ELi2ELb1EEvPKcS1_S1_S1_S1_PKiPfP15HIP_vector_typeIfLj2EEffffjfiS5_IjLj3EEiiiiiiiiiiiliiliiiiil,"axG",@progbits,_ZL15flash_attn_tileILi112ELi112ELi4ELi2ELb1EEvPKcS1_S1_S1_S1_PKiPfP15HIP_vector_typeIfLj2EEffffjfiS5_IjLj3EEiiiiiiiiiiiliiliiiiil,comdat
.Lfunc_end86:
	.size	_ZL15flash_attn_tileILi112ELi112ELi4ELi2ELb1EEvPKcS1_S1_S1_S1_PKiPfP15HIP_vector_typeIfLj2EEffffjfiS5_IjLj3EEiiiiiiiiiiiliiliiiiil, .Lfunc_end86-_ZL15flash_attn_tileILi112ELi112ELi4ELi2ELb1EEvPKcS1_S1_S1_S1_PKiPfP15HIP_vector_typeIfLj2EEffffjfiS5_IjLj3EEiiiiiiiiiiiliiliiiiil
                                        ; -- End function
	.set _ZL15flash_attn_tileILi112ELi112ELi4ELi2ELb1EEvPKcS1_S1_S1_S1_PKiPfP15HIP_vector_typeIfLj2EEffffjfiS5_IjLj3EEiiiiiiiiiiiliiliiiiil.num_vgpr, max(0, .L_ZL14no_device_codePKciS0_iS0_.num_vgpr)
	.set _ZL15flash_attn_tileILi112ELi112ELi4ELi2ELb1EEvPKcS1_S1_S1_S1_PKiPfP15HIP_vector_typeIfLj2EEffffjfiS5_IjLj3EEiiiiiiiiiiiliiliiiiil.num_agpr, max(0, .L_ZL14no_device_codePKciS0_iS0_.num_agpr)
	.set _ZL15flash_attn_tileILi112ELi112ELi4ELi2ELb1EEvPKcS1_S1_S1_S1_PKiPfP15HIP_vector_typeIfLj2EEffffjfiS5_IjLj3EEiiiiiiiiiiiliiliiiiil.numbered_sgpr, max(33, .L_ZL14no_device_codePKciS0_iS0_.numbered_sgpr)
	.set _ZL15flash_attn_tileILi112ELi112ELi4ELi2ELb1EEvPKcS1_S1_S1_S1_PKiPfP15HIP_vector_typeIfLj2EEffffjfiS5_IjLj3EEiiiiiiiiiiiliiliiiiil.num_named_barrier, max(0, .L_ZL14no_device_codePKciS0_iS0_.num_named_barrier)
	.set _ZL15flash_attn_tileILi112ELi112ELi4ELi2ELb1EEvPKcS1_S1_S1_S1_PKiPfP15HIP_vector_typeIfLj2EEffffjfiS5_IjLj3EEiiiiiiiiiiiliiliiiiil.private_seg_size, 0+max(.L_ZL14no_device_codePKciS0_iS0_.private_seg_size)
	.set _ZL15flash_attn_tileILi112ELi112ELi4ELi2ELb1EEvPKcS1_S1_S1_S1_PKiPfP15HIP_vector_typeIfLj2EEffffjfiS5_IjLj3EEiiiiiiiiiiiliiliiiiil.uses_vcc, or(1, .L_ZL14no_device_codePKciS0_iS0_.uses_vcc)
	.set _ZL15flash_attn_tileILi112ELi112ELi4ELi2ELb1EEvPKcS1_S1_S1_S1_PKiPfP15HIP_vector_typeIfLj2EEffffjfiS5_IjLj3EEiiiiiiiiiiiliiliiiiil.uses_flat_scratch, or(0, .L_ZL14no_device_codePKciS0_iS0_.uses_flat_scratch)
	.set _ZL15flash_attn_tileILi112ELi112ELi4ELi2ELb1EEvPKcS1_S1_S1_S1_PKiPfP15HIP_vector_typeIfLj2EEffffjfiS5_IjLj3EEiiiiiiiiiiiliiliiiiil.has_dyn_sized_stack, or(0, .L_ZL14no_device_codePKciS0_iS0_.has_dyn_sized_stack)
	.set _ZL15flash_attn_tileILi112ELi112ELi4ELi2ELb1EEvPKcS1_S1_S1_S1_PKiPfP15HIP_vector_typeIfLj2EEffffjfiS5_IjLj3EEiiiiiiiiiiiliiliiiiil.has_recursion, or(0, .L_ZL14no_device_codePKciS0_iS0_.has_recursion)
	.set _ZL15flash_attn_tileILi112ELi112ELi4ELi2ELb1EEvPKcS1_S1_S1_S1_PKiPfP15HIP_vector_typeIfLj2EEffffjfiS5_IjLj3EEiiiiiiiiiiiliiliiiiil.has_indirect_call, or(0, .L_ZL14no_device_codePKciS0_iS0_.has_indirect_call)
	.section	.AMDGPU.csdata,"",@progbits
; Kernel info:
; codeLenInByte = 48
; TotalNumSgprs: 36
; NumVgprs: 40
; ScratchSize: 16
; MemoryBound: 0
; FloatMode: 240
; IeeeMode: 1
; LDSByteSize: 0 bytes/workgroup (compile time only)
; SGPRBlocks: 0
; VGPRBlocks: 4
; NumSGPRsForWavesPerEU: 36
; NumVGPRsForWavesPerEU: 40
; Occupancy: 16
; WaveLimiterHint : 1
; COMPUTE_PGM_RSRC2:SCRATCH_EN: 1
; COMPUTE_PGM_RSRC2:USER_SGPR: 6
; COMPUTE_PGM_RSRC2:TRAP_HANDLER: 0
; COMPUTE_PGM_RSRC2:TGID_X_EN: 1
; COMPUTE_PGM_RSRC2:TGID_Y_EN: 0
; COMPUTE_PGM_RSRC2:TGID_Z_EN: 0
; COMPUTE_PGM_RSRC2:TIDIG_COMP_CNT: 0
	.section	.text._ZL15flash_attn_tileILi112ELi112ELi2ELi2ELb1EEvPKcS1_S1_S1_S1_PKiPfP15HIP_vector_typeIfLj2EEffffjfiS5_IjLj3EEiiiiiiiiiiiliiliiiiil,"axG",@progbits,_ZL15flash_attn_tileILi112ELi112ELi2ELi2ELb1EEvPKcS1_S1_S1_S1_PKiPfP15HIP_vector_typeIfLj2EEffffjfiS5_IjLj3EEiiiiiiiiiiiliiliiiiil,comdat
	.globl	_ZL15flash_attn_tileILi112ELi112ELi2ELi2ELb1EEvPKcS1_S1_S1_S1_PKiPfP15HIP_vector_typeIfLj2EEffffjfiS5_IjLj3EEiiiiiiiiiiiliiliiiiil ; -- Begin function _ZL15flash_attn_tileILi112ELi112ELi2ELi2ELb1EEvPKcS1_S1_S1_S1_PKiPfP15HIP_vector_typeIfLj2EEffffjfiS5_IjLj3EEiiiiiiiiiiiliiliiiiil
	.p2align	8
	.type	_ZL15flash_attn_tileILi112ELi112ELi2ELi2ELb1EEvPKcS1_S1_S1_S1_PKiPfP15HIP_vector_typeIfLj2EEffffjfiS5_IjLj3EEiiiiiiiiiiiliiliiiiil,@function
_ZL15flash_attn_tileILi112ELi112ELi2ELi2ELb1EEvPKcS1_S1_S1_S1_PKiPfP15HIP_vector_typeIfLj2EEffffjfiS5_IjLj3EEiiiiiiiiiiiliiliiiiil: ; @_ZL15flash_attn_tileILi112ELi112ELi2ELi2ELb1EEvPKcS1_S1_S1_S1_PKiPfP15HIP_vector_typeIfLj2EEffffjfiS5_IjLj3EEiiiiiiiiiiiliiliiiiil
; %bb.0:
	s_add_u32 s0, s0, s7
	s_addc_u32 s1, s1, 0
	s_add_u32 s8, s4, 0xd0
	s_addc_u32 s9, s5, 0
	s_getpc_b64 s[4:5]
	s_add_u32 s4, s4, _ZL14no_device_codePKciS0_iS0_@rel32@lo+4
	s_addc_u32 s5, s5, _ZL14no_device_codePKciS0_iS0_@rel32@hi+12
	s_mov_b32 s32, 0
	s_swappc_b64 s[30:31], s[4:5]
	.section	.rodata,"a",@progbits
	.p2align	6, 0x0
	.amdhsa_kernel _ZL15flash_attn_tileILi112ELi112ELi2ELi2ELb1EEvPKcS1_S1_S1_S1_PKiPfP15HIP_vector_typeIfLj2EEffffjfiS5_IjLj3EEiiiiiiiiiiiliiliiiiil
		.amdhsa_group_segment_fixed_size 0
		.amdhsa_private_segment_fixed_size 16
		.amdhsa_kernarg_size 464
		.amdhsa_user_sgpr_count 6
		.amdhsa_user_sgpr_private_segment_buffer 1
		.amdhsa_user_sgpr_dispatch_ptr 0
		.amdhsa_user_sgpr_queue_ptr 0
		.amdhsa_user_sgpr_kernarg_segment_ptr 1
		.amdhsa_user_sgpr_dispatch_id 0
		.amdhsa_user_sgpr_flat_scratch_init 0
		.amdhsa_user_sgpr_private_segment_size 0
		.amdhsa_wavefront_size32 1
		.amdhsa_uses_dynamic_stack 0
		.amdhsa_system_sgpr_private_segment_wavefront_offset 1
		.amdhsa_system_sgpr_workgroup_id_x 1
		.amdhsa_system_sgpr_workgroup_id_y 0
		.amdhsa_system_sgpr_workgroup_id_z 0
		.amdhsa_system_sgpr_workgroup_info 0
		.amdhsa_system_vgpr_workitem_id 0
		.amdhsa_next_free_vgpr 40
		.amdhsa_next_free_sgpr 34
		.amdhsa_reserve_vcc 1
		.amdhsa_reserve_flat_scratch 0
		.amdhsa_float_round_mode_32 0
		.amdhsa_float_round_mode_16_64 0
		.amdhsa_float_denorm_mode_32 3
		.amdhsa_float_denorm_mode_16_64 3
		.amdhsa_dx10_clamp 1
		.amdhsa_ieee_mode 1
		.amdhsa_fp16_overflow 0
		.amdhsa_workgroup_processor_mode 1
		.amdhsa_memory_ordered 1
		.amdhsa_forward_progress 1
		.amdhsa_shared_vgpr_count 0
		.amdhsa_exception_fp_ieee_invalid_op 0
		.amdhsa_exception_fp_denorm_src 0
		.amdhsa_exception_fp_ieee_div_zero 0
		.amdhsa_exception_fp_ieee_overflow 0
		.amdhsa_exception_fp_ieee_underflow 0
		.amdhsa_exception_fp_ieee_inexact 0
		.amdhsa_exception_int_div_zero 0
	.end_amdhsa_kernel
	.section	.text._ZL15flash_attn_tileILi112ELi112ELi2ELi2ELb1EEvPKcS1_S1_S1_S1_PKiPfP15HIP_vector_typeIfLj2EEffffjfiS5_IjLj3EEiiiiiiiiiiiliiliiiiil,"axG",@progbits,_ZL15flash_attn_tileILi112ELi112ELi2ELi2ELb1EEvPKcS1_S1_S1_S1_PKiPfP15HIP_vector_typeIfLj2EEffffjfiS5_IjLj3EEiiiiiiiiiiiliiliiiiil,comdat
.Lfunc_end87:
	.size	_ZL15flash_attn_tileILi112ELi112ELi2ELi2ELb1EEvPKcS1_S1_S1_S1_PKiPfP15HIP_vector_typeIfLj2EEffffjfiS5_IjLj3EEiiiiiiiiiiiliiliiiiil, .Lfunc_end87-_ZL15flash_attn_tileILi112ELi112ELi2ELi2ELb1EEvPKcS1_S1_S1_S1_PKiPfP15HIP_vector_typeIfLj2EEffffjfiS5_IjLj3EEiiiiiiiiiiiliiliiiiil
                                        ; -- End function
	.set _ZL15flash_attn_tileILi112ELi112ELi2ELi2ELb1EEvPKcS1_S1_S1_S1_PKiPfP15HIP_vector_typeIfLj2EEffffjfiS5_IjLj3EEiiiiiiiiiiiliiliiiiil.num_vgpr, max(0, .L_ZL14no_device_codePKciS0_iS0_.num_vgpr)
	.set _ZL15flash_attn_tileILi112ELi112ELi2ELi2ELb1EEvPKcS1_S1_S1_S1_PKiPfP15HIP_vector_typeIfLj2EEffffjfiS5_IjLj3EEiiiiiiiiiiiliiliiiiil.num_agpr, max(0, .L_ZL14no_device_codePKciS0_iS0_.num_agpr)
	.set _ZL15flash_attn_tileILi112ELi112ELi2ELi2ELb1EEvPKcS1_S1_S1_S1_PKiPfP15HIP_vector_typeIfLj2EEffffjfiS5_IjLj3EEiiiiiiiiiiiliiliiiiil.numbered_sgpr, max(33, .L_ZL14no_device_codePKciS0_iS0_.numbered_sgpr)
	.set _ZL15flash_attn_tileILi112ELi112ELi2ELi2ELb1EEvPKcS1_S1_S1_S1_PKiPfP15HIP_vector_typeIfLj2EEffffjfiS5_IjLj3EEiiiiiiiiiiiliiliiiiil.num_named_barrier, max(0, .L_ZL14no_device_codePKciS0_iS0_.num_named_barrier)
	.set _ZL15flash_attn_tileILi112ELi112ELi2ELi2ELb1EEvPKcS1_S1_S1_S1_PKiPfP15HIP_vector_typeIfLj2EEffffjfiS5_IjLj3EEiiiiiiiiiiiliiliiiiil.private_seg_size, 0+max(.L_ZL14no_device_codePKciS0_iS0_.private_seg_size)
	.set _ZL15flash_attn_tileILi112ELi112ELi2ELi2ELb1EEvPKcS1_S1_S1_S1_PKiPfP15HIP_vector_typeIfLj2EEffffjfiS5_IjLj3EEiiiiiiiiiiiliiliiiiil.uses_vcc, or(1, .L_ZL14no_device_codePKciS0_iS0_.uses_vcc)
	.set _ZL15flash_attn_tileILi112ELi112ELi2ELi2ELb1EEvPKcS1_S1_S1_S1_PKiPfP15HIP_vector_typeIfLj2EEffffjfiS5_IjLj3EEiiiiiiiiiiiliiliiiiil.uses_flat_scratch, or(0, .L_ZL14no_device_codePKciS0_iS0_.uses_flat_scratch)
	.set _ZL15flash_attn_tileILi112ELi112ELi2ELi2ELb1EEvPKcS1_S1_S1_S1_PKiPfP15HIP_vector_typeIfLj2EEffffjfiS5_IjLj3EEiiiiiiiiiiiliiliiiiil.has_dyn_sized_stack, or(0, .L_ZL14no_device_codePKciS0_iS0_.has_dyn_sized_stack)
	.set _ZL15flash_attn_tileILi112ELi112ELi2ELi2ELb1EEvPKcS1_S1_S1_S1_PKiPfP15HIP_vector_typeIfLj2EEffffjfiS5_IjLj3EEiiiiiiiiiiiliiliiiiil.has_recursion, or(0, .L_ZL14no_device_codePKciS0_iS0_.has_recursion)
	.set _ZL15flash_attn_tileILi112ELi112ELi2ELi2ELb1EEvPKcS1_S1_S1_S1_PKiPfP15HIP_vector_typeIfLj2EEffffjfiS5_IjLj3EEiiiiiiiiiiiliiliiiiil.has_indirect_call, or(0, .L_ZL14no_device_codePKciS0_iS0_.has_indirect_call)
	.section	.AMDGPU.csdata,"",@progbits
; Kernel info:
; codeLenInByte = 48
; TotalNumSgprs: 36
; NumVgprs: 40
; ScratchSize: 16
; MemoryBound: 0
; FloatMode: 240
; IeeeMode: 1
; LDSByteSize: 0 bytes/workgroup (compile time only)
; SGPRBlocks: 0
; VGPRBlocks: 4
; NumSGPRsForWavesPerEU: 36
; NumVGPRsForWavesPerEU: 40
; Occupancy: 16
; WaveLimiterHint : 1
; COMPUTE_PGM_RSRC2:SCRATCH_EN: 1
; COMPUTE_PGM_RSRC2:USER_SGPR: 6
; COMPUTE_PGM_RSRC2:TRAP_HANDLER: 0
; COMPUTE_PGM_RSRC2:TGID_X_EN: 1
; COMPUTE_PGM_RSRC2:TGID_Y_EN: 0
; COMPUTE_PGM_RSRC2:TGID_Z_EN: 0
; COMPUTE_PGM_RSRC2:TIDIG_COMP_CNT: 0
	.section	.text._ZL15flash_attn_tileILi112ELi112ELi1ELi2ELb1EEvPKcS1_S1_S1_S1_PKiPfP15HIP_vector_typeIfLj2EEffffjfiS5_IjLj3EEiiiiiiiiiiiliiliiiiil,"axG",@progbits,_ZL15flash_attn_tileILi112ELi112ELi1ELi2ELb1EEvPKcS1_S1_S1_S1_PKiPfP15HIP_vector_typeIfLj2EEffffjfiS5_IjLj3EEiiiiiiiiiiiliiliiiiil,comdat
	.globl	_ZL15flash_attn_tileILi112ELi112ELi1ELi2ELb1EEvPKcS1_S1_S1_S1_PKiPfP15HIP_vector_typeIfLj2EEffffjfiS5_IjLj3EEiiiiiiiiiiiliiliiiiil ; -- Begin function _ZL15flash_attn_tileILi112ELi112ELi1ELi2ELb1EEvPKcS1_S1_S1_S1_PKiPfP15HIP_vector_typeIfLj2EEffffjfiS5_IjLj3EEiiiiiiiiiiiliiliiiiil
	.p2align	8
	.type	_ZL15flash_attn_tileILi112ELi112ELi1ELi2ELb1EEvPKcS1_S1_S1_S1_PKiPfP15HIP_vector_typeIfLj2EEffffjfiS5_IjLj3EEiiiiiiiiiiiliiliiiiil,@function
_ZL15flash_attn_tileILi112ELi112ELi1ELi2ELb1EEvPKcS1_S1_S1_S1_PKiPfP15HIP_vector_typeIfLj2EEffffjfiS5_IjLj3EEiiiiiiiiiiiliiliiiiil: ; @_ZL15flash_attn_tileILi112ELi112ELi1ELi2ELb1EEvPKcS1_S1_S1_S1_PKiPfP15HIP_vector_typeIfLj2EEffffjfiS5_IjLj3EEiiiiiiiiiiiliiliiiiil
; %bb.0:
	s_add_u32 s0, s0, s7
	s_addc_u32 s1, s1, 0
	s_add_u32 s8, s4, 0xd0
	s_addc_u32 s9, s5, 0
	s_getpc_b64 s[4:5]
	s_add_u32 s4, s4, _ZL14no_device_codePKciS0_iS0_@rel32@lo+4
	s_addc_u32 s5, s5, _ZL14no_device_codePKciS0_iS0_@rel32@hi+12
	s_mov_b32 s32, 0
	s_swappc_b64 s[30:31], s[4:5]
	.section	.rodata,"a",@progbits
	.p2align	6, 0x0
	.amdhsa_kernel _ZL15flash_attn_tileILi112ELi112ELi1ELi2ELb1EEvPKcS1_S1_S1_S1_PKiPfP15HIP_vector_typeIfLj2EEffffjfiS5_IjLj3EEiiiiiiiiiiiliiliiiiil
		.amdhsa_group_segment_fixed_size 0
		.amdhsa_private_segment_fixed_size 16
		.amdhsa_kernarg_size 464
		.amdhsa_user_sgpr_count 6
		.amdhsa_user_sgpr_private_segment_buffer 1
		.amdhsa_user_sgpr_dispatch_ptr 0
		.amdhsa_user_sgpr_queue_ptr 0
		.amdhsa_user_sgpr_kernarg_segment_ptr 1
		.amdhsa_user_sgpr_dispatch_id 0
		.amdhsa_user_sgpr_flat_scratch_init 0
		.amdhsa_user_sgpr_private_segment_size 0
		.amdhsa_wavefront_size32 1
		.amdhsa_uses_dynamic_stack 0
		.amdhsa_system_sgpr_private_segment_wavefront_offset 1
		.amdhsa_system_sgpr_workgroup_id_x 1
		.amdhsa_system_sgpr_workgroup_id_y 0
		.amdhsa_system_sgpr_workgroup_id_z 0
		.amdhsa_system_sgpr_workgroup_info 0
		.amdhsa_system_vgpr_workitem_id 0
		.amdhsa_next_free_vgpr 40
		.amdhsa_next_free_sgpr 34
		.amdhsa_reserve_vcc 1
		.amdhsa_reserve_flat_scratch 0
		.amdhsa_float_round_mode_32 0
		.amdhsa_float_round_mode_16_64 0
		.amdhsa_float_denorm_mode_32 3
		.amdhsa_float_denorm_mode_16_64 3
		.amdhsa_dx10_clamp 1
		.amdhsa_ieee_mode 1
		.amdhsa_fp16_overflow 0
		.amdhsa_workgroup_processor_mode 1
		.amdhsa_memory_ordered 1
		.amdhsa_forward_progress 1
		.amdhsa_shared_vgpr_count 0
		.amdhsa_exception_fp_ieee_invalid_op 0
		.amdhsa_exception_fp_denorm_src 0
		.amdhsa_exception_fp_ieee_div_zero 0
		.amdhsa_exception_fp_ieee_overflow 0
		.amdhsa_exception_fp_ieee_underflow 0
		.amdhsa_exception_fp_ieee_inexact 0
		.amdhsa_exception_int_div_zero 0
	.end_amdhsa_kernel
	.section	.text._ZL15flash_attn_tileILi112ELi112ELi1ELi2ELb1EEvPKcS1_S1_S1_S1_PKiPfP15HIP_vector_typeIfLj2EEffffjfiS5_IjLj3EEiiiiiiiiiiiliiliiiiil,"axG",@progbits,_ZL15flash_attn_tileILi112ELi112ELi1ELi2ELb1EEvPKcS1_S1_S1_S1_PKiPfP15HIP_vector_typeIfLj2EEffffjfiS5_IjLj3EEiiiiiiiiiiiliiliiiiil,comdat
.Lfunc_end88:
	.size	_ZL15flash_attn_tileILi112ELi112ELi1ELi2ELb1EEvPKcS1_S1_S1_S1_PKiPfP15HIP_vector_typeIfLj2EEffffjfiS5_IjLj3EEiiiiiiiiiiiliiliiiiil, .Lfunc_end88-_ZL15flash_attn_tileILi112ELi112ELi1ELi2ELb1EEvPKcS1_S1_S1_S1_PKiPfP15HIP_vector_typeIfLj2EEffffjfiS5_IjLj3EEiiiiiiiiiiiliiliiiiil
                                        ; -- End function
	.set _ZL15flash_attn_tileILi112ELi112ELi1ELi2ELb1EEvPKcS1_S1_S1_S1_PKiPfP15HIP_vector_typeIfLj2EEffffjfiS5_IjLj3EEiiiiiiiiiiiliiliiiiil.num_vgpr, max(0, .L_ZL14no_device_codePKciS0_iS0_.num_vgpr)
	.set _ZL15flash_attn_tileILi112ELi112ELi1ELi2ELb1EEvPKcS1_S1_S1_S1_PKiPfP15HIP_vector_typeIfLj2EEffffjfiS5_IjLj3EEiiiiiiiiiiiliiliiiiil.num_agpr, max(0, .L_ZL14no_device_codePKciS0_iS0_.num_agpr)
	.set _ZL15flash_attn_tileILi112ELi112ELi1ELi2ELb1EEvPKcS1_S1_S1_S1_PKiPfP15HIP_vector_typeIfLj2EEffffjfiS5_IjLj3EEiiiiiiiiiiiliiliiiiil.numbered_sgpr, max(33, .L_ZL14no_device_codePKciS0_iS0_.numbered_sgpr)
	.set _ZL15flash_attn_tileILi112ELi112ELi1ELi2ELb1EEvPKcS1_S1_S1_S1_PKiPfP15HIP_vector_typeIfLj2EEffffjfiS5_IjLj3EEiiiiiiiiiiiliiliiiiil.num_named_barrier, max(0, .L_ZL14no_device_codePKciS0_iS0_.num_named_barrier)
	.set _ZL15flash_attn_tileILi112ELi112ELi1ELi2ELb1EEvPKcS1_S1_S1_S1_PKiPfP15HIP_vector_typeIfLj2EEffffjfiS5_IjLj3EEiiiiiiiiiiiliiliiiiil.private_seg_size, 0+max(.L_ZL14no_device_codePKciS0_iS0_.private_seg_size)
	.set _ZL15flash_attn_tileILi112ELi112ELi1ELi2ELb1EEvPKcS1_S1_S1_S1_PKiPfP15HIP_vector_typeIfLj2EEffffjfiS5_IjLj3EEiiiiiiiiiiiliiliiiiil.uses_vcc, or(1, .L_ZL14no_device_codePKciS0_iS0_.uses_vcc)
	.set _ZL15flash_attn_tileILi112ELi112ELi1ELi2ELb1EEvPKcS1_S1_S1_S1_PKiPfP15HIP_vector_typeIfLj2EEffffjfiS5_IjLj3EEiiiiiiiiiiiliiliiiiil.uses_flat_scratch, or(0, .L_ZL14no_device_codePKciS0_iS0_.uses_flat_scratch)
	.set _ZL15flash_attn_tileILi112ELi112ELi1ELi2ELb1EEvPKcS1_S1_S1_S1_PKiPfP15HIP_vector_typeIfLj2EEffffjfiS5_IjLj3EEiiiiiiiiiiiliiliiiiil.has_dyn_sized_stack, or(0, .L_ZL14no_device_codePKciS0_iS0_.has_dyn_sized_stack)
	.set _ZL15flash_attn_tileILi112ELi112ELi1ELi2ELb1EEvPKcS1_S1_S1_S1_PKiPfP15HIP_vector_typeIfLj2EEffffjfiS5_IjLj3EEiiiiiiiiiiiliiliiiiil.has_recursion, or(0, .L_ZL14no_device_codePKciS0_iS0_.has_recursion)
	.set _ZL15flash_attn_tileILi112ELi112ELi1ELi2ELb1EEvPKcS1_S1_S1_S1_PKiPfP15HIP_vector_typeIfLj2EEffffjfiS5_IjLj3EEiiiiiiiiiiiliiliiiiil.has_indirect_call, or(0, .L_ZL14no_device_codePKciS0_iS0_.has_indirect_call)
	.section	.AMDGPU.csdata,"",@progbits
; Kernel info:
; codeLenInByte = 48
; TotalNumSgprs: 36
; NumVgprs: 40
; ScratchSize: 16
; MemoryBound: 0
; FloatMode: 240
; IeeeMode: 1
; LDSByteSize: 0 bytes/workgroup (compile time only)
; SGPRBlocks: 0
; VGPRBlocks: 4
; NumSGPRsForWavesPerEU: 36
; NumVGPRsForWavesPerEU: 40
; Occupancy: 16
; WaveLimiterHint : 1
; COMPUTE_PGM_RSRC2:SCRATCH_EN: 1
; COMPUTE_PGM_RSRC2:USER_SGPR: 6
; COMPUTE_PGM_RSRC2:TRAP_HANDLER: 0
; COMPUTE_PGM_RSRC2:TGID_X_EN: 1
; COMPUTE_PGM_RSRC2:TGID_Y_EN: 0
; COMPUTE_PGM_RSRC2:TGID_Z_EN: 0
; COMPUTE_PGM_RSRC2:TIDIG_COMP_CNT: 0
	.section	.text._ZL15flash_attn_tileILi112ELi112ELi64ELi1ELb1EEvPKcS1_S1_S1_S1_PKiPfP15HIP_vector_typeIfLj2EEffffjfiS5_IjLj3EEiiiiiiiiiiiliiliiiiil,"axG",@progbits,_ZL15flash_attn_tileILi112ELi112ELi64ELi1ELb1EEvPKcS1_S1_S1_S1_PKiPfP15HIP_vector_typeIfLj2EEffffjfiS5_IjLj3EEiiiiiiiiiiiliiliiiiil,comdat
	.globl	_ZL15flash_attn_tileILi112ELi112ELi64ELi1ELb1EEvPKcS1_S1_S1_S1_PKiPfP15HIP_vector_typeIfLj2EEffffjfiS5_IjLj3EEiiiiiiiiiiiliiliiiiil ; -- Begin function _ZL15flash_attn_tileILi112ELi112ELi64ELi1ELb1EEvPKcS1_S1_S1_S1_PKiPfP15HIP_vector_typeIfLj2EEffffjfiS5_IjLj3EEiiiiiiiiiiiliiliiiiil
	.p2align	8
	.type	_ZL15flash_attn_tileILi112ELi112ELi64ELi1ELb1EEvPKcS1_S1_S1_S1_PKiPfP15HIP_vector_typeIfLj2EEffffjfiS5_IjLj3EEiiiiiiiiiiiliiliiiiil,@function
_ZL15flash_attn_tileILi112ELi112ELi64ELi1ELb1EEvPKcS1_S1_S1_S1_PKiPfP15HIP_vector_typeIfLj2EEffffjfiS5_IjLj3EEiiiiiiiiiiiliiliiiiil: ; @_ZL15flash_attn_tileILi112ELi112ELi64ELi1ELb1EEvPKcS1_S1_S1_S1_PKiPfP15HIP_vector_typeIfLj2EEffffjfiS5_IjLj3EEiiiiiiiiiiiliiliiiiil
; %bb.0:
	s_add_u32 s0, s0, s7
	s_addc_u32 s1, s1, 0
	s_add_u32 s8, s4, 0xd0
	s_addc_u32 s9, s5, 0
	s_getpc_b64 s[4:5]
	s_add_u32 s4, s4, _ZL14no_device_codePKciS0_iS0_@rel32@lo+4
	s_addc_u32 s5, s5, _ZL14no_device_codePKciS0_iS0_@rel32@hi+12
	s_mov_b32 s32, 0
	s_swappc_b64 s[30:31], s[4:5]
	.section	.rodata,"a",@progbits
	.p2align	6, 0x0
	.amdhsa_kernel _ZL15flash_attn_tileILi112ELi112ELi64ELi1ELb1EEvPKcS1_S1_S1_S1_PKiPfP15HIP_vector_typeIfLj2EEffffjfiS5_IjLj3EEiiiiiiiiiiiliiliiiiil
		.amdhsa_group_segment_fixed_size 0
		.amdhsa_private_segment_fixed_size 16
		.amdhsa_kernarg_size 464
		.amdhsa_user_sgpr_count 6
		.amdhsa_user_sgpr_private_segment_buffer 1
		.amdhsa_user_sgpr_dispatch_ptr 0
		.amdhsa_user_sgpr_queue_ptr 0
		.amdhsa_user_sgpr_kernarg_segment_ptr 1
		.amdhsa_user_sgpr_dispatch_id 0
		.amdhsa_user_sgpr_flat_scratch_init 0
		.amdhsa_user_sgpr_private_segment_size 0
		.amdhsa_wavefront_size32 1
		.amdhsa_uses_dynamic_stack 0
		.amdhsa_system_sgpr_private_segment_wavefront_offset 1
		.amdhsa_system_sgpr_workgroup_id_x 1
		.amdhsa_system_sgpr_workgroup_id_y 0
		.amdhsa_system_sgpr_workgroup_id_z 0
		.amdhsa_system_sgpr_workgroup_info 0
		.amdhsa_system_vgpr_workitem_id 0
		.amdhsa_next_free_vgpr 40
		.amdhsa_next_free_sgpr 34
		.amdhsa_reserve_vcc 1
		.amdhsa_reserve_flat_scratch 0
		.amdhsa_float_round_mode_32 0
		.amdhsa_float_round_mode_16_64 0
		.amdhsa_float_denorm_mode_32 3
		.amdhsa_float_denorm_mode_16_64 3
		.amdhsa_dx10_clamp 1
		.amdhsa_ieee_mode 1
		.amdhsa_fp16_overflow 0
		.amdhsa_workgroup_processor_mode 1
		.amdhsa_memory_ordered 1
		.amdhsa_forward_progress 1
		.amdhsa_shared_vgpr_count 0
		.amdhsa_exception_fp_ieee_invalid_op 0
		.amdhsa_exception_fp_denorm_src 0
		.amdhsa_exception_fp_ieee_div_zero 0
		.amdhsa_exception_fp_ieee_overflow 0
		.amdhsa_exception_fp_ieee_underflow 0
		.amdhsa_exception_fp_ieee_inexact 0
		.amdhsa_exception_int_div_zero 0
	.end_amdhsa_kernel
	.section	.text._ZL15flash_attn_tileILi112ELi112ELi64ELi1ELb1EEvPKcS1_S1_S1_S1_PKiPfP15HIP_vector_typeIfLj2EEffffjfiS5_IjLj3EEiiiiiiiiiiiliiliiiiil,"axG",@progbits,_ZL15flash_attn_tileILi112ELi112ELi64ELi1ELb1EEvPKcS1_S1_S1_S1_PKiPfP15HIP_vector_typeIfLj2EEffffjfiS5_IjLj3EEiiiiiiiiiiiliiliiiiil,comdat
.Lfunc_end89:
	.size	_ZL15flash_attn_tileILi112ELi112ELi64ELi1ELb1EEvPKcS1_S1_S1_S1_PKiPfP15HIP_vector_typeIfLj2EEffffjfiS5_IjLj3EEiiiiiiiiiiiliiliiiiil, .Lfunc_end89-_ZL15flash_attn_tileILi112ELi112ELi64ELi1ELb1EEvPKcS1_S1_S1_S1_PKiPfP15HIP_vector_typeIfLj2EEffffjfiS5_IjLj3EEiiiiiiiiiiiliiliiiiil
                                        ; -- End function
	.set _ZL15flash_attn_tileILi112ELi112ELi64ELi1ELb1EEvPKcS1_S1_S1_S1_PKiPfP15HIP_vector_typeIfLj2EEffffjfiS5_IjLj3EEiiiiiiiiiiiliiliiiiil.num_vgpr, max(0, .L_ZL14no_device_codePKciS0_iS0_.num_vgpr)
	.set _ZL15flash_attn_tileILi112ELi112ELi64ELi1ELb1EEvPKcS1_S1_S1_S1_PKiPfP15HIP_vector_typeIfLj2EEffffjfiS5_IjLj3EEiiiiiiiiiiiliiliiiiil.num_agpr, max(0, .L_ZL14no_device_codePKciS0_iS0_.num_agpr)
	.set _ZL15flash_attn_tileILi112ELi112ELi64ELi1ELb1EEvPKcS1_S1_S1_S1_PKiPfP15HIP_vector_typeIfLj2EEffffjfiS5_IjLj3EEiiiiiiiiiiiliiliiiiil.numbered_sgpr, max(33, .L_ZL14no_device_codePKciS0_iS0_.numbered_sgpr)
	.set _ZL15flash_attn_tileILi112ELi112ELi64ELi1ELb1EEvPKcS1_S1_S1_S1_PKiPfP15HIP_vector_typeIfLj2EEffffjfiS5_IjLj3EEiiiiiiiiiiiliiliiiiil.num_named_barrier, max(0, .L_ZL14no_device_codePKciS0_iS0_.num_named_barrier)
	.set _ZL15flash_attn_tileILi112ELi112ELi64ELi1ELb1EEvPKcS1_S1_S1_S1_PKiPfP15HIP_vector_typeIfLj2EEffffjfiS5_IjLj3EEiiiiiiiiiiiliiliiiiil.private_seg_size, 0+max(.L_ZL14no_device_codePKciS0_iS0_.private_seg_size)
	.set _ZL15flash_attn_tileILi112ELi112ELi64ELi1ELb1EEvPKcS1_S1_S1_S1_PKiPfP15HIP_vector_typeIfLj2EEffffjfiS5_IjLj3EEiiiiiiiiiiiliiliiiiil.uses_vcc, or(1, .L_ZL14no_device_codePKciS0_iS0_.uses_vcc)
	.set _ZL15flash_attn_tileILi112ELi112ELi64ELi1ELb1EEvPKcS1_S1_S1_S1_PKiPfP15HIP_vector_typeIfLj2EEffffjfiS5_IjLj3EEiiiiiiiiiiiliiliiiiil.uses_flat_scratch, or(0, .L_ZL14no_device_codePKciS0_iS0_.uses_flat_scratch)
	.set _ZL15flash_attn_tileILi112ELi112ELi64ELi1ELb1EEvPKcS1_S1_S1_S1_PKiPfP15HIP_vector_typeIfLj2EEffffjfiS5_IjLj3EEiiiiiiiiiiiliiliiiiil.has_dyn_sized_stack, or(0, .L_ZL14no_device_codePKciS0_iS0_.has_dyn_sized_stack)
	.set _ZL15flash_attn_tileILi112ELi112ELi64ELi1ELb1EEvPKcS1_S1_S1_S1_PKiPfP15HIP_vector_typeIfLj2EEffffjfiS5_IjLj3EEiiiiiiiiiiiliiliiiiil.has_recursion, or(0, .L_ZL14no_device_codePKciS0_iS0_.has_recursion)
	.set _ZL15flash_attn_tileILi112ELi112ELi64ELi1ELb1EEvPKcS1_S1_S1_S1_PKiPfP15HIP_vector_typeIfLj2EEffffjfiS5_IjLj3EEiiiiiiiiiiiliiliiiiil.has_indirect_call, or(0, .L_ZL14no_device_codePKciS0_iS0_.has_indirect_call)
	.section	.AMDGPU.csdata,"",@progbits
; Kernel info:
; codeLenInByte = 48
; TotalNumSgprs: 36
; NumVgprs: 40
; ScratchSize: 16
; MemoryBound: 0
; FloatMode: 240
; IeeeMode: 1
; LDSByteSize: 0 bytes/workgroup (compile time only)
; SGPRBlocks: 0
; VGPRBlocks: 4
; NumSGPRsForWavesPerEU: 36
; NumVGPRsForWavesPerEU: 40
; Occupancy: 16
; WaveLimiterHint : 1
; COMPUTE_PGM_RSRC2:SCRATCH_EN: 1
; COMPUTE_PGM_RSRC2:USER_SGPR: 6
; COMPUTE_PGM_RSRC2:TRAP_HANDLER: 0
; COMPUTE_PGM_RSRC2:TGID_X_EN: 1
; COMPUTE_PGM_RSRC2:TGID_Y_EN: 0
; COMPUTE_PGM_RSRC2:TGID_Z_EN: 0
; COMPUTE_PGM_RSRC2:TIDIG_COMP_CNT: 0
	.section	.text._ZL15flash_attn_tileILi112ELi112ELi32ELi1ELb1EEvPKcS1_S1_S1_S1_PKiPfP15HIP_vector_typeIfLj2EEffffjfiS5_IjLj3EEiiiiiiiiiiiliiliiiiil,"axG",@progbits,_ZL15flash_attn_tileILi112ELi112ELi32ELi1ELb1EEvPKcS1_S1_S1_S1_PKiPfP15HIP_vector_typeIfLj2EEffffjfiS5_IjLj3EEiiiiiiiiiiiliiliiiiil,comdat
	.globl	_ZL15flash_attn_tileILi112ELi112ELi32ELi1ELb1EEvPKcS1_S1_S1_S1_PKiPfP15HIP_vector_typeIfLj2EEffffjfiS5_IjLj3EEiiiiiiiiiiiliiliiiiil ; -- Begin function _ZL15flash_attn_tileILi112ELi112ELi32ELi1ELb1EEvPKcS1_S1_S1_S1_PKiPfP15HIP_vector_typeIfLj2EEffffjfiS5_IjLj3EEiiiiiiiiiiiliiliiiiil
	.p2align	8
	.type	_ZL15flash_attn_tileILi112ELi112ELi32ELi1ELb1EEvPKcS1_S1_S1_S1_PKiPfP15HIP_vector_typeIfLj2EEffffjfiS5_IjLj3EEiiiiiiiiiiiliiliiiiil,@function
_ZL15flash_attn_tileILi112ELi112ELi32ELi1ELb1EEvPKcS1_S1_S1_S1_PKiPfP15HIP_vector_typeIfLj2EEffffjfiS5_IjLj3EEiiiiiiiiiiiliiliiiiil: ; @_ZL15flash_attn_tileILi112ELi112ELi32ELi1ELb1EEvPKcS1_S1_S1_S1_PKiPfP15HIP_vector_typeIfLj2EEffffjfiS5_IjLj3EEiiiiiiiiiiiliiliiiiil
; %bb.0:
	s_add_u32 s0, s0, s7
	s_addc_u32 s1, s1, 0
	s_add_u32 s8, s4, 0xd0
	s_addc_u32 s9, s5, 0
	s_getpc_b64 s[4:5]
	s_add_u32 s4, s4, _ZL14no_device_codePKciS0_iS0_@rel32@lo+4
	s_addc_u32 s5, s5, _ZL14no_device_codePKciS0_iS0_@rel32@hi+12
	s_mov_b32 s32, 0
	s_swappc_b64 s[30:31], s[4:5]
	.section	.rodata,"a",@progbits
	.p2align	6, 0x0
	.amdhsa_kernel _ZL15flash_attn_tileILi112ELi112ELi32ELi1ELb1EEvPKcS1_S1_S1_S1_PKiPfP15HIP_vector_typeIfLj2EEffffjfiS5_IjLj3EEiiiiiiiiiiiliiliiiiil
		.amdhsa_group_segment_fixed_size 0
		.amdhsa_private_segment_fixed_size 16
		.amdhsa_kernarg_size 464
		.amdhsa_user_sgpr_count 6
		.amdhsa_user_sgpr_private_segment_buffer 1
		.amdhsa_user_sgpr_dispatch_ptr 0
		.amdhsa_user_sgpr_queue_ptr 0
		.amdhsa_user_sgpr_kernarg_segment_ptr 1
		.amdhsa_user_sgpr_dispatch_id 0
		.amdhsa_user_sgpr_flat_scratch_init 0
		.amdhsa_user_sgpr_private_segment_size 0
		.amdhsa_wavefront_size32 1
		.amdhsa_uses_dynamic_stack 0
		.amdhsa_system_sgpr_private_segment_wavefront_offset 1
		.amdhsa_system_sgpr_workgroup_id_x 1
		.amdhsa_system_sgpr_workgroup_id_y 0
		.amdhsa_system_sgpr_workgroup_id_z 0
		.amdhsa_system_sgpr_workgroup_info 0
		.amdhsa_system_vgpr_workitem_id 0
		.amdhsa_next_free_vgpr 40
		.amdhsa_next_free_sgpr 34
		.amdhsa_reserve_vcc 1
		.amdhsa_reserve_flat_scratch 0
		.amdhsa_float_round_mode_32 0
		.amdhsa_float_round_mode_16_64 0
		.amdhsa_float_denorm_mode_32 3
		.amdhsa_float_denorm_mode_16_64 3
		.amdhsa_dx10_clamp 1
		.amdhsa_ieee_mode 1
		.amdhsa_fp16_overflow 0
		.amdhsa_workgroup_processor_mode 1
		.amdhsa_memory_ordered 1
		.amdhsa_forward_progress 1
		.amdhsa_shared_vgpr_count 0
		.amdhsa_exception_fp_ieee_invalid_op 0
		.amdhsa_exception_fp_denorm_src 0
		.amdhsa_exception_fp_ieee_div_zero 0
		.amdhsa_exception_fp_ieee_overflow 0
		.amdhsa_exception_fp_ieee_underflow 0
		.amdhsa_exception_fp_ieee_inexact 0
		.amdhsa_exception_int_div_zero 0
	.end_amdhsa_kernel
	.section	.text._ZL15flash_attn_tileILi112ELi112ELi32ELi1ELb1EEvPKcS1_S1_S1_S1_PKiPfP15HIP_vector_typeIfLj2EEffffjfiS5_IjLj3EEiiiiiiiiiiiliiliiiiil,"axG",@progbits,_ZL15flash_attn_tileILi112ELi112ELi32ELi1ELb1EEvPKcS1_S1_S1_S1_PKiPfP15HIP_vector_typeIfLj2EEffffjfiS5_IjLj3EEiiiiiiiiiiiliiliiiiil,comdat
.Lfunc_end90:
	.size	_ZL15flash_attn_tileILi112ELi112ELi32ELi1ELb1EEvPKcS1_S1_S1_S1_PKiPfP15HIP_vector_typeIfLj2EEffffjfiS5_IjLj3EEiiiiiiiiiiiliiliiiiil, .Lfunc_end90-_ZL15flash_attn_tileILi112ELi112ELi32ELi1ELb1EEvPKcS1_S1_S1_S1_PKiPfP15HIP_vector_typeIfLj2EEffffjfiS5_IjLj3EEiiiiiiiiiiiliiliiiiil
                                        ; -- End function
	.set _ZL15flash_attn_tileILi112ELi112ELi32ELi1ELb1EEvPKcS1_S1_S1_S1_PKiPfP15HIP_vector_typeIfLj2EEffffjfiS5_IjLj3EEiiiiiiiiiiiliiliiiiil.num_vgpr, max(0, .L_ZL14no_device_codePKciS0_iS0_.num_vgpr)
	.set _ZL15flash_attn_tileILi112ELi112ELi32ELi1ELb1EEvPKcS1_S1_S1_S1_PKiPfP15HIP_vector_typeIfLj2EEffffjfiS5_IjLj3EEiiiiiiiiiiiliiliiiiil.num_agpr, max(0, .L_ZL14no_device_codePKciS0_iS0_.num_agpr)
	.set _ZL15flash_attn_tileILi112ELi112ELi32ELi1ELb1EEvPKcS1_S1_S1_S1_PKiPfP15HIP_vector_typeIfLj2EEffffjfiS5_IjLj3EEiiiiiiiiiiiliiliiiiil.numbered_sgpr, max(33, .L_ZL14no_device_codePKciS0_iS0_.numbered_sgpr)
	.set _ZL15flash_attn_tileILi112ELi112ELi32ELi1ELb1EEvPKcS1_S1_S1_S1_PKiPfP15HIP_vector_typeIfLj2EEffffjfiS5_IjLj3EEiiiiiiiiiiiliiliiiiil.num_named_barrier, max(0, .L_ZL14no_device_codePKciS0_iS0_.num_named_barrier)
	.set _ZL15flash_attn_tileILi112ELi112ELi32ELi1ELb1EEvPKcS1_S1_S1_S1_PKiPfP15HIP_vector_typeIfLj2EEffffjfiS5_IjLj3EEiiiiiiiiiiiliiliiiiil.private_seg_size, 0+max(.L_ZL14no_device_codePKciS0_iS0_.private_seg_size)
	.set _ZL15flash_attn_tileILi112ELi112ELi32ELi1ELb1EEvPKcS1_S1_S1_S1_PKiPfP15HIP_vector_typeIfLj2EEffffjfiS5_IjLj3EEiiiiiiiiiiiliiliiiiil.uses_vcc, or(1, .L_ZL14no_device_codePKciS0_iS0_.uses_vcc)
	.set _ZL15flash_attn_tileILi112ELi112ELi32ELi1ELb1EEvPKcS1_S1_S1_S1_PKiPfP15HIP_vector_typeIfLj2EEffffjfiS5_IjLj3EEiiiiiiiiiiiliiliiiiil.uses_flat_scratch, or(0, .L_ZL14no_device_codePKciS0_iS0_.uses_flat_scratch)
	.set _ZL15flash_attn_tileILi112ELi112ELi32ELi1ELb1EEvPKcS1_S1_S1_S1_PKiPfP15HIP_vector_typeIfLj2EEffffjfiS5_IjLj3EEiiiiiiiiiiiliiliiiiil.has_dyn_sized_stack, or(0, .L_ZL14no_device_codePKciS0_iS0_.has_dyn_sized_stack)
	.set _ZL15flash_attn_tileILi112ELi112ELi32ELi1ELb1EEvPKcS1_S1_S1_S1_PKiPfP15HIP_vector_typeIfLj2EEffffjfiS5_IjLj3EEiiiiiiiiiiiliiliiiiil.has_recursion, or(0, .L_ZL14no_device_codePKciS0_iS0_.has_recursion)
	.set _ZL15flash_attn_tileILi112ELi112ELi32ELi1ELb1EEvPKcS1_S1_S1_S1_PKiPfP15HIP_vector_typeIfLj2EEffffjfiS5_IjLj3EEiiiiiiiiiiiliiliiiiil.has_indirect_call, or(0, .L_ZL14no_device_codePKciS0_iS0_.has_indirect_call)
	.section	.AMDGPU.csdata,"",@progbits
; Kernel info:
; codeLenInByte = 48
; TotalNumSgprs: 36
; NumVgprs: 40
; ScratchSize: 16
; MemoryBound: 0
; FloatMode: 240
; IeeeMode: 1
; LDSByteSize: 0 bytes/workgroup (compile time only)
; SGPRBlocks: 0
; VGPRBlocks: 4
; NumSGPRsForWavesPerEU: 36
; NumVGPRsForWavesPerEU: 40
; Occupancy: 16
; WaveLimiterHint : 1
; COMPUTE_PGM_RSRC2:SCRATCH_EN: 1
; COMPUTE_PGM_RSRC2:USER_SGPR: 6
; COMPUTE_PGM_RSRC2:TRAP_HANDLER: 0
; COMPUTE_PGM_RSRC2:TGID_X_EN: 1
; COMPUTE_PGM_RSRC2:TGID_Y_EN: 0
; COMPUTE_PGM_RSRC2:TGID_Z_EN: 0
; COMPUTE_PGM_RSRC2:TIDIG_COMP_CNT: 0
	.section	.text._ZL15flash_attn_tileILi112ELi112ELi16ELi1ELb1EEvPKcS1_S1_S1_S1_PKiPfP15HIP_vector_typeIfLj2EEffffjfiS5_IjLj3EEiiiiiiiiiiiliiliiiiil,"axG",@progbits,_ZL15flash_attn_tileILi112ELi112ELi16ELi1ELb1EEvPKcS1_S1_S1_S1_PKiPfP15HIP_vector_typeIfLj2EEffffjfiS5_IjLj3EEiiiiiiiiiiiliiliiiiil,comdat
	.globl	_ZL15flash_attn_tileILi112ELi112ELi16ELi1ELb1EEvPKcS1_S1_S1_S1_PKiPfP15HIP_vector_typeIfLj2EEffffjfiS5_IjLj3EEiiiiiiiiiiiliiliiiiil ; -- Begin function _ZL15flash_attn_tileILi112ELi112ELi16ELi1ELb1EEvPKcS1_S1_S1_S1_PKiPfP15HIP_vector_typeIfLj2EEffffjfiS5_IjLj3EEiiiiiiiiiiiliiliiiiil
	.p2align	8
	.type	_ZL15flash_attn_tileILi112ELi112ELi16ELi1ELb1EEvPKcS1_S1_S1_S1_PKiPfP15HIP_vector_typeIfLj2EEffffjfiS5_IjLj3EEiiiiiiiiiiiliiliiiiil,@function
_ZL15flash_attn_tileILi112ELi112ELi16ELi1ELb1EEvPKcS1_S1_S1_S1_PKiPfP15HIP_vector_typeIfLj2EEffffjfiS5_IjLj3EEiiiiiiiiiiiliiliiiiil: ; @_ZL15flash_attn_tileILi112ELi112ELi16ELi1ELb1EEvPKcS1_S1_S1_S1_PKiPfP15HIP_vector_typeIfLj2EEffffjfiS5_IjLj3EEiiiiiiiiiiiliiliiiiil
; %bb.0:
	s_add_u32 s0, s0, s7
	s_addc_u32 s1, s1, 0
	s_add_u32 s8, s4, 0xd0
	s_addc_u32 s9, s5, 0
	s_getpc_b64 s[4:5]
	s_add_u32 s4, s4, _ZL14no_device_codePKciS0_iS0_@rel32@lo+4
	s_addc_u32 s5, s5, _ZL14no_device_codePKciS0_iS0_@rel32@hi+12
	s_mov_b32 s32, 0
	s_swappc_b64 s[30:31], s[4:5]
	.section	.rodata,"a",@progbits
	.p2align	6, 0x0
	.amdhsa_kernel _ZL15flash_attn_tileILi112ELi112ELi16ELi1ELb1EEvPKcS1_S1_S1_S1_PKiPfP15HIP_vector_typeIfLj2EEffffjfiS5_IjLj3EEiiiiiiiiiiiliiliiiiil
		.amdhsa_group_segment_fixed_size 0
		.amdhsa_private_segment_fixed_size 16
		.amdhsa_kernarg_size 464
		.amdhsa_user_sgpr_count 6
		.amdhsa_user_sgpr_private_segment_buffer 1
		.amdhsa_user_sgpr_dispatch_ptr 0
		.amdhsa_user_sgpr_queue_ptr 0
		.amdhsa_user_sgpr_kernarg_segment_ptr 1
		.amdhsa_user_sgpr_dispatch_id 0
		.amdhsa_user_sgpr_flat_scratch_init 0
		.amdhsa_user_sgpr_private_segment_size 0
		.amdhsa_wavefront_size32 1
		.amdhsa_uses_dynamic_stack 0
		.amdhsa_system_sgpr_private_segment_wavefront_offset 1
		.amdhsa_system_sgpr_workgroup_id_x 1
		.amdhsa_system_sgpr_workgroup_id_y 0
		.amdhsa_system_sgpr_workgroup_id_z 0
		.amdhsa_system_sgpr_workgroup_info 0
		.amdhsa_system_vgpr_workitem_id 0
		.amdhsa_next_free_vgpr 40
		.amdhsa_next_free_sgpr 34
		.amdhsa_reserve_vcc 1
		.amdhsa_reserve_flat_scratch 0
		.amdhsa_float_round_mode_32 0
		.amdhsa_float_round_mode_16_64 0
		.amdhsa_float_denorm_mode_32 3
		.amdhsa_float_denorm_mode_16_64 3
		.amdhsa_dx10_clamp 1
		.amdhsa_ieee_mode 1
		.amdhsa_fp16_overflow 0
		.amdhsa_workgroup_processor_mode 1
		.amdhsa_memory_ordered 1
		.amdhsa_forward_progress 1
		.amdhsa_shared_vgpr_count 0
		.amdhsa_exception_fp_ieee_invalid_op 0
		.amdhsa_exception_fp_denorm_src 0
		.amdhsa_exception_fp_ieee_div_zero 0
		.amdhsa_exception_fp_ieee_overflow 0
		.amdhsa_exception_fp_ieee_underflow 0
		.amdhsa_exception_fp_ieee_inexact 0
		.amdhsa_exception_int_div_zero 0
	.end_amdhsa_kernel
	.section	.text._ZL15flash_attn_tileILi112ELi112ELi16ELi1ELb1EEvPKcS1_S1_S1_S1_PKiPfP15HIP_vector_typeIfLj2EEffffjfiS5_IjLj3EEiiiiiiiiiiiliiliiiiil,"axG",@progbits,_ZL15flash_attn_tileILi112ELi112ELi16ELi1ELb1EEvPKcS1_S1_S1_S1_PKiPfP15HIP_vector_typeIfLj2EEffffjfiS5_IjLj3EEiiiiiiiiiiiliiliiiiil,comdat
.Lfunc_end91:
	.size	_ZL15flash_attn_tileILi112ELi112ELi16ELi1ELb1EEvPKcS1_S1_S1_S1_PKiPfP15HIP_vector_typeIfLj2EEffffjfiS5_IjLj3EEiiiiiiiiiiiliiliiiiil, .Lfunc_end91-_ZL15flash_attn_tileILi112ELi112ELi16ELi1ELb1EEvPKcS1_S1_S1_S1_PKiPfP15HIP_vector_typeIfLj2EEffffjfiS5_IjLj3EEiiiiiiiiiiiliiliiiiil
                                        ; -- End function
	.set _ZL15flash_attn_tileILi112ELi112ELi16ELi1ELb1EEvPKcS1_S1_S1_S1_PKiPfP15HIP_vector_typeIfLj2EEffffjfiS5_IjLj3EEiiiiiiiiiiiliiliiiiil.num_vgpr, max(0, .L_ZL14no_device_codePKciS0_iS0_.num_vgpr)
	.set _ZL15flash_attn_tileILi112ELi112ELi16ELi1ELb1EEvPKcS1_S1_S1_S1_PKiPfP15HIP_vector_typeIfLj2EEffffjfiS5_IjLj3EEiiiiiiiiiiiliiliiiiil.num_agpr, max(0, .L_ZL14no_device_codePKciS0_iS0_.num_agpr)
	.set _ZL15flash_attn_tileILi112ELi112ELi16ELi1ELb1EEvPKcS1_S1_S1_S1_PKiPfP15HIP_vector_typeIfLj2EEffffjfiS5_IjLj3EEiiiiiiiiiiiliiliiiiil.numbered_sgpr, max(33, .L_ZL14no_device_codePKciS0_iS0_.numbered_sgpr)
	.set _ZL15flash_attn_tileILi112ELi112ELi16ELi1ELb1EEvPKcS1_S1_S1_S1_PKiPfP15HIP_vector_typeIfLj2EEffffjfiS5_IjLj3EEiiiiiiiiiiiliiliiiiil.num_named_barrier, max(0, .L_ZL14no_device_codePKciS0_iS0_.num_named_barrier)
	.set _ZL15flash_attn_tileILi112ELi112ELi16ELi1ELb1EEvPKcS1_S1_S1_S1_PKiPfP15HIP_vector_typeIfLj2EEffffjfiS5_IjLj3EEiiiiiiiiiiiliiliiiiil.private_seg_size, 0+max(.L_ZL14no_device_codePKciS0_iS0_.private_seg_size)
	.set _ZL15flash_attn_tileILi112ELi112ELi16ELi1ELb1EEvPKcS1_S1_S1_S1_PKiPfP15HIP_vector_typeIfLj2EEffffjfiS5_IjLj3EEiiiiiiiiiiiliiliiiiil.uses_vcc, or(1, .L_ZL14no_device_codePKciS0_iS0_.uses_vcc)
	.set _ZL15flash_attn_tileILi112ELi112ELi16ELi1ELb1EEvPKcS1_S1_S1_S1_PKiPfP15HIP_vector_typeIfLj2EEffffjfiS5_IjLj3EEiiiiiiiiiiiliiliiiiil.uses_flat_scratch, or(0, .L_ZL14no_device_codePKciS0_iS0_.uses_flat_scratch)
	.set _ZL15flash_attn_tileILi112ELi112ELi16ELi1ELb1EEvPKcS1_S1_S1_S1_PKiPfP15HIP_vector_typeIfLj2EEffffjfiS5_IjLj3EEiiiiiiiiiiiliiliiiiil.has_dyn_sized_stack, or(0, .L_ZL14no_device_codePKciS0_iS0_.has_dyn_sized_stack)
	.set _ZL15flash_attn_tileILi112ELi112ELi16ELi1ELb1EEvPKcS1_S1_S1_S1_PKiPfP15HIP_vector_typeIfLj2EEffffjfiS5_IjLj3EEiiiiiiiiiiiliiliiiiil.has_recursion, or(0, .L_ZL14no_device_codePKciS0_iS0_.has_recursion)
	.set _ZL15flash_attn_tileILi112ELi112ELi16ELi1ELb1EEvPKcS1_S1_S1_S1_PKiPfP15HIP_vector_typeIfLj2EEffffjfiS5_IjLj3EEiiiiiiiiiiiliiliiiiil.has_indirect_call, or(0, .L_ZL14no_device_codePKciS0_iS0_.has_indirect_call)
	.section	.AMDGPU.csdata,"",@progbits
; Kernel info:
; codeLenInByte = 48
; TotalNumSgprs: 36
; NumVgprs: 40
; ScratchSize: 16
; MemoryBound: 0
; FloatMode: 240
; IeeeMode: 1
; LDSByteSize: 0 bytes/workgroup (compile time only)
; SGPRBlocks: 0
; VGPRBlocks: 4
; NumSGPRsForWavesPerEU: 36
; NumVGPRsForWavesPerEU: 40
; Occupancy: 16
; WaveLimiterHint : 1
; COMPUTE_PGM_RSRC2:SCRATCH_EN: 1
; COMPUTE_PGM_RSRC2:USER_SGPR: 6
; COMPUTE_PGM_RSRC2:TRAP_HANDLER: 0
; COMPUTE_PGM_RSRC2:TGID_X_EN: 1
; COMPUTE_PGM_RSRC2:TGID_Y_EN: 0
; COMPUTE_PGM_RSRC2:TGID_Z_EN: 0
; COMPUTE_PGM_RSRC2:TIDIG_COMP_CNT: 0
	.section	.text._ZL15flash_attn_tileILi112ELi112ELi8ELi1ELb1EEvPKcS1_S1_S1_S1_PKiPfP15HIP_vector_typeIfLj2EEffffjfiS5_IjLj3EEiiiiiiiiiiiliiliiiiil,"axG",@progbits,_ZL15flash_attn_tileILi112ELi112ELi8ELi1ELb1EEvPKcS1_S1_S1_S1_PKiPfP15HIP_vector_typeIfLj2EEffffjfiS5_IjLj3EEiiiiiiiiiiiliiliiiiil,comdat
	.globl	_ZL15flash_attn_tileILi112ELi112ELi8ELi1ELb1EEvPKcS1_S1_S1_S1_PKiPfP15HIP_vector_typeIfLj2EEffffjfiS5_IjLj3EEiiiiiiiiiiiliiliiiiil ; -- Begin function _ZL15flash_attn_tileILi112ELi112ELi8ELi1ELb1EEvPKcS1_S1_S1_S1_PKiPfP15HIP_vector_typeIfLj2EEffffjfiS5_IjLj3EEiiiiiiiiiiiliiliiiiil
	.p2align	8
	.type	_ZL15flash_attn_tileILi112ELi112ELi8ELi1ELb1EEvPKcS1_S1_S1_S1_PKiPfP15HIP_vector_typeIfLj2EEffffjfiS5_IjLj3EEiiiiiiiiiiiliiliiiiil,@function
_ZL15flash_attn_tileILi112ELi112ELi8ELi1ELb1EEvPKcS1_S1_S1_S1_PKiPfP15HIP_vector_typeIfLj2EEffffjfiS5_IjLj3EEiiiiiiiiiiiliiliiiiil: ; @_ZL15flash_attn_tileILi112ELi112ELi8ELi1ELb1EEvPKcS1_S1_S1_S1_PKiPfP15HIP_vector_typeIfLj2EEffffjfiS5_IjLj3EEiiiiiiiiiiiliiliiiiil
; %bb.0:
	s_add_u32 s0, s0, s7
	s_addc_u32 s1, s1, 0
	s_add_u32 s8, s4, 0xd0
	s_addc_u32 s9, s5, 0
	s_getpc_b64 s[4:5]
	s_add_u32 s4, s4, _ZL14no_device_codePKciS0_iS0_@rel32@lo+4
	s_addc_u32 s5, s5, _ZL14no_device_codePKciS0_iS0_@rel32@hi+12
	s_mov_b32 s32, 0
	s_swappc_b64 s[30:31], s[4:5]
	.section	.rodata,"a",@progbits
	.p2align	6, 0x0
	.amdhsa_kernel _ZL15flash_attn_tileILi112ELi112ELi8ELi1ELb1EEvPKcS1_S1_S1_S1_PKiPfP15HIP_vector_typeIfLj2EEffffjfiS5_IjLj3EEiiiiiiiiiiiliiliiiiil
		.amdhsa_group_segment_fixed_size 0
		.amdhsa_private_segment_fixed_size 16
		.amdhsa_kernarg_size 464
		.amdhsa_user_sgpr_count 6
		.amdhsa_user_sgpr_private_segment_buffer 1
		.amdhsa_user_sgpr_dispatch_ptr 0
		.amdhsa_user_sgpr_queue_ptr 0
		.amdhsa_user_sgpr_kernarg_segment_ptr 1
		.amdhsa_user_sgpr_dispatch_id 0
		.amdhsa_user_sgpr_flat_scratch_init 0
		.amdhsa_user_sgpr_private_segment_size 0
		.amdhsa_wavefront_size32 1
		.amdhsa_uses_dynamic_stack 0
		.amdhsa_system_sgpr_private_segment_wavefront_offset 1
		.amdhsa_system_sgpr_workgroup_id_x 1
		.amdhsa_system_sgpr_workgroup_id_y 0
		.amdhsa_system_sgpr_workgroup_id_z 0
		.amdhsa_system_sgpr_workgroup_info 0
		.amdhsa_system_vgpr_workitem_id 0
		.amdhsa_next_free_vgpr 40
		.amdhsa_next_free_sgpr 34
		.amdhsa_reserve_vcc 1
		.amdhsa_reserve_flat_scratch 0
		.amdhsa_float_round_mode_32 0
		.amdhsa_float_round_mode_16_64 0
		.amdhsa_float_denorm_mode_32 3
		.amdhsa_float_denorm_mode_16_64 3
		.amdhsa_dx10_clamp 1
		.amdhsa_ieee_mode 1
		.amdhsa_fp16_overflow 0
		.amdhsa_workgroup_processor_mode 1
		.amdhsa_memory_ordered 1
		.amdhsa_forward_progress 1
		.amdhsa_shared_vgpr_count 0
		.amdhsa_exception_fp_ieee_invalid_op 0
		.amdhsa_exception_fp_denorm_src 0
		.amdhsa_exception_fp_ieee_div_zero 0
		.amdhsa_exception_fp_ieee_overflow 0
		.amdhsa_exception_fp_ieee_underflow 0
		.amdhsa_exception_fp_ieee_inexact 0
		.amdhsa_exception_int_div_zero 0
	.end_amdhsa_kernel
	.section	.text._ZL15flash_attn_tileILi112ELi112ELi8ELi1ELb1EEvPKcS1_S1_S1_S1_PKiPfP15HIP_vector_typeIfLj2EEffffjfiS5_IjLj3EEiiiiiiiiiiiliiliiiiil,"axG",@progbits,_ZL15flash_attn_tileILi112ELi112ELi8ELi1ELb1EEvPKcS1_S1_S1_S1_PKiPfP15HIP_vector_typeIfLj2EEffffjfiS5_IjLj3EEiiiiiiiiiiiliiliiiiil,comdat
.Lfunc_end92:
	.size	_ZL15flash_attn_tileILi112ELi112ELi8ELi1ELb1EEvPKcS1_S1_S1_S1_PKiPfP15HIP_vector_typeIfLj2EEffffjfiS5_IjLj3EEiiiiiiiiiiiliiliiiiil, .Lfunc_end92-_ZL15flash_attn_tileILi112ELi112ELi8ELi1ELb1EEvPKcS1_S1_S1_S1_PKiPfP15HIP_vector_typeIfLj2EEffffjfiS5_IjLj3EEiiiiiiiiiiiliiliiiiil
                                        ; -- End function
	.set _ZL15flash_attn_tileILi112ELi112ELi8ELi1ELb1EEvPKcS1_S1_S1_S1_PKiPfP15HIP_vector_typeIfLj2EEffffjfiS5_IjLj3EEiiiiiiiiiiiliiliiiiil.num_vgpr, max(0, .L_ZL14no_device_codePKciS0_iS0_.num_vgpr)
	.set _ZL15flash_attn_tileILi112ELi112ELi8ELi1ELb1EEvPKcS1_S1_S1_S1_PKiPfP15HIP_vector_typeIfLj2EEffffjfiS5_IjLj3EEiiiiiiiiiiiliiliiiiil.num_agpr, max(0, .L_ZL14no_device_codePKciS0_iS0_.num_agpr)
	.set _ZL15flash_attn_tileILi112ELi112ELi8ELi1ELb1EEvPKcS1_S1_S1_S1_PKiPfP15HIP_vector_typeIfLj2EEffffjfiS5_IjLj3EEiiiiiiiiiiiliiliiiiil.numbered_sgpr, max(33, .L_ZL14no_device_codePKciS0_iS0_.numbered_sgpr)
	.set _ZL15flash_attn_tileILi112ELi112ELi8ELi1ELb1EEvPKcS1_S1_S1_S1_PKiPfP15HIP_vector_typeIfLj2EEffffjfiS5_IjLj3EEiiiiiiiiiiiliiliiiiil.num_named_barrier, max(0, .L_ZL14no_device_codePKciS0_iS0_.num_named_barrier)
	.set _ZL15flash_attn_tileILi112ELi112ELi8ELi1ELb1EEvPKcS1_S1_S1_S1_PKiPfP15HIP_vector_typeIfLj2EEffffjfiS5_IjLj3EEiiiiiiiiiiiliiliiiiil.private_seg_size, 0+max(.L_ZL14no_device_codePKciS0_iS0_.private_seg_size)
	.set _ZL15flash_attn_tileILi112ELi112ELi8ELi1ELb1EEvPKcS1_S1_S1_S1_PKiPfP15HIP_vector_typeIfLj2EEffffjfiS5_IjLj3EEiiiiiiiiiiiliiliiiiil.uses_vcc, or(1, .L_ZL14no_device_codePKciS0_iS0_.uses_vcc)
	.set _ZL15flash_attn_tileILi112ELi112ELi8ELi1ELb1EEvPKcS1_S1_S1_S1_PKiPfP15HIP_vector_typeIfLj2EEffffjfiS5_IjLj3EEiiiiiiiiiiiliiliiiiil.uses_flat_scratch, or(0, .L_ZL14no_device_codePKciS0_iS0_.uses_flat_scratch)
	.set _ZL15flash_attn_tileILi112ELi112ELi8ELi1ELb1EEvPKcS1_S1_S1_S1_PKiPfP15HIP_vector_typeIfLj2EEffffjfiS5_IjLj3EEiiiiiiiiiiiliiliiiiil.has_dyn_sized_stack, or(0, .L_ZL14no_device_codePKciS0_iS0_.has_dyn_sized_stack)
	.set _ZL15flash_attn_tileILi112ELi112ELi8ELi1ELb1EEvPKcS1_S1_S1_S1_PKiPfP15HIP_vector_typeIfLj2EEffffjfiS5_IjLj3EEiiiiiiiiiiiliiliiiiil.has_recursion, or(0, .L_ZL14no_device_codePKciS0_iS0_.has_recursion)
	.set _ZL15flash_attn_tileILi112ELi112ELi8ELi1ELb1EEvPKcS1_S1_S1_S1_PKiPfP15HIP_vector_typeIfLj2EEffffjfiS5_IjLj3EEiiiiiiiiiiiliiliiiiil.has_indirect_call, or(0, .L_ZL14no_device_codePKciS0_iS0_.has_indirect_call)
	.section	.AMDGPU.csdata,"",@progbits
; Kernel info:
; codeLenInByte = 48
; TotalNumSgprs: 36
; NumVgprs: 40
; ScratchSize: 16
; MemoryBound: 0
; FloatMode: 240
; IeeeMode: 1
; LDSByteSize: 0 bytes/workgroup (compile time only)
; SGPRBlocks: 0
; VGPRBlocks: 4
; NumSGPRsForWavesPerEU: 36
; NumVGPRsForWavesPerEU: 40
; Occupancy: 16
; WaveLimiterHint : 1
; COMPUTE_PGM_RSRC2:SCRATCH_EN: 1
; COMPUTE_PGM_RSRC2:USER_SGPR: 6
; COMPUTE_PGM_RSRC2:TRAP_HANDLER: 0
; COMPUTE_PGM_RSRC2:TGID_X_EN: 1
; COMPUTE_PGM_RSRC2:TGID_Y_EN: 0
; COMPUTE_PGM_RSRC2:TGID_Z_EN: 0
; COMPUTE_PGM_RSRC2:TIDIG_COMP_CNT: 0
	.section	.text._ZL15flash_attn_tileILi112ELi112ELi4ELi1ELb1EEvPKcS1_S1_S1_S1_PKiPfP15HIP_vector_typeIfLj2EEffffjfiS5_IjLj3EEiiiiiiiiiiiliiliiiiil,"axG",@progbits,_ZL15flash_attn_tileILi112ELi112ELi4ELi1ELb1EEvPKcS1_S1_S1_S1_PKiPfP15HIP_vector_typeIfLj2EEffffjfiS5_IjLj3EEiiiiiiiiiiiliiliiiiil,comdat
	.globl	_ZL15flash_attn_tileILi112ELi112ELi4ELi1ELb1EEvPKcS1_S1_S1_S1_PKiPfP15HIP_vector_typeIfLj2EEffffjfiS5_IjLj3EEiiiiiiiiiiiliiliiiiil ; -- Begin function _ZL15flash_attn_tileILi112ELi112ELi4ELi1ELb1EEvPKcS1_S1_S1_S1_PKiPfP15HIP_vector_typeIfLj2EEffffjfiS5_IjLj3EEiiiiiiiiiiiliiliiiiil
	.p2align	8
	.type	_ZL15flash_attn_tileILi112ELi112ELi4ELi1ELb1EEvPKcS1_S1_S1_S1_PKiPfP15HIP_vector_typeIfLj2EEffffjfiS5_IjLj3EEiiiiiiiiiiiliiliiiiil,@function
_ZL15flash_attn_tileILi112ELi112ELi4ELi1ELb1EEvPKcS1_S1_S1_S1_PKiPfP15HIP_vector_typeIfLj2EEffffjfiS5_IjLj3EEiiiiiiiiiiiliiliiiiil: ; @_ZL15flash_attn_tileILi112ELi112ELi4ELi1ELb1EEvPKcS1_S1_S1_S1_PKiPfP15HIP_vector_typeIfLj2EEffffjfiS5_IjLj3EEiiiiiiiiiiiliiliiiiil
; %bb.0:
	s_add_u32 s0, s0, s7
	s_addc_u32 s1, s1, 0
	s_add_u32 s8, s4, 0xd0
	s_addc_u32 s9, s5, 0
	s_getpc_b64 s[4:5]
	s_add_u32 s4, s4, _ZL14no_device_codePKciS0_iS0_@rel32@lo+4
	s_addc_u32 s5, s5, _ZL14no_device_codePKciS0_iS0_@rel32@hi+12
	s_mov_b32 s32, 0
	s_swappc_b64 s[30:31], s[4:5]
	.section	.rodata,"a",@progbits
	.p2align	6, 0x0
	.amdhsa_kernel _ZL15flash_attn_tileILi112ELi112ELi4ELi1ELb1EEvPKcS1_S1_S1_S1_PKiPfP15HIP_vector_typeIfLj2EEffffjfiS5_IjLj3EEiiiiiiiiiiiliiliiiiil
		.amdhsa_group_segment_fixed_size 0
		.amdhsa_private_segment_fixed_size 16
		.amdhsa_kernarg_size 464
		.amdhsa_user_sgpr_count 6
		.amdhsa_user_sgpr_private_segment_buffer 1
		.amdhsa_user_sgpr_dispatch_ptr 0
		.amdhsa_user_sgpr_queue_ptr 0
		.amdhsa_user_sgpr_kernarg_segment_ptr 1
		.amdhsa_user_sgpr_dispatch_id 0
		.amdhsa_user_sgpr_flat_scratch_init 0
		.amdhsa_user_sgpr_private_segment_size 0
		.amdhsa_wavefront_size32 1
		.amdhsa_uses_dynamic_stack 0
		.amdhsa_system_sgpr_private_segment_wavefront_offset 1
		.amdhsa_system_sgpr_workgroup_id_x 1
		.amdhsa_system_sgpr_workgroup_id_y 0
		.amdhsa_system_sgpr_workgroup_id_z 0
		.amdhsa_system_sgpr_workgroup_info 0
		.amdhsa_system_vgpr_workitem_id 0
		.amdhsa_next_free_vgpr 40
		.amdhsa_next_free_sgpr 34
		.amdhsa_reserve_vcc 1
		.amdhsa_reserve_flat_scratch 0
		.amdhsa_float_round_mode_32 0
		.amdhsa_float_round_mode_16_64 0
		.amdhsa_float_denorm_mode_32 3
		.amdhsa_float_denorm_mode_16_64 3
		.amdhsa_dx10_clamp 1
		.amdhsa_ieee_mode 1
		.amdhsa_fp16_overflow 0
		.amdhsa_workgroup_processor_mode 1
		.amdhsa_memory_ordered 1
		.amdhsa_forward_progress 1
		.amdhsa_shared_vgpr_count 0
		.amdhsa_exception_fp_ieee_invalid_op 0
		.amdhsa_exception_fp_denorm_src 0
		.amdhsa_exception_fp_ieee_div_zero 0
		.amdhsa_exception_fp_ieee_overflow 0
		.amdhsa_exception_fp_ieee_underflow 0
		.amdhsa_exception_fp_ieee_inexact 0
		.amdhsa_exception_int_div_zero 0
	.end_amdhsa_kernel
	.section	.text._ZL15flash_attn_tileILi112ELi112ELi4ELi1ELb1EEvPKcS1_S1_S1_S1_PKiPfP15HIP_vector_typeIfLj2EEffffjfiS5_IjLj3EEiiiiiiiiiiiliiliiiiil,"axG",@progbits,_ZL15flash_attn_tileILi112ELi112ELi4ELi1ELb1EEvPKcS1_S1_S1_S1_PKiPfP15HIP_vector_typeIfLj2EEffffjfiS5_IjLj3EEiiiiiiiiiiiliiliiiiil,comdat
.Lfunc_end93:
	.size	_ZL15flash_attn_tileILi112ELi112ELi4ELi1ELb1EEvPKcS1_S1_S1_S1_PKiPfP15HIP_vector_typeIfLj2EEffffjfiS5_IjLj3EEiiiiiiiiiiiliiliiiiil, .Lfunc_end93-_ZL15flash_attn_tileILi112ELi112ELi4ELi1ELb1EEvPKcS1_S1_S1_S1_PKiPfP15HIP_vector_typeIfLj2EEffffjfiS5_IjLj3EEiiiiiiiiiiiliiliiiiil
                                        ; -- End function
	.set _ZL15flash_attn_tileILi112ELi112ELi4ELi1ELb1EEvPKcS1_S1_S1_S1_PKiPfP15HIP_vector_typeIfLj2EEffffjfiS5_IjLj3EEiiiiiiiiiiiliiliiiiil.num_vgpr, max(0, .L_ZL14no_device_codePKciS0_iS0_.num_vgpr)
	.set _ZL15flash_attn_tileILi112ELi112ELi4ELi1ELb1EEvPKcS1_S1_S1_S1_PKiPfP15HIP_vector_typeIfLj2EEffffjfiS5_IjLj3EEiiiiiiiiiiiliiliiiiil.num_agpr, max(0, .L_ZL14no_device_codePKciS0_iS0_.num_agpr)
	.set _ZL15flash_attn_tileILi112ELi112ELi4ELi1ELb1EEvPKcS1_S1_S1_S1_PKiPfP15HIP_vector_typeIfLj2EEffffjfiS5_IjLj3EEiiiiiiiiiiiliiliiiiil.numbered_sgpr, max(33, .L_ZL14no_device_codePKciS0_iS0_.numbered_sgpr)
	.set _ZL15flash_attn_tileILi112ELi112ELi4ELi1ELb1EEvPKcS1_S1_S1_S1_PKiPfP15HIP_vector_typeIfLj2EEffffjfiS5_IjLj3EEiiiiiiiiiiiliiliiiiil.num_named_barrier, max(0, .L_ZL14no_device_codePKciS0_iS0_.num_named_barrier)
	.set _ZL15flash_attn_tileILi112ELi112ELi4ELi1ELb1EEvPKcS1_S1_S1_S1_PKiPfP15HIP_vector_typeIfLj2EEffffjfiS5_IjLj3EEiiiiiiiiiiiliiliiiiil.private_seg_size, 0+max(.L_ZL14no_device_codePKciS0_iS0_.private_seg_size)
	.set _ZL15flash_attn_tileILi112ELi112ELi4ELi1ELb1EEvPKcS1_S1_S1_S1_PKiPfP15HIP_vector_typeIfLj2EEffffjfiS5_IjLj3EEiiiiiiiiiiiliiliiiiil.uses_vcc, or(1, .L_ZL14no_device_codePKciS0_iS0_.uses_vcc)
	.set _ZL15flash_attn_tileILi112ELi112ELi4ELi1ELb1EEvPKcS1_S1_S1_S1_PKiPfP15HIP_vector_typeIfLj2EEffffjfiS5_IjLj3EEiiiiiiiiiiiliiliiiiil.uses_flat_scratch, or(0, .L_ZL14no_device_codePKciS0_iS0_.uses_flat_scratch)
	.set _ZL15flash_attn_tileILi112ELi112ELi4ELi1ELb1EEvPKcS1_S1_S1_S1_PKiPfP15HIP_vector_typeIfLj2EEffffjfiS5_IjLj3EEiiiiiiiiiiiliiliiiiil.has_dyn_sized_stack, or(0, .L_ZL14no_device_codePKciS0_iS0_.has_dyn_sized_stack)
	.set _ZL15flash_attn_tileILi112ELi112ELi4ELi1ELb1EEvPKcS1_S1_S1_S1_PKiPfP15HIP_vector_typeIfLj2EEffffjfiS5_IjLj3EEiiiiiiiiiiiliiliiiiil.has_recursion, or(0, .L_ZL14no_device_codePKciS0_iS0_.has_recursion)
	.set _ZL15flash_attn_tileILi112ELi112ELi4ELi1ELb1EEvPKcS1_S1_S1_S1_PKiPfP15HIP_vector_typeIfLj2EEffffjfiS5_IjLj3EEiiiiiiiiiiiliiliiiiil.has_indirect_call, or(0, .L_ZL14no_device_codePKciS0_iS0_.has_indirect_call)
	.section	.AMDGPU.csdata,"",@progbits
; Kernel info:
; codeLenInByte = 48
; TotalNumSgprs: 36
; NumVgprs: 40
; ScratchSize: 16
; MemoryBound: 0
; FloatMode: 240
; IeeeMode: 1
; LDSByteSize: 0 bytes/workgroup (compile time only)
; SGPRBlocks: 0
; VGPRBlocks: 4
; NumSGPRsForWavesPerEU: 36
; NumVGPRsForWavesPerEU: 40
; Occupancy: 16
; WaveLimiterHint : 1
; COMPUTE_PGM_RSRC2:SCRATCH_EN: 1
; COMPUTE_PGM_RSRC2:USER_SGPR: 6
; COMPUTE_PGM_RSRC2:TRAP_HANDLER: 0
; COMPUTE_PGM_RSRC2:TGID_X_EN: 1
; COMPUTE_PGM_RSRC2:TGID_Y_EN: 0
; COMPUTE_PGM_RSRC2:TGID_Z_EN: 0
; COMPUTE_PGM_RSRC2:TIDIG_COMP_CNT: 0
	.section	.text._ZL15flash_attn_tileILi112ELi112ELi2ELi1ELb1EEvPKcS1_S1_S1_S1_PKiPfP15HIP_vector_typeIfLj2EEffffjfiS5_IjLj3EEiiiiiiiiiiiliiliiiiil,"axG",@progbits,_ZL15flash_attn_tileILi112ELi112ELi2ELi1ELb1EEvPKcS1_S1_S1_S1_PKiPfP15HIP_vector_typeIfLj2EEffffjfiS5_IjLj3EEiiiiiiiiiiiliiliiiiil,comdat
	.globl	_ZL15flash_attn_tileILi112ELi112ELi2ELi1ELb1EEvPKcS1_S1_S1_S1_PKiPfP15HIP_vector_typeIfLj2EEffffjfiS5_IjLj3EEiiiiiiiiiiiliiliiiiil ; -- Begin function _ZL15flash_attn_tileILi112ELi112ELi2ELi1ELb1EEvPKcS1_S1_S1_S1_PKiPfP15HIP_vector_typeIfLj2EEffffjfiS5_IjLj3EEiiiiiiiiiiiliiliiiiil
	.p2align	8
	.type	_ZL15flash_attn_tileILi112ELi112ELi2ELi1ELb1EEvPKcS1_S1_S1_S1_PKiPfP15HIP_vector_typeIfLj2EEffffjfiS5_IjLj3EEiiiiiiiiiiiliiliiiiil,@function
_ZL15flash_attn_tileILi112ELi112ELi2ELi1ELb1EEvPKcS1_S1_S1_S1_PKiPfP15HIP_vector_typeIfLj2EEffffjfiS5_IjLj3EEiiiiiiiiiiiliiliiiiil: ; @_ZL15flash_attn_tileILi112ELi112ELi2ELi1ELb1EEvPKcS1_S1_S1_S1_PKiPfP15HIP_vector_typeIfLj2EEffffjfiS5_IjLj3EEiiiiiiiiiiiliiliiiiil
; %bb.0:
	s_add_u32 s0, s0, s7
	s_addc_u32 s1, s1, 0
	s_add_u32 s8, s4, 0xd0
	s_addc_u32 s9, s5, 0
	s_getpc_b64 s[4:5]
	s_add_u32 s4, s4, _ZL14no_device_codePKciS0_iS0_@rel32@lo+4
	s_addc_u32 s5, s5, _ZL14no_device_codePKciS0_iS0_@rel32@hi+12
	s_mov_b32 s32, 0
	s_swappc_b64 s[30:31], s[4:5]
	.section	.rodata,"a",@progbits
	.p2align	6, 0x0
	.amdhsa_kernel _ZL15flash_attn_tileILi112ELi112ELi2ELi1ELb1EEvPKcS1_S1_S1_S1_PKiPfP15HIP_vector_typeIfLj2EEffffjfiS5_IjLj3EEiiiiiiiiiiiliiliiiiil
		.amdhsa_group_segment_fixed_size 0
		.amdhsa_private_segment_fixed_size 16
		.amdhsa_kernarg_size 464
		.amdhsa_user_sgpr_count 6
		.amdhsa_user_sgpr_private_segment_buffer 1
		.amdhsa_user_sgpr_dispatch_ptr 0
		.amdhsa_user_sgpr_queue_ptr 0
		.amdhsa_user_sgpr_kernarg_segment_ptr 1
		.amdhsa_user_sgpr_dispatch_id 0
		.amdhsa_user_sgpr_flat_scratch_init 0
		.amdhsa_user_sgpr_private_segment_size 0
		.amdhsa_wavefront_size32 1
		.amdhsa_uses_dynamic_stack 0
		.amdhsa_system_sgpr_private_segment_wavefront_offset 1
		.amdhsa_system_sgpr_workgroup_id_x 1
		.amdhsa_system_sgpr_workgroup_id_y 0
		.amdhsa_system_sgpr_workgroup_id_z 0
		.amdhsa_system_sgpr_workgroup_info 0
		.amdhsa_system_vgpr_workitem_id 0
		.amdhsa_next_free_vgpr 40
		.amdhsa_next_free_sgpr 34
		.amdhsa_reserve_vcc 1
		.amdhsa_reserve_flat_scratch 0
		.amdhsa_float_round_mode_32 0
		.amdhsa_float_round_mode_16_64 0
		.amdhsa_float_denorm_mode_32 3
		.amdhsa_float_denorm_mode_16_64 3
		.amdhsa_dx10_clamp 1
		.amdhsa_ieee_mode 1
		.amdhsa_fp16_overflow 0
		.amdhsa_workgroup_processor_mode 1
		.amdhsa_memory_ordered 1
		.amdhsa_forward_progress 1
		.amdhsa_shared_vgpr_count 0
		.amdhsa_exception_fp_ieee_invalid_op 0
		.amdhsa_exception_fp_denorm_src 0
		.amdhsa_exception_fp_ieee_div_zero 0
		.amdhsa_exception_fp_ieee_overflow 0
		.amdhsa_exception_fp_ieee_underflow 0
		.amdhsa_exception_fp_ieee_inexact 0
		.amdhsa_exception_int_div_zero 0
	.end_amdhsa_kernel
	.section	.text._ZL15flash_attn_tileILi112ELi112ELi2ELi1ELb1EEvPKcS1_S1_S1_S1_PKiPfP15HIP_vector_typeIfLj2EEffffjfiS5_IjLj3EEiiiiiiiiiiiliiliiiiil,"axG",@progbits,_ZL15flash_attn_tileILi112ELi112ELi2ELi1ELb1EEvPKcS1_S1_S1_S1_PKiPfP15HIP_vector_typeIfLj2EEffffjfiS5_IjLj3EEiiiiiiiiiiiliiliiiiil,comdat
.Lfunc_end94:
	.size	_ZL15flash_attn_tileILi112ELi112ELi2ELi1ELb1EEvPKcS1_S1_S1_S1_PKiPfP15HIP_vector_typeIfLj2EEffffjfiS5_IjLj3EEiiiiiiiiiiiliiliiiiil, .Lfunc_end94-_ZL15flash_attn_tileILi112ELi112ELi2ELi1ELb1EEvPKcS1_S1_S1_S1_PKiPfP15HIP_vector_typeIfLj2EEffffjfiS5_IjLj3EEiiiiiiiiiiiliiliiiiil
                                        ; -- End function
	.set _ZL15flash_attn_tileILi112ELi112ELi2ELi1ELb1EEvPKcS1_S1_S1_S1_PKiPfP15HIP_vector_typeIfLj2EEffffjfiS5_IjLj3EEiiiiiiiiiiiliiliiiiil.num_vgpr, max(0, .L_ZL14no_device_codePKciS0_iS0_.num_vgpr)
	.set _ZL15flash_attn_tileILi112ELi112ELi2ELi1ELb1EEvPKcS1_S1_S1_S1_PKiPfP15HIP_vector_typeIfLj2EEffffjfiS5_IjLj3EEiiiiiiiiiiiliiliiiiil.num_agpr, max(0, .L_ZL14no_device_codePKciS0_iS0_.num_agpr)
	.set _ZL15flash_attn_tileILi112ELi112ELi2ELi1ELb1EEvPKcS1_S1_S1_S1_PKiPfP15HIP_vector_typeIfLj2EEffffjfiS5_IjLj3EEiiiiiiiiiiiliiliiiiil.numbered_sgpr, max(33, .L_ZL14no_device_codePKciS0_iS0_.numbered_sgpr)
	.set _ZL15flash_attn_tileILi112ELi112ELi2ELi1ELb1EEvPKcS1_S1_S1_S1_PKiPfP15HIP_vector_typeIfLj2EEffffjfiS5_IjLj3EEiiiiiiiiiiiliiliiiiil.num_named_barrier, max(0, .L_ZL14no_device_codePKciS0_iS0_.num_named_barrier)
	.set _ZL15flash_attn_tileILi112ELi112ELi2ELi1ELb1EEvPKcS1_S1_S1_S1_PKiPfP15HIP_vector_typeIfLj2EEffffjfiS5_IjLj3EEiiiiiiiiiiiliiliiiiil.private_seg_size, 0+max(.L_ZL14no_device_codePKciS0_iS0_.private_seg_size)
	.set _ZL15flash_attn_tileILi112ELi112ELi2ELi1ELb1EEvPKcS1_S1_S1_S1_PKiPfP15HIP_vector_typeIfLj2EEffffjfiS5_IjLj3EEiiiiiiiiiiiliiliiiiil.uses_vcc, or(1, .L_ZL14no_device_codePKciS0_iS0_.uses_vcc)
	.set _ZL15flash_attn_tileILi112ELi112ELi2ELi1ELb1EEvPKcS1_S1_S1_S1_PKiPfP15HIP_vector_typeIfLj2EEffffjfiS5_IjLj3EEiiiiiiiiiiiliiliiiiil.uses_flat_scratch, or(0, .L_ZL14no_device_codePKciS0_iS0_.uses_flat_scratch)
	.set _ZL15flash_attn_tileILi112ELi112ELi2ELi1ELb1EEvPKcS1_S1_S1_S1_PKiPfP15HIP_vector_typeIfLj2EEffffjfiS5_IjLj3EEiiiiiiiiiiiliiliiiiil.has_dyn_sized_stack, or(0, .L_ZL14no_device_codePKciS0_iS0_.has_dyn_sized_stack)
	.set _ZL15flash_attn_tileILi112ELi112ELi2ELi1ELb1EEvPKcS1_S1_S1_S1_PKiPfP15HIP_vector_typeIfLj2EEffffjfiS5_IjLj3EEiiiiiiiiiiiliiliiiiil.has_recursion, or(0, .L_ZL14no_device_codePKciS0_iS0_.has_recursion)
	.set _ZL15flash_attn_tileILi112ELi112ELi2ELi1ELb1EEvPKcS1_S1_S1_S1_PKiPfP15HIP_vector_typeIfLj2EEffffjfiS5_IjLj3EEiiiiiiiiiiiliiliiiiil.has_indirect_call, or(0, .L_ZL14no_device_codePKciS0_iS0_.has_indirect_call)
	.section	.AMDGPU.csdata,"",@progbits
; Kernel info:
; codeLenInByte = 48
; TotalNumSgprs: 36
; NumVgprs: 40
; ScratchSize: 16
; MemoryBound: 0
; FloatMode: 240
; IeeeMode: 1
; LDSByteSize: 0 bytes/workgroup (compile time only)
; SGPRBlocks: 0
; VGPRBlocks: 4
; NumSGPRsForWavesPerEU: 36
; NumVGPRsForWavesPerEU: 40
; Occupancy: 16
; WaveLimiterHint : 1
; COMPUTE_PGM_RSRC2:SCRATCH_EN: 1
; COMPUTE_PGM_RSRC2:USER_SGPR: 6
; COMPUTE_PGM_RSRC2:TRAP_HANDLER: 0
; COMPUTE_PGM_RSRC2:TGID_X_EN: 1
; COMPUTE_PGM_RSRC2:TGID_Y_EN: 0
; COMPUTE_PGM_RSRC2:TGID_Z_EN: 0
; COMPUTE_PGM_RSRC2:TIDIG_COMP_CNT: 0
	.text
	.p2alignl 6, 3214868480
	.fill 48, 4, 3214868480
	.section	.AMDGPU.gpr_maximums,"",@progbits
	.set amdgpu.max_num_vgpr, 40
	.set amdgpu.max_num_agpr, 0
	.set amdgpu.max_num_sgpr, 34
	.text
	.type	.str.3,@object                  ; @.str.3
	.section	.rodata.str1.1,"aMS",@progbits,1
.str.3:
	.asciz	"/root/src/amdgpu-assembly/repos/ggml-org__llama.cpp/ggml/src/ggml-cuda/template-instances/../fattn-tile.cuh"
	.size	.str.3, 108

	.type	__FUNCTION__._ZL15flash_attn_tileILi112ELi112ELi8ELi8ELb1EEvPKcS1_S1_S1_S1_PKiPfP15HIP_vector_typeIfLj2EEffffjfiS5_IjLj3EEiiiiiiiiiiiliiliiiiil,@object ; @__FUNCTION__._ZL15flash_attn_tileILi112ELi112ELi8ELi8ELb1EEvPKcS1_S1_S1_S1_PKiPfP15HIP_vector_typeIfLj2EEffffjfiS5_IjLj3EEiiiiiiiiiiiliiliiiiil
__FUNCTION__._ZL15flash_attn_tileILi112ELi112ELi8ELi8ELb1EEvPKcS1_S1_S1_S1_PKiPfP15HIP_vector_typeIfLj2EEffffjfiS5_IjLj3EEiiiiiiiiiiiliiliiiiil:
	.asciz	"flash_attn_tile"
	.size	__FUNCTION__._ZL15flash_attn_tileILi112ELi112ELi8ELi8ELb1EEvPKcS1_S1_S1_S1_PKiPfP15HIP_vector_typeIfLj2EEffffjfiS5_IjLj3EEiiiiiiiiiiiliiliiiiil, 16

	.type	.str.5,@object                  ; @.str.5
.str.5:
	.asciz	"%s:%d: ERROR: HIP kernel %s has no device code compatible with HIP arch %d.\n"
	.size	.str.5, 77

	.type	__hip_cuid_f2aa03dd3ac3a8e3,@object ; @__hip_cuid_f2aa03dd3ac3a8e3
	.section	.bss,"aw",@nobits
	.globl	__hip_cuid_f2aa03dd3ac3a8e3
__hip_cuid_f2aa03dd3ac3a8e3:
	.byte	0                               ; 0x0
	.size	__hip_cuid_f2aa03dd3ac3a8e3, 1

	.ident	"AMD clang version 22.0.0git (https://github.com/RadeonOpenCompute/llvm-project roc-7.2.4 26084 f58b06dce1f9c15707c5f808fd002e18c2accf7e)"
	.section	".note.GNU-stack","",@progbits
	.addrsig
	.addrsig_sym __hip_cuid_f2aa03dd3ac3a8e3
	.amdgpu_metadata
---
amdhsa.kernels:
  - .args:
      - .address_space:  global
        .offset:         0
        .size:           8
        .value_kind:     global_buffer
      - .address_space:  global
        .offset:         8
        .size:           8
        .value_kind:     global_buffer
      - .address_space:  global
        .offset:         16
        .size:           8
        .value_kind:     global_buffer
      - .address_space:  global
        .offset:         24
        .size:           8
        .value_kind:     global_buffer
      - .address_space:  global
        .offset:         32
        .size:           8
        .value_kind:     global_buffer
      - .address_space:  global
        .offset:         40
        .size:           8
        .value_kind:     global_buffer
      - .address_space:  global
        .offset:         48
        .size:           8
        .value_kind:     global_buffer
      - .address_space:  global
        .offset:         56
        .size:           8
        .value_kind:     global_buffer
      - .offset:         64
        .size:           4
        .value_kind:     by_value
      - .offset:         68
        .size:           4
        .value_kind:     by_value
      - .offset:         72
        .size:           4
        .value_kind:     by_value
      - .offset:         76
        .size:           4
        .value_kind:     by_value
      - .offset:         80
        .size:           4
        .value_kind:     by_value
      - .offset:         84
        .size:           4
        .value_kind:     by_value
      - .offset:         88
        .size:           4
        .value_kind:     by_value
      - .offset:         92
        .size:           12
        .value_kind:     by_value
      - .offset:         104
        .size:           4
        .value_kind:     by_value
      - .offset:         108
        .size:           4
        .value_kind:     by_value
      - .offset:         112
        .size:           4
        .value_kind:     by_value
      - .offset:         116
        .size:           4
        .value_kind:     by_value
      - .offset:         120
        .size:           4
        .value_kind:     by_value
      - .offset:         124
        .size:           4
        .value_kind:     by_value
      - .offset:         128
        .size:           4
        .value_kind:     by_value
      - .offset:         132
        .size:           4
        .value_kind:     by_value
      - .offset:         136
        .size:           4
        .value_kind:     by_value
      - .offset:         140
        .size:           4
        .value_kind:     by_value
      - .offset:         144
        .size:           4
        .value_kind:     by_value
      - .offset:         152
        .size:           8
        .value_kind:     by_value
      - .offset:         160
        .size:           4
        .value_kind:     by_value
      - .offset:         164
        .size:           4
        .value_kind:     by_value
      - .offset:         168
        .size:           8
        .value_kind:     by_value
      - .offset:         176
        .size:           4
        .value_kind:     by_value
      - .offset:         180
        .size:           4
        .value_kind:     by_value
      - .offset:         184
        .size:           4
        .value_kind:     by_value
      - .offset:         188
        .size:           4
        .value_kind:     by_value
      - .offset:         192
        .size:           4
        .value_kind:     by_value
      - .offset:         200
        .size:           8
        .value_kind:     by_value
      - .offset:         208
        .size:           4
        .value_kind:     hidden_block_count_x
      - .offset:         212
        .size:           4
        .value_kind:     hidden_block_count_y
      - .offset:         216
        .size:           4
        .value_kind:     hidden_block_count_z
      - .offset:         220
        .size:           2
        .value_kind:     hidden_group_size_x
      - .offset:         222
        .size:           2
        .value_kind:     hidden_group_size_y
      - .offset:         224
        .size:           2
        .value_kind:     hidden_group_size_z
      - .offset:         226
        .size:           2
        .value_kind:     hidden_remainder_x
      - .offset:         228
        .size:           2
        .value_kind:     hidden_remainder_y
      - .offset:         230
        .size:           2
        .value_kind:     hidden_remainder_z
      - .offset:         248
        .size:           8
        .value_kind:     hidden_global_offset_x
      - .offset:         256
        .size:           8
        .value_kind:     hidden_global_offset_y
      - .offset:         264
        .size:           8
        .value_kind:     hidden_global_offset_z
      - .offset:         272
        .size:           2
        .value_kind:     hidden_grid_dims
    .group_segment_fixed_size: 22592
    .kernarg_segment_align: 8
    .kernarg_segment_size: 464
    .language:       OpenCL C
    .language_version:
      - 2
      - 0
    .max_flat_workgroup_size: 256
    .name:           _ZL15flash_attn_tileILi112ELi112ELi8ELi8ELb0EEvPKcS1_S1_S1_S1_PKiPfP15HIP_vector_typeIfLj2EEffffjfiS5_IjLj3EEiiiiiiiiiiiliiliiiiil
    .private_segment_fixed_size: 0
    .sgpr_count:     54
    .sgpr_spill_count: 0
    .symbol:         _ZL15flash_attn_tileILi112ELi112ELi8ELi8ELb0EEvPKcS1_S1_S1_S1_PKiPfP15HIP_vector_typeIfLj2EEffffjfiS5_IjLj3EEiiiiiiiiiiiliiliiiiil.kd
    .uniform_work_group_size: 1
    .uses_dynamic_stack: false
    .vgpr_count:     255
    .vgpr_spill_count: 0
    .wavefront_size: 32
    .workgroup_processor_mode: 1
  - .args:
      - .actual_access:  read_only
        .address_space:  global
        .offset:         0
        .size:           8
        .value_kind:     global_buffer
      - .actual_access:  write_only
        .address_space:  global
        .offset:         8
        .size:           8
        .value_kind:     global_buffer
      - .offset:         16
        .size:           4
        .value_kind:     by_value
      - .offset:         20
        .size:           4
        .value_kind:     by_value
      - .offset:         24
        .size:           4
        .value_kind:     by_value
      - .offset:         32
        .size:           4
        .value_kind:     hidden_block_count_x
      - .offset:         36
        .size:           4
        .value_kind:     hidden_block_count_y
      - .offset:         40
        .size:           4
        .value_kind:     hidden_block_count_z
      - .offset:         44
        .size:           2
        .value_kind:     hidden_group_size_x
      - .offset:         46
        .size:           2
        .value_kind:     hidden_group_size_y
      - .offset:         48
        .size:           2
        .value_kind:     hidden_group_size_z
      - .offset:         50
        .size:           2
        .value_kind:     hidden_remainder_x
      - .offset:         52
        .size:           2
        .value_kind:     hidden_remainder_y
      - .offset:         54
        .size:           2
        .value_kind:     hidden_remainder_z
      - .offset:         72
        .size:           8
        .value_kind:     hidden_global_offset_x
      - .offset:         80
        .size:           8
        .value_kind:     hidden_global_offset_y
      - .offset:         88
        .size:           8
        .value_kind:     hidden_global_offset_z
      - .offset:         96
        .size:           2
        .value_kind:     hidden_grid_dims
    .group_segment_fixed_size: 128
    .kernarg_segment_align: 8
    .kernarg_segment_size: 288
    .language:       OpenCL C
    .language_version:
      - 2
      - 0
    .max_flat_workgroup_size: 128
    .name:           _ZL25flash_attn_mask_to_KV_maxILi8EEvPK7__half2Piiii
    .private_segment_fixed_size: 0
    .sgpr_count:     29
    .sgpr_spill_count: 0
    .symbol:         _ZL25flash_attn_mask_to_KV_maxILi8EEvPK7__half2Piiii.kd
    .uniform_work_group_size: 1
    .uses_dynamic_stack: false
    .vgpr_count:     10
    .vgpr_spill_count: 0
    .wavefront_size: 32
    .workgroup_processor_mode: 1
  - .args:
      - .address_space:  global
        .offset:         0
        .size:           8
        .value_kind:     global_buffer
      - .address_space:  global
        .offset:         8
        .size:           8
        .value_kind:     global_buffer
      - .offset:         16
        .size:           4
        .value_kind:     by_value
      - .offset:         20
        .size:           4
        .value_kind:     by_value
      - .offset:         24
        .size:           4
        .value_kind:     by_value
      - .offset:         28
        .size:           4
        .value_kind:     by_value
      - .offset:         32
        .size:           4
        .value_kind:     by_value
      - .offset:         36
        .size:           4
        .value_kind:     by_value
      - .offset:         40
        .size:           12
        .value_kind:     by_value
      - .offset:         52
        .size:           12
        .value_kind:     by_value
      - .offset:         64
        .size:           12
        .value_kind:     by_value
    .group_segment_fixed_size: 0
    .kernarg_segment_align: 8
    .kernarg_segment_size: 76
    .language:       OpenCL C
    .language_version:
      - 2
      - 0
    .max_flat_workgroup_size: 112
    .name:           _ZL33flash_attn_stream_k_fixup_uniformILi112ELi8ELi8EEvPfPK15HIP_vector_typeIfLj2EEiiiiiiS1_IjLj3EES5_S5_
    .private_segment_fixed_size: 0
    .sgpr_count:     26
    .sgpr_spill_count: 0
    .symbol:         _ZL33flash_attn_stream_k_fixup_uniformILi112ELi8ELi8EEvPfPK15HIP_vector_typeIfLj2EEiiiiiiS1_IjLj3EES5_S5_.kd
    .uniform_work_group_size: 1
    .uses_dynamic_stack: false
    .vgpr_count:     15
    .vgpr_spill_count: 0
    .wavefront_size: 32
    .workgroup_processor_mode: 1
  - .args:
      - .address_space:  global
        .offset:         0
        .size:           8
        .value_kind:     global_buffer
      - .address_space:  global
        .offset:         8
        .size:           8
        .value_kind:     global_buffer
      - .offset:         16
        .size:           4
        .value_kind:     by_value
      - .offset:         20
        .size:           4
        .value_kind:     by_value
      - .offset:         24
        .size:           4
        .value_kind:     by_value
      - .offset:         28
        .size:           4
        .value_kind:     by_value
      - .offset:         32
        .size:           12
        .value_kind:     by_value
      - .offset:         44
        .size:           12
        .value_kind:     by_value
      - .offset:         56
        .size:           12
        .value_kind:     by_value
      - .offset:         68
        .size:           12
        .value_kind:     by_value
      - .offset:         80
        .size:           4
        .value_kind:     hidden_block_count_x
      - .offset:         84
        .size:           4
        .value_kind:     hidden_block_count_y
      - .offset:         88
        .size:           4
        .value_kind:     hidden_block_count_z
      - .offset:         92
        .size:           2
        .value_kind:     hidden_group_size_x
      - .offset:         94
        .size:           2
        .value_kind:     hidden_group_size_y
      - .offset:         96
        .size:           2
        .value_kind:     hidden_group_size_z
      - .offset:         98
        .size:           2
        .value_kind:     hidden_remainder_x
      - .offset:         100
        .size:           2
        .value_kind:     hidden_remainder_y
      - .offset:         102
        .size:           2
        .value_kind:     hidden_remainder_z
      - .offset:         120
        .size:           8
        .value_kind:     hidden_global_offset_x
      - .offset:         128
        .size:           8
        .value_kind:     hidden_global_offset_y
      - .offset:         136
        .size:           8
        .value_kind:     hidden_global_offset_z
      - .offset:         144
        .size:           2
        .value_kind:     hidden_grid_dims
    .group_segment_fixed_size: 0
    .kernarg_segment_align: 8
    .kernarg_segment_size: 336
    .language:       OpenCL C
    .language_version:
      - 2
      - 0
    .max_flat_workgroup_size: 112
    .name:           _ZL33flash_attn_stream_k_fixup_generalILi112ELi8ELi8EEvPfPK15HIP_vector_typeIfLj2EEiiiiS1_IjLj3EES5_S5_S5_
    .private_segment_fixed_size: 0
    .sgpr_count:     33
    .sgpr_spill_count: 0
    .symbol:         _ZL33flash_attn_stream_k_fixup_generalILi112ELi8ELi8EEvPfPK15HIP_vector_typeIfLj2EEiiiiS1_IjLj3EES5_S5_S5_.kd
    .uniform_work_group_size: 1
    .uses_dynamic_stack: false
    .vgpr_count:     17
    .vgpr_spill_count: 0
    .wavefront_size: 32
    .workgroup_processor_mode: 1
  - .args:
      - .address_space:  global
        .offset:         0
        .size:           8
        .value_kind:     global_buffer
      - .address_space:  global
        .offset:         8
        .size:           8
        .value_kind:     global_buffer
      - .address_space:  global
        .offset:         16
        .size:           8
        .value_kind:     global_buffer
      - .offset:         24
        .size:           4
        .value_kind:     by_value
      - .offset:         32
        .size:           4
        .value_kind:     hidden_block_count_x
      - .offset:         36
        .size:           4
        .value_kind:     hidden_block_count_y
      - .offset:         40
        .size:           4
        .value_kind:     hidden_block_count_z
      - .offset:         44
        .size:           2
        .value_kind:     hidden_group_size_x
      - .offset:         46
        .size:           2
        .value_kind:     hidden_group_size_y
      - .offset:         48
        .size:           2
        .value_kind:     hidden_group_size_z
      - .offset:         50
        .size:           2
        .value_kind:     hidden_remainder_x
      - .offset:         52
        .size:           2
        .value_kind:     hidden_remainder_y
      - .offset:         54
        .size:           2
        .value_kind:     hidden_remainder_z
      - .offset:         72
        .size:           8
        .value_kind:     hidden_global_offset_x
      - .offset:         80
        .size:           8
        .value_kind:     hidden_global_offset_y
      - .offset:         88
        .size:           8
        .value_kind:     hidden_global_offset_z
      - .offset:         96
        .size:           2
        .value_kind:     hidden_grid_dims
      - .offset:         152
        .size:           4
        .value_kind:     hidden_dynamic_lds_size
    .group_segment_fixed_size: 0
    .kernarg_segment_align: 8
    .kernarg_segment_size: 288
    .language:       OpenCL C
    .language_version:
      - 2
      - 0
    .max_flat_workgroup_size: 112
    .name:           _ZL26flash_attn_combine_resultsILi112EEvPKfPK15HIP_vector_typeIfLj2EEPfi
    .private_segment_fixed_size: 0
    .sgpr_count:     21
    .sgpr_spill_count: 0
    .symbol:         _ZL26flash_attn_combine_resultsILi112EEvPKfPK15HIP_vector_typeIfLj2EEPfi.kd
    .uniform_work_group_size: 1
    .uses_dynamic_stack: false
    .vgpr_count:     52
    .vgpr_spill_count: 0
    .wavefront_size: 32
    .workgroup_processor_mode: 1
  - .args:
      - .address_space:  global
        .offset:         0
        .size:           8
        .value_kind:     global_buffer
      - .address_space:  global
        .offset:         8
        .size:           8
        .value_kind:     global_buffer
      - .address_space:  global
        .offset:         16
        .size:           8
        .value_kind:     global_buffer
      - .address_space:  global
        .offset:         24
        .size:           8
        .value_kind:     global_buffer
      - .address_space:  global
        .offset:         32
        .size:           8
        .value_kind:     global_buffer
      - .address_space:  global
        .offset:         40
        .size:           8
        .value_kind:     global_buffer
      - .address_space:  global
        .offset:         48
        .size:           8
        .value_kind:     global_buffer
      - .address_space:  global
        .offset:         56
        .size:           8
        .value_kind:     global_buffer
      - .offset:         64
        .size:           4
        .value_kind:     by_value
      - .offset:         68
        .size:           4
        .value_kind:     by_value
      - .offset:         72
        .size:           4
        .value_kind:     by_value
      - .offset:         76
        .size:           4
        .value_kind:     by_value
      - .offset:         80
        .size:           4
        .value_kind:     by_value
      - .offset:         84
        .size:           4
        .value_kind:     by_value
      - .offset:         88
        .size:           4
        .value_kind:     by_value
      - .offset:         92
        .size:           12
        .value_kind:     by_value
      - .offset:         104
        .size:           4
        .value_kind:     by_value
      - .offset:         108
        .size:           4
        .value_kind:     by_value
      - .offset:         112
        .size:           4
        .value_kind:     by_value
      - .offset:         116
        .size:           4
        .value_kind:     by_value
      - .offset:         120
        .size:           4
        .value_kind:     by_value
      - .offset:         124
        .size:           4
        .value_kind:     by_value
      - .offset:         128
        .size:           4
        .value_kind:     by_value
      - .offset:         132
        .size:           4
        .value_kind:     by_value
      - .offset:         136
        .size:           4
        .value_kind:     by_value
      - .offset:         140
        .size:           4
        .value_kind:     by_value
      - .offset:         144
        .size:           4
        .value_kind:     by_value
      - .offset:         152
        .size:           8
        .value_kind:     by_value
      - .offset:         160
        .size:           4
        .value_kind:     by_value
      - .offset:         164
        .size:           4
        .value_kind:     by_value
      - .offset:         168
        .size:           8
        .value_kind:     by_value
      - .offset:         176
        .size:           4
        .value_kind:     by_value
      - .offset:         180
        .size:           4
        .value_kind:     by_value
      - .offset:         184
        .size:           4
        .value_kind:     by_value
      - .offset:         188
        .size:           4
        .value_kind:     by_value
      - .offset:         192
        .size:           4
        .value_kind:     by_value
      - .offset:         200
        .size:           8
        .value_kind:     by_value
      - .offset:         208
        .size:           4
        .value_kind:     hidden_block_count_x
      - .offset:         212
        .size:           4
        .value_kind:     hidden_block_count_y
      - .offset:         216
        .size:           4
        .value_kind:     hidden_block_count_z
      - .offset:         220
        .size:           2
        .value_kind:     hidden_group_size_x
      - .offset:         222
        .size:           2
        .value_kind:     hidden_group_size_y
      - .offset:         224
        .size:           2
        .value_kind:     hidden_group_size_z
      - .offset:         226
        .size:           2
        .value_kind:     hidden_remainder_x
      - .offset:         228
        .size:           2
        .value_kind:     hidden_remainder_y
      - .offset:         230
        .size:           2
        .value_kind:     hidden_remainder_z
      - .offset:         248
        .size:           8
        .value_kind:     hidden_global_offset_x
      - .offset:         256
        .size:           8
        .value_kind:     hidden_global_offset_y
      - .offset:         264
        .size:           8
        .value_kind:     hidden_global_offset_z
      - .offset:         272
        .size:           2
        .value_kind:     hidden_grid_dims
    .group_segment_fixed_size: 13376
    .kernarg_segment_align: 8
    .kernarg_segment_size: 464
    .language:       OpenCL C
    .language_version:
      - 2
      - 0
    .max_flat_workgroup_size: 256
    .name:           _ZL15flash_attn_tileILi112ELi112ELi4ELi8ELb0EEvPKcS1_S1_S1_S1_PKiPfP15HIP_vector_typeIfLj2EEffffjfiS5_IjLj3EEiiiiiiiiiiiliiliiiiil
    .private_segment_fixed_size: 0
    .sgpr_count:     46
    .sgpr_spill_count: 0
    .symbol:         _ZL15flash_attn_tileILi112ELi112ELi4ELi8ELb0EEvPKcS1_S1_S1_S1_PKiPfP15HIP_vector_typeIfLj2EEffffjfiS5_IjLj3EEiiiiiiiiiiiliiliiiiil.kd
    .uniform_work_group_size: 1
    .uses_dynamic_stack: false
    .vgpr_count:     161
    .vgpr_spill_count: 0
    .wavefront_size: 32
    .workgroup_processor_mode: 1
  - .args:
      - .actual_access:  read_only
        .address_space:  global
        .offset:         0
        .size:           8
        .value_kind:     global_buffer
      - .actual_access:  write_only
        .address_space:  global
        .offset:         8
        .size:           8
        .value_kind:     global_buffer
      - .offset:         16
        .size:           4
        .value_kind:     by_value
      - .offset:         20
        .size:           4
        .value_kind:     by_value
      - .offset:         24
        .size:           4
        .value_kind:     by_value
      - .offset:         32
        .size:           4
        .value_kind:     hidden_block_count_x
      - .offset:         36
        .size:           4
        .value_kind:     hidden_block_count_y
      - .offset:         40
        .size:           4
        .value_kind:     hidden_block_count_z
      - .offset:         44
        .size:           2
        .value_kind:     hidden_group_size_x
      - .offset:         46
        .size:           2
        .value_kind:     hidden_group_size_y
      - .offset:         48
        .size:           2
        .value_kind:     hidden_group_size_z
      - .offset:         50
        .size:           2
        .value_kind:     hidden_remainder_x
      - .offset:         52
        .size:           2
        .value_kind:     hidden_remainder_y
      - .offset:         54
        .size:           2
        .value_kind:     hidden_remainder_z
      - .offset:         72
        .size:           8
        .value_kind:     hidden_global_offset_x
      - .offset:         80
        .size:           8
        .value_kind:     hidden_global_offset_y
      - .offset:         88
        .size:           8
        .value_kind:     hidden_global_offset_z
      - .offset:         96
        .size:           2
        .value_kind:     hidden_grid_dims
    .group_segment_fixed_size: 128
    .kernarg_segment_align: 8
    .kernarg_segment_size: 288
    .language:       OpenCL C
    .language_version:
      - 2
      - 0
    .max_flat_workgroup_size: 128
    .name:           _ZL25flash_attn_mask_to_KV_maxILi4EEvPK7__half2Piiii
    .private_segment_fixed_size: 0
    .sgpr_count:     21
    .sgpr_spill_count: 0
    .symbol:         _ZL25flash_attn_mask_to_KV_maxILi4EEvPK7__half2Piiii.kd
    .uniform_work_group_size: 1
    .uses_dynamic_stack: false
    .vgpr_count:     10
    .vgpr_spill_count: 0
    .wavefront_size: 32
    .workgroup_processor_mode: 1
  - .args:
      - .address_space:  global
        .offset:         0
        .size:           8
        .value_kind:     global_buffer
      - .address_space:  global
        .offset:         8
        .size:           8
        .value_kind:     global_buffer
      - .offset:         16
        .size:           4
        .value_kind:     by_value
      - .offset:         20
        .size:           4
        .value_kind:     by_value
      - .offset:         24
        .size:           4
        .value_kind:     by_value
      - .offset:         28
        .size:           4
        .value_kind:     by_value
      - .offset:         32
        .size:           4
        .value_kind:     by_value
      - .offset:         36
        .size:           4
        .value_kind:     by_value
      - .offset:         40
        .size:           12
        .value_kind:     by_value
      - .offset:         52
        .size:           12
        .value_kind:     by_value
      - .offset:         64
        .size:           12
        .value_kind:     by_value
    .group_segment_fixed_size: 0
    .kernarg_segment_align: 8
    .kernarg_segment_size: 76
    .language:       OpenCL C
    .language_version:
      - 2
      - 0
    .max_flat_workgroup_size: 112
    .name:           _ZL33flash_attn_stream_k_fixup_uniformILi112ELi4ELi8EEvPfPK15HIP_vector_typeIfLj2EEiiiiiiS1_IjLj3EES5_S5_
    .private_segment_fixed_size: 0
    .sgpr_count:     26
    .sgpr_spill_count: 0
    .symbol:         _ZL33flash_attn_stream_k_fixup_uniformILi112ELi4ELi8EEvPfPK15HIP_vector_typeIfLj2EEiiiiiiS1_IjLj3EES5_S5_.kd
    .uniform_work_group_size: 1
    .uses_dynamic_stack: false
    .vgpr_count:     15
    .vgpr_spill_count: 0
    .wavefront_size: 32
    .workgroup_processor_mode: 1
  - .args:
      - .address_space:  global
        .offset:         0
        .size:           8
        .value_kind:     global_buffer
      - .address_space:  global
        .offset:         8
        .size:           8
        .value_kind:     global_buffer
      - .offset:         16
        .size:           4
        .value_kind:     by_value
      - .offset:         20
        .size:           4
        .value_kind:     by_value
      - .offset:         24
        .size:           4
        .value_kind:     by_value
      - .offset:         28
        .size:           4
        .value_kind:     by_value
      - .offset:         32
        .size:           12
        .value_kind:     by_value
      - .offset:         44
        .size:           12
        .value_kind:     by_value
      - .offset:         56
        .size:           12
        .value_kind:     by_value
      - .offset:         68
        .size:           12
        .value_kind:     by_value
      - .offset:         80
        .size:           4
        .value_kind:     hidden_block_count_x
      - .offset:         84
        .size:           4
        .value_kind:     hidden_block_count_y
      - .offset:         88
        .size:           4
        .value_kind:     hidden_block_count_z
      - .offset:         92
        .size:           2
        .value_kind:     hidden_group_size_x
      - .offset:         94
        .size:           2
        .value_kind:     hidden_group_size_y
      - .offset:         96
        .size:           2
        .value_kind:     hidden_group_size_z
      - .offset:         98
        .size:           2
        .value_kind:     hidden_remainder_x
      - .offset:         100
        .size:           2
        .value_kind:     hidden_remainder_y
      - .offset:         102
        .size:           2
        .value_kind:     hidden_remainder_z
      - .offset:         120
        .size:           8
        .value_kind:     hidden_global_offset_x
      - .offset:         128
        .size:           8
        .value_kind:     hidden_global_offset_y
      - .offset:         136
        .size:           8
        .value_kind:     hidden_global_offset_z
      - .offset:         144
        .size:           2
        .value_kind:     hidden_grid_dims
    .group_segment_fixed_size: 0
    .kernarg_segment_align: 8
    .kernarg_segment_size: 336
    .language:       OpenCL C
    .language_version:
      - 2
      - 0
    .max_flat_workgroup_size: 112
    .name:           _ZL33flash_attn_stream_k_fixup_generalILi112ELi4ELi8EEvPfPK15HIP_vector_typeIfLj2EEiiiiS1_IjLj3EES5_S5_S5_
    .private_segment_fixed_size: 0
    .sgpr_count:     33
    .sgpr_spill_count: 0
    .symbol:         _ZL33flash_attn_stream_k_fixup_generalILi112ELi4ELi8EEvPfPK15HIP_vector_typeIfLj2EEiiiiS1_IjLj3EES5_S5_S5_.kd
    .uniform_work_group_size: 1
    .uses_dynamic_stack: false
    .vgpr_count:     17
    .vgpr_spill_count: 0
    .wavefront_size: 32
    .workgroup_processor_mode: 1
  - .args:
      - .address_space:  global
        .offset:         0
        .size:           8
        .value_kind:     global_buffer
      - .address_space:  global
        .offset:         8
        .size:           8
        .value_kind:     global_buffer
      - .address_space:  global
        .offset:         16
        .size:           8
        .value_kind:     global_buffer
      - .address_space:  global
        .offset:         24
        .size:           8
        .value_kind:     global_buffer
      - .address_space:  global
        .offset:         32
        .size:           8
        .value_kind:     global_buffer
      - .address_space:  global
        .offset:         40
        .size:           8
        .value_kind:     global_buffer
      - .address_space:  global
        .offset:         48
        .size:           8
        .value_kind:     global_buffer
      - .address_space:  global
        .offset:         56
        .size:           8
        .value_kind:     global_buffer
      - .offset:         64
        .size:           4
        .value_kind:     by_value
      - .offset:         68
        .size:           4
        .value_kind:     by_value
      - .offset:         72
        .size:           4
        .value_kind:     by_value
      - .offset:         76
        .size:           4
        .value_kind:     by_value
      - .offset:         80
        .size:           4
        .value_kind:     by_value
      - .offset:         84
        .size:           4
        .value_kind:     by_value
      - .offset:         88
        .size:           4
        .value_kind:     by_value
      - .offset:         92
        .size:           12
        .value_kind:     by_value
      - .offset:         104
        .size:           4
        .value_kind:     by_value
      - .offset:         108
        .size:           4
        .value_kind:     by_value
      - .offset:         112
        .size:           4
        .value_kind:     by_value
      - .offset:         116
        .size:           4
        .value_kind:     by_value
      - .offset:         120
        .size:           4
        .value_kind:     by_value
      - .offset:         124
        .size:           4
        .value_kind:     by_value
      - .offset:         128
        .size:           4
        .value_kind:     by_value
      - .offset:         132
        .size:           4
        .value_kind:     by_value
      - .offset:         136
        .size:           4
        .value_kind:     by_value
      - .offset:         140
        .size:           4
        .value_kind:     by_value
      - .offset:         144
        .size:           4
        .value_kind:     by_value
      - .offset:         152
        .size:           8
        .value_kind:     by_value
      - .offset:         160
        .size:           4
        .value_kind:     by_value
      - .offset:         164
        .size:           4
        .value_kind:     by_value
      - .offset:         168
        .size:           8
        .value_kind:     by_value
      - .offset:         176
        .size:           4
        .value_kind:     by_value
      - .offset:         180
        .size:           4
        .value_kind:     by_value
      - .offset:         184
        .size:           4
        .value_kind:     by_value
      - .offset:         188
        .size:           4
        .value_kind:     by_value
      - .offset:         192
        .size:           4
        .value_kind:     by_value
      - .offset:         200
        .size:           8
        .value_kind:     by_value
      - .offset:         208
        .size:           4
        .value_kind:     hidden_block_count_x
      - .offset:         212
        .size:           4
        .value_kind:     hidden_block_count_y
      - .offset:         216
        .size:           4
        .value_kind:     hidden_block_count_z
      - .offset:         220
        .size:           2
        .value_kind:     hidden_group_size_x
      - .offset:         222
        .size:           2
        .value_kind:     hidden_group_size_y
      - .offset:         224
        .size:           2
        .value_kind:     hidden_group_size_z
      - .offset:         226
        .size:           2
        .value_kind:     hidden_remainder_x
      - .offset:         228
        .size:           2
        .value_kind:     hidden_remainder_y
      - .offset:         230
        .size:           2
        .value_kind:     hidden_remainder_z
      - .offset:         248
        .size:           8
        .value_kind:     hidden_global_offset_x
      - .offset:         256
        .size:           8
        .value_kind:     hidden_global_offset_y
      - .offset:         264
        .size:           8
        .value_kind:     hidden_global_offset_z
      - .offset:         272
        .size:           2
        .value_kind:     hidden_grid_dims
    .group_segment_fixed_size: 8768
    .kernarg_segment_align: 8
    .kernarg_segment_size: 464
    .language:       OpenCL C
    .language_version:
      - 2
      - 0
    .max_flat_workgroup_size: 256
    .name:           _ZL15flash_attn_tileILi112ELi112ELi2ELi8ELb0EEvPKcS1_S1_S1_S1_PKiPfP15HIP_vector_typeIfLj2EEffffjfiS5_IjLj3EEiiiiiiiiiiiliiliiiiil
    .private_segment_fixed_size: 0
    .sgpr_count:     43
    .sgpr_spill_count: 0
    .symbol:         _ZL15flash_attn_tileILi112ELi112ELi2ELi8ELb0EEvPKcS1_S1_S1_S1_PKiPfP15HIP_vector_typeIfLj2EEffffjfiS5_IjLj3EEiiiiiiiiiiiliiliiiiil.kd
    .uniform_work_group_size: 1
    .uses_dynamic_stack: false
    .vgpr_count:     116
    .vgpr_spill_count: 0
    .wavefront_size: 32
    .workgroup_processor_mode: 1
  - .args:
      - .actual_access:  read_only
        .address_space:  global
        .offset:         0
        .size:           8
        .value_kind:     global_buffer
      - .actual_access:  write_only
        .address_space:  global
        .offset:         8
        .size:           8
        .value_kind:     global_buffer
      - .offset:         16
        .size:           4
        .value_kind:     by_value
      - .offset:         20
        .size:           4
        .value_kind:     by_value
      - .offset:         24
        .size:           4
        .value_kind:     by_value
      - .offset:         32
        .size:           4
        .value_kind:     hidden_block_count_x
      - .offset:         36
        .size:           4
        .value_kind:     hidden_block_count_y
      - .offset:         40
        .size:           4
        .value_kind:     hidden_block_count_z
      - .offset:         44
        .size:           2
        .value_kind:     hidden_group_size_x
      - .offset:         46
        .size:           2
        .value_kind:     hidden_group_size_y
      - .offset:         48
        .size:           2
        .value_kind:     hidden_group_size_z
      - .offset:         50
        .size:           2
        .value_kind:     hidden_remainder_x
      - .offset:         52
        .size:           2
        .value_kind:     hidden_remainder_y
      - .offset:         54
        .size:           2
        .value_kind:     hidden_remainder_z
      - .offset:         72
        .size:           8
        .value_kind:     hidden_global_offset_x
      - .offset:         80
        .size:           8
        .value_kind:     hidden_global_offset_y
      - .offset:         88
        .size:           8
        .value_kind:     hidden_global_offset_z
      - .offset:         96
        .size:           2
        .value_kind:     hidden_grid_dims
    .group_segment_fixed_size: 128
    .kernarg_segment_align: 8
    .kernarg_segment_size: 288
    .language:       OpenCL C
    .language_version:
      - 2
      - 0
    .max_flat_workgroup_size: 128
    .name:           _ZL25flash_attn_mask_to_KV_maxILi2EEvPK7__half2Piiii
    .private_segment_fixed_size: 0
    .sgpr_count:     18
    .sgpr_spill_count: 0
    .symbol:         _ZL25flash_attn_mask_to_KV_maxILi2EEvPK7__half2Piiii.kd
    .uniform_work_group_size: 1
    .uses_dynamic_stack: false
    .vgpr_count:     8
    .vgpr_spill_count: 0
    .wavefront_size: 32
    .workgroup_processor_mode: 1
  - .args:
      - .address_space:  global
        .offset:         0
        .size:           8
        .value_kind:     global_buffer
      - .address_space:  global
        .offset:         8
        .size:           8
        .value_kind:     global_buffer
      - .offset:         16
        .size:           4
        .value_kind:     by_value
      - .offset:         20
        .size:           4
        .value_kind:     by_value
      - .offset:         24
        .size:           4
        .value_kind:     by_value
      - .offset:         28
        .size:           4
        .value_kind:     by_value
      - .offset:         32
        .size:           4
        .value_kind:     by_value
      - .offset:         36
        .size:           4
        .value_kind:     by_value
      - .offset:         40
        .size:           12
        .value_kind:     by_value
      - .offset:         52
        .size:           12
        .value_kind:     by_value
      - .offset:         64
        .size:           12
        .value_kind:     by_value
    .group_segment_fixed_size: 0
    .kernarg_segment_align: 8
    .kernarg_segment_size: 76
    .language:       OpenCL C
    .language_version:
      - 2
      - 0
    .max_flat_workgroup_size: 112
    .name:           _ZL33flash_attn_stream_k_fixup_uniformILi112ELi2ELi8EEvPfPK15HIP_vector_typeIfLj2EEiiiiiiS1_IjLj3EES5_S5_
    .private_segment_fixed_size: 0
    .sgpr_count:     26
    .sgpr_spill_count: 0
    .symbol:         _ZL33flash_attn_stream_k_fixup_uniformILi112ELi2ELi8EEvPfPK15HIP_vector_typeIfLj2EEiiiiiiS1_IjLj3EES5_S5_.kd
    .uniform_work_group_size: 1
    .uses_dynamic_stack: false
    .vgpr_count:     15
    .vgpr_spill_count: 0
    .wavefront_size: 32
    .workgroup_processor_mode: 1
  - .args:
      - .address_space:  global
        .offset:         0
        .size:           8
        .value_kind:     global_buffer
      - .address_space:  global
        .offset:         8
        .size:           8
        .value_kind:     global_buffer
      - .offset:         16
        .size:           4
        .value_kind:     by_value
      - .offset:         20
        .size:           4
        .value_kind:     by_value
      - .offset:         24
        .size:           4
        .value_kind:     by_value
      - .offset:         28
        .size:           4
        .value_kind:     by_value
      - .offset:         32
        .size:           12
        .value_kind:     by_value
      - .offset:         44
        .size:           12
        .value_kind:     by_value
      - .offset:         56
        .size:           12
        .value_kind:     by_value
      - .offset:         68
        .size:           12
        .value_kind:     by_value
      - .offset:         80
        .size:           4
        .value_kind:     hidden_block_count_x
      - .offset:         84
        .size:           4
        .value_kind:     hidden_block_count_y
      - .offset:         88
        .size:           4
        .value_kind:     hidden_block_count_z
      - .offset:         92
        .size:           2
        .value_kind:     hidden_group_size_x
      - .offset:         94
        .size:           2
        .value_kind:     hidden_group_size_y
      - .offset:         96
        .size:           2
        .value_kind:     hidden_group_size_z
      - .offset:         98
        .size:           2
        .value_kind:     hidden_remainder_x
      - .offset:         100
        .size:           2
        .value_kind:     hidden_remainder_y
      - .offset:         102
        .size:           2
        .value_kind:     hidden_remainder_z
      - .offset:         120
        .size:           8
        .value_kind:     hidden_global_offset_x
      - .offset:         128
        .size:           8
        .value_kind:     hidden_global_offset_y
      - .offset:         136
        .size:           8
        .value_kind:     hidden_global_offset_z
      - .offset:         144
        .size:           2
        .value_kind:     hidden_grid_dims
    .group_segment_fixed_size: 0
    .kernarg_segment_align: 8
    .kernarg_segment_size: 336
    .language:       OpenCL C
    .language_version:
      - 2
      - 0
    .max_flat_workgroup_size: 112
    .name:           _ZL33flash_attn_stream_k_fixup_generalILi112ELi2ELi8EEvPfPK15HIP_vector_typeIfLj2EEiiiiS1_IjLj3EES5_S5_S5_
    .private_segment_fixed_size: 0
    .sgpr_count:     33
    .sgpr_spill_count: 0
    .symbol:         _ZL33flash_attn_stream_k_fixup_generalILi112ELi2ELi8EEvPfPK15HIP_vector_typeIfLj2EEiiiiS1_IjLj3EES5_S5_S5_.kd
    .uniform_work_group_size: 1
    .uses_dynamic_stack: false
    .vgpr_count:     17
    .vgpr_spill_count: 0
    .wavefront_size: 32
    .workgroup_processor_mode: 1
  - .args:
      - .address_space:  global
        .offset:         0
        .size:           8
        .value_kind:     global_buffer
      - .address_space:  global
        .offset:         8
        .size:           8
        .value_kind:     global_buffer
      - .address_space:  global
        .offset:         16
        .size:           8
        .value_kind:     global_buffer
      - .address_space:  global
        .offset:         24
        .size:           8
        .value_kind:     global_buffer
      - .address_space:  global
        .offset:         32
        .size:           8
        .value_kind:     global_buffer
      - .address_space:  global
        .offset:         40
        .size:           8
        .value_kind:     global_buffer
      - .address_space:  global
        .offset:         48
        .size:           8
        .value_kind:     global_buffer
      - .address_space:  global
        .offset:         56
        .size:           8
        .value_kind:     global_buffer
      - .offset:         64
        .size:           4
        .value_kind:     by_value
      - .offset:         68
        .size:           4
        .value_kind:     by_value
      - .offset:         72
        .size:           4
        .value_kind:     by_value
      - .offset:         76
        .size:           4
        .value_kind:     by_value
      - .offset:         80
        .size:           4
        .value_kind:     by_value
      - .offset:         84
        .size:           4
        .value_kind:     by_value
      - .offset:         88
        .size:           4
        .value_kind:     by_value
      - .offset:         92
        .size:           12
        .value_kind:     by_value
      - .offset:         104
        .size:           4
        .value_kind:     by_value
      - .offset:         108
        .size:           4
        .value_kind:     by_value
      - .offset:         112
        .size:           4
        .value_kind:     by_value
      - .offset:         116
        .size:           4
        .value_kind:     by_value
      - .offset:         120
        .size:           4
        .value_kind:     by_value
      - .offset:         124
        .size:           4
        .value_kind:     by_value
      - .offset:         128
        .size:           4
        .value_kind:     by_value
      - .offset:         132
        .size:           4
        .value_kind:     by_value
      - .offset:         136
        .size:           4
        .value_kind:     by_value
      - .offset:         140
        .size:           4
        .value_kind:     by_value
      - .offset:         144
        .size:           4
        .value_kind:     by_value
      - .offset:         152
        .size:           8
        .value_kind:     by_value
      - .offset:         160
        .size:           4
        .value_kind:     by_value
      - .offset:         164
        .size:           4
        .value_kind:     by_value
      - .offset:         168
        .size:           8
        .value_kind:     by_value
      - .offset:         176
        .size:           4
        .value_kind:     by_value
      - .offset:         180
        .size:           4
        .value_kind:     by_value
      - .offset:         184
        .size:           4
        .value_kind:     by_value
      - .offset:         188
        .size:           4
        .value_kind:     by_value
      - .offset:         192
        .size:           4
        .value_kind:     by_value
      - .offset:         200
        .size:           8
        .value_kind:     by_value
      - .offset:         208
        .size:           4
        .value_kind:     hidden_block_count_x
      - .offset:         212
        .size:           4
        .value_kind:     hidden_block_count_y
      - .offset:         216
        .size:           4
        .value_kind:     hidden_block_count_z
      - .offset:         220
        .size:           2
        .value_kind:     hidden_group_size_x
      - .offset:         222
        .size:           2
        .value_kind:     hidden_group_size_y
      - .offset:         224
        .size:           2
        .value_kind:     hidden_group_size_z
      - .offset:         226
        .size:           2
        .value_kind:     hidden_remainder_x
      - .offset:         228
        .size:           2
        .value_kind:     hidden_remainder_y
      - .offset:         230
        .size:           2
        .value_kind:     hidden_remainder_z
      - .offset:         248
        .size:           8
        .value_kind:     hidden_global_offset_x
      - .offset:         256
        .size:           8
        .value_kind:     hidden_global_offset_y
      - .offset:         264
        .size:           8
        .value_kind:     hidden_global_offset_z
      - .offset:         272
        .size:           2
        .value_kind:     hidden_grid_dims
    .group_segment_fixed_size: 6464
    .kernarg_segment_align: 8
    .kernarg_segment_size: 464
    .language:       OpenCL C
    .language_version:
      - 2
      - 0
    .max_flat_workgroup_size: 256
    .name:           _ZL15flash_attn_tileILi112ELi112ELi1ELi8ELb0EEvPKcS1_S1_S1_S1_PKiPfP15HIP_vector_typeIfLj2EEffffjfiS5_IjLj3EEiiiiiiiiiiiliiliiiiil
    .private_segment_fixed_size: 0
    .sgpr_count:     46
    .sgpr_spill_count: 0
    .symbol:         _ZL15flash_attn_tileILi112ELi112ELi1ELi8ELb0EEvPKcS1_S1_S1_S1_PKiPfP15HIP_vector_typeIfLj2EEffffjfiS5_IjLj3EEiiiiiiiiiiiliiliiiiil.kd
    .uniform_work_group_size: 1
    .uses_dynamic_stack: false
    .vgpr_count:     90
    .vgpr_spill_count: 0
    .wavefront_size: 32
    .workgroup_processor_mode: 1
  - .args:
      - .actual_access:  read_only
        .address_space:  global
        .offset:         0
        .size:           8
        .value_kind:     global_buffer
      - .actual_access:  write_only
        .address_space:  global
        .offset:         8
        .size:           8
        .value_kind:     global_buffer
      - .offset:         16
        .size:           4
        .value_kind:     by_value
      - .offset:         20
        .size:           4
        .value_kind:     by_value
      - .offset:         24
        .size:           4
        .value_kind:     by_value
      - .offset:         32
        .size:           4
        .value_kind:     hidden_block_count_x
      - .offset:         36
        .size:           4
        .value_kind:     hidden_block_count_y
      - .offset:         40
        .size:           4
        .value_kind:     hidden_block_count_z
      - .offset:         44
        .size:           2
        .value_kind:     hidden_group_size_x
      - .offset:         46
        .size:           2
        .value_kind:     hidden_group_size_y
      - .offset:         48
        .size:           2
        .value_kind:     hidden_group_size_z
      - .offset:         50
        .size:           2
        .value_kind:     hidden_remainder_x
      - .offset:         52
        .size:           2
        .value_kind:     hidden_remainder_y
      - .offset:         54
        .size:           2
        .value_kind:     hidden_remainder_z
      - .offset:         72
        .size:           8
        .value_kind:     hidden_global_offset_x
      - .offset:         80
        .size:           8
        .value_kind:     hidden_global_offset_y
      - .offset:         88
        .size:           8
        .value_kind:     hidden_global_offset_z
      - .offset:         96
        .size:           2
        .value_kind:     hidden_grid_dims
    .group_segment_fixed_size: 128
    .kernarg_segment_align: 8
    .kernarg_segment_size: 288
    .language:       OpenCL C
    .language_version:
      - 2
      - 0
    .max_flat_workgroup_size: 128
    .name:           _ZL25flash_attn_mask_to_KV_maxILi1EEvPK7__half2Piiii
    .private_segment_fixed_size: 0
    .sgpr_count:     18
    .sgpr_spill_count: 0
    .symbol:         _ZL25flash_attn_mask_to_KV_maxILi1EEvPK7__half2Piiii.kd
    .uniform_work_group_size: 1
    .uses_dynamic_stack: false
    .vgpr_count:     8
    .vgpr_spill_count: 0
    .wavefront_size: 32
    .workgroup_processor_mode: 1
  - .args:
      - .address_space:  global
        .offset:         0
        .size:           8
        .value_kind:     global_buffer
      - .address_space:  global
        .offset:         8
        .size:           8
        .value_kind:     global_buffer
      - .offset:         16
        .size:           4
        .value_kind:     by_value
      - .offset:         20
        .size:           4
        .value_kind:     by_value
      - .offset:         24
        .size:           4
        .value_kind:     by_value
      - .offset:         28
        .size:           4
        .value_kind:     by_value
      - .offset:         32
        .size:           4
        .value_kind:     by_value
      - .offset:         36
        .size:           4
        .value_kind:     by_value
      - .offset:         40
        .size:           12
        .value_kind:     by_value
      - .offset:         52
        .size:           12
        .value_kind:     by_value
      - .offset:         64
        .size:           12
        .value_kind:     by_value
    .group_segment_fixed_size: 0
    .kernarg_segment_align: 8
    .kernarg_segment_size: 76
    .language:       OpenCL C
    .language_version:
      - 2
      - 0
    .max_flat_workgroup_size: 112
    .name:           _ZL33flash_attn_stream_k_fixup_uniformILi112ELi1ELi8EEvPfPK15HIP_vector_typeIfLj2EEiiiiiiS1_IjLj3EES5_S5_
    .private_segment_fixed_size: 0
    .sgpr_count:     26
    .sgpr_spill_count: 0
    .symbol:         _ZL33flash_attn_stream_k_fixup_uniformILi112ELi1ELi8EEvPfPK15HIP_vector_typeIfLj2EEiiiiiiS1_IjLj3EES5_S5_.kd
    .uniform_work_group_size: 1
    .uses_dynamic_stack: false
    .vgpr_count:     15
    .vgpr_spill_count: 0
    .wavefront_size: 32
    .workgroup_processor_mode: 1
  - .args:
      - .address_space:  global
        .offset:         0
        .size:           8
        .value_kind:     global_buffer
      - .address_space:  global
        .offset:         8
        .size:           8
        .value_kind:     global_buffer
      - .offset:         16
        .size:           4
        .value_kind:     by_value
      - .offset:         20
        .size:           4
        .value_kind:     by_value
      - .offset:         24
        .size:           4
        .value_kind:     by_value
      - .offset:         28
        .size:           4
        .value_kind:     by_value
      - .offset:         32
        .size:           12
        .value_kind:     by_value
      - .offset:         44
        .size:           12
        .value_kind:     by_value
      - .offset:         56
        .size:           12
        .value_kind:     by_value
      - .offset:         68
        .size:           12
        .value_kind:     by_value
      - .offset:         80
        .size:           4
        .value_kind:     hidden_block_count_x
      - .offset:         84
        .size:           4
        .value_kind:     hidden_block_count_y
      - .offset:         88
        .size:           4
        .value_kind:     hidden_block_count_z
      - .offset:         92
        .size:           2
        .value_kind:     hidden_group_size_x
      - .offset:         94
        .size:           2
        .value_kind:     hidden_group_size_y
      - .offset:         96
        .size:           2
        .value_kind:     hidden_group_size_z
      - .offset:         98
        .size:           2
        .value_kind:     hidden_remainder_x
      - .offset:         100
        .size:           2
        .value_kind:     hidden_remainder_y
      - .offset:         102
        .size:           2
        .value_kind:     hidden_remainder_z
      - .offset:         120
        .size:           8
        .value_kind:     hidden_global_offset_x
      - .offset:         128
        .size:           8
        .value_kind:     hidden_global_offset_y
      - .offset:         136
        .size:           8
        .value_kind:     hidden_global_offset_z
      - .offset:         144
        .size:           2
        .value_kind:     hidden_grid_dims
    .group_segment_fixed_size: 0
    .kernarg_segment_align: 8
    .kernarg_segment_size: 336
    .language:       OpenCL C
    .language_version:
      - 2
      - 0
    .max_flat_workgroup_size: 112
    .name:           _ZL33flash_attn_stream_k_fixup_generalILi112ELi1ELi8EEvPfPK15HIP_vector_typeIfLj2EEiiiiS1_IjLj3EES5_S5_S5_
    .private_segment_fixed_size: 0
    .sgpr_count:     33
    .sgpr_spill_count: 0
    .symbol:         _ZL33flash_attn_stream_k_fixup_generalILi112ELi1ELi8EEvPfPK15HIP_vector_typeIfLj2EEiiiiS1_IjLj3EES5_S5_S5_.kd
    .uniform_work_group_size: 1
    .uses_dynamic_stack: false
    .vgpr_count:     17
    .vgpr_spill_count: 0
    .wavefront_size: 32
    .workgroup_processor_mode: 1
  - .args:
      - .address_space:  global
        .offset:         0
        .size:           8
        .value_kind:     global_buffer
      - .address_space:  global
        .offset:         8
        .size:           8
        .value_kind:     global_buffer
      - .address_space:  global
        .offset:         16
        .size:           8
        .value_kind:     global_buffer
      - .address_space:  global
        .offset:         24
        .size:           8
        .value_kind:     global_buffer
      - .address_space:  global
        .offset:         32
        .size:           8
        .value_kind:     global_buffer
      - .address_space:  global
        .offset:         40
        .size:           8
        .value_kind:     global_buffer
      - .address_space:  global
        .offset:         48
        .size:           8
        .value_kind:     global_buffer
      - .address_space:  global
        .offset:         56
        .size:           8
        .value_kind:     global_buffer
      - .offset:         64
        .size:           4
        .value_kind:     by_value
      - .offset:         68
        .size:           4
        .value_kind:     by_value
      - .offset:         72
        .size:           4
        .value_kind:     by_value
      - .offset:         76
        .size:           4
        .value_kind:     by_value
      - .offset:         80
        .size:           4
        .value_kind:     by_value
      - .offset:         84
        .size:           4
        .value_kind:     by_value
      - .offset:         88
        .size:           4
        .value_kind:     by_value
      - .offset:         92
        .size:           12
        .value_kind:     by_value
      - .offset:         104
        .size:           4
        .value_kind:     by_value
      - .offset:         108
        .size:           4
        .value_kind:     by_value
      - .offset:         112
        .size:           4
        .value_kind:     by_value
      - .offset:         116
        .size:           4
        .value_kind:     by_value
      - .offset:         120
        .size:           4
        .value_kind:     by_value
      - .offset:         124
        .size:           4
        .value_kind:     by_value
      - .offset:         128
        .size:           4
        .value_kind:     by_value
      - .offset:         132
        .size:           4
        .value_kind:     by_value
      - .offset:         136
        .size:           4
        .value_kind:     by_value
      - .offset:         140
        .size:           4
        .value_kind:     by_value
      - .offset:         144
        .size:           4
        .value_kind:     by_value
      - .offset:         152
        .size:           8
        .value_kind:     by_value
      - .offset:         160
        .size:           4
        .value_kind:     by_value
      - .offset:         164
        .size:           4
        .value_kind:     by_value
      - .offset:         168
        .size:           8
        .value_kind:     by_value
      - .offset:         176
        .size:           4
        .value_kind:     by_value
      - .offset:         180
        .size:           4
        .value_kind:     by_value
      - .offset:         184
        .size:           4
        .value_kind:     by_value
      - .offset:         188
        .size:           4
        .value_kind:     by_value
      - .offset:         192
        .size:           4
        .value_kind:     by_value
      - .offset:         200
        .size:           8
        .value_kind:     by_value
      - .offset:         208
        .size:           4
        .value_kind:     hidden_block_count_x
      - .offset:         212
        .size:           4
        .value_kind:     hidden_block_count_y
      - .offset:         216
        .size:           4
        .value_kind:     hidden_block_count_z
      - .offset:         220
        .size:           2
        .value_kind:     hidden_group_size_x
      - .offset:         222
        .size:           2
        .value_kind:     hidden_group_size_y
      - .offset:         224
        .size:           2
        .value_kind:     hidden_group_size_z
      - .offset:         226
        .size:           2
        .value_kind:     hidden_remainder_x
      - .offset:         228
        .size:           2
        .value_kind:     hidden_remainder_y
      - .offset:         230
        .size:           2
        .value_kind:     hidden_remainder_z
      - .offset:         248
        .size:           8
        .value_kind:     hidden_global_offset_x
      - .offset:         256
        .size:           8
        .value_kind:     hidden_global_offset_y
      - .offset:         264
        .size:           8
        .value_kind:     hidden_global_offset_z
      - .offset:         272
        .size:           2
        .value_kind:     hidden_grid_dims
    .group_segment_fixed_size: 22592
    .kernarg_segment_align: 8
    .kernarg_segment_size: 464
    .language:       OpenCL C
    .language_version:
      - 2
      - 0
    .max_flat_workgroup_size: 256
    .name:           _ZL15flash_attn_tileILi112ELi112ELi16ELi4ELb0EEvPKcS1_S1_S1_S1_PKiPfP15HIP_vector_typeIfLj2EEffffjfiS5_IjLj3EEiiiiiiiiiiiliiliiiiil
    .private_segment_fixed_size: 0
    .sgpr_count:     56
    .sgpr_spill_count: 0
    .symbol:         _ZL15flash_attn_tileILi112ELi112ELi16ELi4ELb0EEvPKcS1_S1_S1_S1_PKiPfP15HIP_vector_typeIfLj2EEffffjfiS5_IjLj3EEiiiiiiiiiiiliiliiiiil.kd
    .uniform_work_group_size: 1
    .uses_dynamic_stack: false
    .vgpr_count:     245
    .vgpr_spill_count: 0
    .wavefront_size: 32
    .workgroup_processor_mode: 1
  - .args:
      - .actual_access:  read_only
        .address_space:  global
        .offset:         0
        .size:           8
        .value_kind:     global_buffer
      - .actual_access:  write_only
        .address_space:  global
        .offset:         8
        .size:           8
        .value_kind:     global_buffer
      - .offset:         16
        .size:           4
        .value_kind:     by_value
      - .offset:         20
        .size:           4
        .value_kind:     by_value
      - .offset:         24
        .size:           4
        .value_kind:     by_value
      - .offset:         32
        .size:           4
        .value_kind:     hidden_block_count_x
      - .offset:         36
        .size:           4
        .value_kind:     hidden_block_count_y
      - .offset:         40
        .size:           4
        .value_kind:     hidden_block_count_z
      - .offset:         44
        .size:           2
        .value_kind:     hidden_group_size_x
      - .offset:         46
        .size:           2
        .value_kind:     hidden_group_size_y
      - .offset:         48
        .size:           2
        .value_kind:     hidden_group_size_z
      - .offset:         50
        .size:           2
        .value_kind:     hidden_remainder_x
      - .offset:         52
        .size:           2
        .value_kind:     hidden_remainder_y
      - .offset:         54
        .size:           2
        .value_kind:     hidden_remainder_z
      - .offset:         72
        .size:           8
        .value_kind:     hidden_global_offset_x
      - .offset:         80
        .size:           8
        .value_kind:     hidden_global_offset_y
      - .offset:         88
        .size:           8
        .value_kind:     hidden_global_offset_z
      - .offset:         96
        .size:           2
        .value_kind:     hidden_grid_dims
    .group_segment_fixed_size: 128
    .kernarg_segment_align: 8
    .kernarg_segment_size: 288
    .language:       OpenCL C
    .language_version:
      - 2
      - 0
    .max_flat_workgroup_size: 128
    .name:           _ZL25flash_attn_mask_to_KV_maxILi16EEvPK7__half2Piiii
    .private_segment_fixed_size: 0
    .sgpr_count:     46
    .sgpr_spill_count: 0
    .symbol:         _ZL25flash_attn_mask_to_KV_maxILi16EEvPK7__half2Piiii.kd
    .uniform_work_group_size: 1
    .uses_dynamic_stack: false
    .vgpr_count:     10
    .vgpr_spill_count: 0
    .wavefront_size: 32
    .workgroup_processor_mode: 1
  - .args:
      - .address_space:  global
        .offset:         0
        .size:           8
        .value_kind:     global_buffer
      - .address_space:  global
        .offset:         8
        .size:           8
        .value_kind:     global_buffer
      - .offset:         16
        .size:           4
        .value_kind:     by_value
      - .offset:         20
        .size:           4
        .value_kind:     by_value
      - .offset:         24
        .size:           4
        .value_kind:     by_value
      - .offset:         28
        .size:           4
        .value_kind:     by_value
      - .offset:         32
        .size:           4
        .value_kind:     by_value
      - .offset:         36
        .size:           4
        .value_kind:     by_value
      - .offset:         40
        .size:           12
        .value_kind:     by_value
      - .offset:         52
        .size:           12
        .value_kind:     by_value
      - .offset:         64
        .size:           12
        .value_kind:     by_value
    .group_segment_fixed_size: 0
    .kernarg_segment_align: 8
    .kernarg_segment_size: 76
    .language:       OpenCL C
    .language_version:
      - 2
      - 0
    .max_flat_workgroup_size: 112
    .name:           _ZL33flash_attn_stream_k_fixup_uniformILi112ELi16ELi4EEvPfPK15HIP_vector_typeIfLj2EEiiiiiiS1_IjLj3EES5_S5_
    .private_segment_fixed_size: 0
    .sgpr_count:     26
    .sgpr_spill_count: 0
    .symbol:         _ZL33flash_attn_stream_k_fixup_uniformILi112ELi16ELi4EEvPfPK15HIP_vector_typeIfLj2EEiiiiiiS1_IjLj3EES5_S5_.kd
    .uniform_work_group_size: 1
    .uses_dynamic_stack: false
    .vgpr_count:     15
    .vgpr_spill_count: 0
    .wavefront_size: 32
    .workgroup_processor_mode: 1
  - .args:
      - .address_space:  global
        .offset:         0
        .size:           8
        .value_kind:     global_buffer
      - .address_space:  global
        .offset:         8
        .size:           8
        .value_kind:     global_buffer
      - .offset:         16
        .size:           4
        .value_kind:     by_value
      - .offset:         20
        .size:           4
        .value_kind:     by_value
      - .offset:         24
        .size:           4
        .value_kind:     by_value
      - .offset:         28
        .size:           4
        .value_kind:     by_value
      - .offset:         32
        .size:           12
        .value_kind:     by_value
      - .offset:         44
        .size:           12
        .value_kind:     by_value
      - .offset:         56
        .size:           12
        .value_kind:     by_value
      - .offset:         68
        .size:           12
        .value_kind:     by_value
      - .offset:         80
        .size:           4
        .value_kind:     hidden_block_count_x
      - .offset:         84
        .size:           4
        .value_kind:     hidden_block_count_y
      - .offset:         88
        .size:           4
        .value_kind:     hidden_block_count_z
      - .offset:         92
        .size:           2
        .value_kind:     hidden_group_size_x
      - .offset:         94
        .size:           2
        .value_kind:     hidden_group_size_y
      - .offset:         96
        .size:           2
        .value_kind:     hidden_group_size_z
      - .offset:         98
        .size:           2
        .value_kind:     hidden_remainder_x
      - .offset:         100
        .size:           2
        .value_kind:     hidden_remainder_y
      - .offset:         102
        .size:           2
        .value_kind:     hidden_remainder_z
      - .offset:         120
        .size:           8
        .value_kind:     hidden_global_offset_x
      - .offset:         128
        .size:           8
        .value_kind:     hidden_global_offset_y
      - .offset:         136
        .size:           8
        .value_kind:     hidden_global_offset_z
      - .offset:         144
        .size:           2
        .value_kind:     hidden_grid_dims
    .group_segment_fixed_size: 0
    .kernarg_segment_align: 8
    .kernarg_segment_size: 336
    .language:       OpenCL C
    .language_version:
      - 2
      - 0
    .max_flat_workgroup_size: 112
    .name:           _ZL33flash_attn_stream_k_fixup_generalILi112ELi16ELi4EEvPfPK15HIP_vector_typeIfLj2EEiiiiS1_IjLj3EES5_S5_S5_
    .private_segment_fixed_size: 0
    .sgpr_count:     33
    .sgpr_spill_count: 0
    .symbol:         _ZL33flash_attn_stream_k_fixup_generalILi112ELi16ELi4EEvPfPK15HIP_vector_typeIfLj2EEiiiiS1_IjLj3EES5_S5_S5_.kd
    .uniform_work_group_size: 1
    .uses_dynamic_stack: false
    .vgpr_count:     17
    .vgpr_spill_count: 0
    .wavefront_size: 32
    .workgroup_processor_mode: 1
  - .args:
      - .address_space:  global
        .offset:         0
        .size:           8
        .value_kind:     global_buffer
      - .address_space:  global
        .offset:         8
        .size:           8
        .value_kind:     global_buffer
      - .address_space:  global
        .offset:         16
        .size:           8
        .value_kind:     global_buffer
      - .address_space:  global
        .offset:         24
        .size:           8
        .value_kind:     global_buffer
      - .address_space:  global
        .offset:         32
        .size:           8
        .value_kind:     global_buffer
      - .address_space:  global
        .offset:         40
        .size:           8
        .value_kind:     global_buffer
      - .address_space:  global
        .offset:         48
        .size:           8
        .value_kind:     global_buffer
      - .address_space:  global
        .offset:         56
        .size:           8
        .value_kind:     global_buffer
      - .offset:         64
        .size:           4
        .value_kind:     by_value
      - .offset:         68
        .size:           4
        .value_kind:     by_value
      - .offset:         72
        .size:           4
        .value_kind:     by_value
      - .offset:         76
        .size:           4
        .value_kind:     by_value
      - .offset:         80
        .size:           4
        .value_kind:     by_value
      - .offset:         84
        .size:           4
        .value_kind:     by_value
      - .offset:         88
        .size:           4
        .value_kind:     by_value
      - .offset:         92
        .size:           12
        .value_kind:     by_value
      - .offset:         104
        .size:           4
        .value_kind:     by_value
      - .offset:         108
        .size:           4
        .value_kind:     by_value
      - .offset:         112
        .size:           4
        .value_kind:     by_value
      - .offset:         116
        .size:           4
        .value_kind:     by_value
      - .offset:         120
        .size:           4
        .value_kind:     by_value
      - .offset:         124
        .size:           4
        .value_kind:     by_value
      - .offset:         128
        .size:           4
        .value_kind:     by_value
      - .offset:         132
        .size:           4
        .value_kind:     by_value
      - .offset:         136
        .size:           4
        .value_kind:     by_value
      - .offset:         140
        .size:           4
        .value_kind:     by_value
      - .offset:         144
        .size:           4
        .value_kind:     by_value
      - .offset:         152
        .size:           8
        .value_kind:     by_value
      - .offset:         160
        .size:           4
        .value_kind:     by_value
      - .offset:         164
        .size:           4
        .value_kind:     by_value
      - .offset:         168
        .size:           8
        .value_kind:     by_value
      - .offset:         176
        .size:           4
        .value_kind:     by_value
      - .offset:         180
        .size:           4
        .value_kind:     by_value
      - .offset:         184
        .size:           4
        .value_kind:     by_value
      - .offset:         188
        .size:           4
        .value_kind:     by_value
      - .offset:         192
        .size:           4
        .value_kind:     by_value
      - .offset:         200
        .size:           8
        .value_kind:     by_value
      - .offset:         208
        .size:           4
        .value_kind:     hidden_block_count_x
      - .offset:         212
        .size:           4
        .value_kind:     hidden_block_count_y
      - .offset:         216
        .size:           4
        .value_kind:     hidden_block_count_z
      - .offset:         220
        .size:           2
        .value_kind:     hidden_group_size_x
      - .offset:         222
        .size:           2
        .value_kind:     hidden_group_size_y
      - .offset:         224
        .size:           2
        .value_kind:     hidden_group_size_z
      - .offset:         226
        .size:           2
        .value_kind:     hidden_remainder_x
      - .offset:         228
        .size:           2
        .value_kind:     hidden_remainder_y
      - .offset:         230
        .size:           2
        .value_kind:     hidden_remainder_z
      - .offset:         248
        .size:           8
        .value_kind:     hidden_global_offset_x
      - .offset:         256
        .size:           8
        .value_kind:     hidden_global_offset_y
      - .offset:         264
        .size:           8
        .value_kind:     hidden_global_offset_z
      - .offset:         272
        .size:           2
        .value_kind:     hidden_grid_dims
    .group_segment_fixed_size: 13376
    .kernarg_segment_align: 8
    .kernarg_segment_size: 464
    .language:       OpenCL C
    .language_version:
      - 2
      - 0
    .max_flat_workgroup_size: 256
    .name:           _ZL15flash_attn_tileILi112ELi112ELi8ELi4ELb0EEvPKcS1_S1_S1_S1_PKiPfP15HIP_vector_typeIfLj2EEffffjfiS5_IjLj3EEiiiiiiiiiiiliiliiiiil
    .private_segment_fixed_size: 0
    .sgpr_count:     46
    .sgpr_spill_count: 0
    .symbol:         _ZL15flash_attn_tileILi112ELi112ELi8ELi4ELb0EEvPKcS1_S1_S1_S1_PKiPfP15HIP_vector_typeIfLj2EEffffjfiS5_IjLj3EEiiiiiiiiiiiliiliiiiil.kd
    .uniform_work_group_size: 1
    .uses_dynamic_stack: false
    .vgpr_count:     160
    .vgpr_spill_count: 0
    .wavefront_size: 32
    .workgroup_processor_mode: 1
  - .args:
      - .address_space:  global
        .offset:         0
        .size:           8
        .value_kind:     global_buffer
      - .address_space:  global
        .offset:         8
        .size:           8
        .value_kind:     global_buffer
      - .offset:         16
        .size:           4
        .value_kind:     by_value
      - .offset:         20
        .size:           4
        .value_kind:     by_value
      - .offset:         24
        .size:           4
        .value_kind:     by_value
      - .offset:         28
        .size:           4
        .value_kind:     by_value
      - .offset:         32
        .size:           4
        .value_kind:     by_value
      - .offset:         36
        .size:           4
        .value_kind:     by_value
      - .offset:         40
        .size:           12
        .value_kind:     by_value
      - .offset:         52
        .size:           12
        .value_kind:     by_value
      - .offset:         64
        .size:           12
        .value_kind:     by_value
    .group_segment_fixed_size: 0
    .kernarg_segment_align: 8
    .kernarg_segment_size: 76
    .language:       OpenCL C
    .language_version:
      - 2
      - 0
    .max_flat_workgroup_size: 112
    .name:           _ZL33flash_attn_stream_k_fixup_uniformILi112ELi8ELi4EEvPfPK15HIP_vector_typeIfLj2EEiiiiiiS1_IjLj3EES5_S5_
    .private_segment_fixed_size: 0
    .sgpr_count:     26
    .sgpr_spill_count: 0
    .symbol:         _ZL33flash_attn_stream_k_fixup_uniformILi112ELi8ELi4EEvPfPK15HIP_vector_typeIfLj2EEiiiiiiS1_IjLj3EES5_S5_.kd
    .uniform_work_group_size: 1
    .uses_dynamic_stack: false
    .vgpr_count:     15
    .vgpr_spill_count: 0
    .wavefront_size: 32
    .workgroup_processor_mode: 1
  - .args:
      - .address_space:  global
        .offset:         0
        .size:           8
        .value_kind:     global_buffer
      - .address_space:  global
        .offset:         8
        .size:           8
        .value_kind:     global_buffer
      - .offset:         16
        .size:           4
        .value_kind:     by_value
      - .offset:         20
        .size:           4
        .value_kind:     by_value
      - .offset:         24
        .size:           4
        .value_kind:     by_value
      - .offset:         28
        .size:           4
        .value_kind:     by_value
      - .offset:         32
        .size:           12
        .value_kind:     by_value
      - .offset:         44
        .size:           12
        .value_kind:     by_value
      - .offset:         56
        .size:           12
        .value_kind:     by_value
      - .offset:         68
        .size:           12
        .value_kind:     by_value
      - .offset:         80
        .size:           4
        .value_kind:     hidden_block_count_x
      - .offset:         84
        .size:           4
        .value_kind:     hidden_block_count_y
      - .offset:         88
        .size:           4
        .value_kind:     hidden_block_count_z
      - .offset:         92
        .size:           2
        .value_kind:     hidden_group_size_x
      - .offset:         94
        .size:           2
        .value_kind:     hidden_group_size_y
      - .offset:         96
        .size:           2
        .value_kind:     hidden_group_size_z
      - .offset:         98
        .size:           2
        .value_kind:     hidden_remainder_x
      - .offset:         100
        .size:           2
        .value_kind:     hidden_remainder_y
      - .offset:         102
        .size:           2
        .value_kind:     hidden_remainder_z
      - .offset:         120
        .size:           8
        .value_kind:     hidden_global_offset_x
      - .offset:         128
        .size:           8
        .value_kind:     hidden_global_offset_y
      - .offset:         136
        .size:           8
        .value_kind:     hidden_global_offset_z
      - .offset:         144
        .size:           2
        .value_kind:     hidden_grid_dims
    .group_segment_fixed_size: 0
    .kernarg_segment_align: 8
    .kernarg_segment_size: 336
    .language:       OpenCL C
    .language_version:
      - 2
      - 0
    .max_flat_workgroup_size: 112
    .name:           _ZL33flash_attn_stream_k_fixup_generalILi112ELi8ELi4EEvPfPK15HIP_vector_typeIfLj2EEiiiiS1_IjLj3EES5_S5_S5_
    .private_segment_fixed_size: 0
    .sgpr_count:     33
    .sgpr_spill_count: 0
    .symbol:         _ZL33flash_attn_stream_k_fixup_generalILi112ELi8ELi4EEvPfPK15HIP_vector_typeIfLj2EEiiiiS1_IjLj3EES5_S5_S5_.kd
    .uniform_work_group_size: 1
    .uses_dynamic_stack: false
    .vgpr_count:     17
    .vgpr_spill_count: 0
    .wavefront_size: 32
    .workgroup_processor_mode: 1
  - .args:
      - .address_space:  global
        .offset:         0
        .size:           8
        .value_kind:     global_buffer
      - .address_space:  global
        .offset:         8
        .size:           8
        .value_kind:     global_buffer
      - .address_space:  global
        .offset:         16
        .size:           8
        .value_kind:     global_buffer
      - .address_space:  global
        .offset:         24
        .size:           8
        .value_kind:     global_buffer
      - .address_space:  global
        .offset:         32
        .size:           8
        .value_kind:     global_buffer
      - .address_space:  global
        .offset:         40
        .size:           8
        .value_kind:     global_buffer
      - .address_space:  global
        .offset:         48
        .size:           8
        .value_kind:     global_buffer
      - .address_space:  global
        .offset:         56
        .size:           8
        .value_kind:     global_buffer
      - .offset:         64
        .size:           4
        .value_kind:     by_value
      - .offset:         68
        .size:           4
        .value_kind:     by_value
      - .offset:         72
        .size:           4
        .value_kind:     by_value
      - .offset:         76
        .size:           4
        .value_kind:     by_value
      - .offset:         80
        .size:           4
        .value_kind:     by_value
      - .offset:         84
        .size:           4
        .value_kind:     by_value
      - .offset:         88
        .size:           4
        .value_kind:     by_value
      - .offset:         92
        .size:           12
        .value_kind:     by_value
      - .offset:         104
        .size:           4
        .value_kind:     by_value
      - .offset:         108
        .size:           4
        .value_kind:     by_value
      - .offset:         112
        .size:           4
        .value_kind:     by_value
      - .offset:         116
        .size:           4
        .value_kind:     by_value
      - .offset:         120
        .size:           4
        .value_kind:     by_value
      - .offset:         124
        .size:           4
        .value_kind:     by_value
      - .offset:         128
        .size:           4
        .value_kind:     by_value
      - .offset:         132
        .size:           4
        .value_kind:     by_value
      - .offset:         136
        .size:           4
        .value_kind:     by_value
      - .offset:         140
        .size:           4
        .value_kind:     by_value
      - .offset:         144
        .size:           4
        .value_kind:     by_value
      - .offset:         152
        .size:           8
        .value_kind:     by_value
      - .offset:         160
        .size:           4
        .value_kind:     by_value
      - .offset:         164
        .size:           4
        .value_kind:     by_value
      - .offset:         168
        .size:           8
        .value_kind:     by_value
      - .offset:         176
        .size:           4
        .value_kind:     by_value
      - .offset:         180
        .size:           4
        .value_kind:     by_value
      - .offset:         184
        .size:           4
        .value_kind:     by_value
      - .offset:         188
        .size:           4
        .value_kind:     by_value
      - .offset:         192
        .size:           4
        .value_kind:     by_value
      - .offset:         200
        .size:           8
        .value_kind:     by_value
      - .offset:         208
        .size:           4
        .value_kind:     hidden_block_count_x
      - .offset:         212
        .size:           4
        .value_kind:     hidden_block_count_y
      - .offset:         216
        .size:           4
        .value_kind:     hidden_block_count_z
      - .offset:         220
        .size:           2
        .value_kind:     hidden_group_size_x
      - .offset:         222
        .size:           2
        .value_kind:     hidden_group_size_y
      - .offset:         224
        .size:           2
        .value_kind:     hidden_group_size_z
      - .offset:         226
        .size:           2
        .value_kind:     hidden_remainder_x
      - .offset:         228
        .size:           2
        .value_kind:     hidden_remainder_y
      - .offset:         230
        .size:           2
        .value_kind:     hidden_remainder_z
      - .offset:         248
        .size:           8
        .value_kind:     hidden_global_offset_x
      - .offset:         256
        .size:           8
        .value_kind:     hidden_global_offset_y
      - .offset:         264
        .size:           8
        .value_kind:     hidden_global_offset_z
      - .offset:         272
        .size:           2
        .value_kind:     hidden_grid_dims
    .group_segment_fixed_size: 8768
    .kernarg_segment_align: 8
    .kernarg_segment_size: 464
    .language:       OpenCL C
    .language_version:
      - 2
      - 0
    .max_flat_workgroup_size: 256
    .name:           _ZL15flash_attn_tileILi112ELi112ELi4ELi4ELb0EEvPKcS1_S1_S1_S1_PKiPfP15HIP_vector_typeIfLj2EEffffjfiS5_IjLj3EEiiiiiiiiiiiliiliiiiil
    .private_segment_fixed_size: 0
    .sgpr_count:     43
    .sgpr_spill_count: 0
    .symbol:         _ZL15flash_attn_tileILi112ELi112ELi4ELi4ELb0EEvPKcS1_S1_S1_S1_PKiPfP15HIP_vector_typeIfLj2EEffffjfiS5_IjLj3EEiiiiiiiiiiiliiliiiiil.kd
    .uniform_work_group_size: 1
    .uses_dynamic_stack: false
    .vgpr_count:     116
    .vgpr_spill_count: 0
    .wavefront_size: 32
    .workgroup_processor_mode: 1
  - .args:
      - .address_space:  global
        .offset:         0
        .size:           8
        .value_kind:     global_buffer
      - .address_space:  global
        .offset:         8
        .size:           8
        .value_kind:     global_buffer
      - .offset:         16
        .size:           4
        .value_kind:     by_value
      - .offset:         20
        .size:           4
        .value_kind:     by_value
      - .offset:         24
        .size:           4
        .value_kind:     by_value
      - .offset:         28
        .size:           4
        .value_kind:     by_value
      - .offset:         32
        .size:           4
        .value_kind:     by_value
      - .offset:         36
        .size:           4
        .value_kind:     by_value
      - .offset:         40
        .size:           12
        .value_kind:     by_value
      - .offset:         52
        .size:           12
        .value_kind:     by_value
      - .offset:         64
        .size:           12
        .value_kind:     by_value
    .group_segment_fixed_size: 0
    .kernarg_segment_align: 8
    .kernarg_segment_size: 76
    .language:       OpenCL C
    .language_version:
      - 2
      - 0
    .max_flat_workgroup_size: 112
    .name:           _ZL33flash_attn_stream_k_fixup_uniformILi112ELi4ELi4EEvPfPK15HIP_vector_typeIfLj2EEiiiiiiS1_IjLj3EES5_S5_
    .private_segment_fixed_size: 0
    .sgpr_count:     26
    .sgpr_spill_count: 0
    .symbol:         _ZL33flash_attn_stream_k_fixup_uniformILi112ELi4ELi4EEvPfPK15HIP_vector_typeIfLj2EEiiiiiiS1_IjLj3EES5_S5_.kd
    .uniform_work_group_size: 1
    .uses_dynamic_stack: false
    .vgpr_count:     15
    .vgpr_spill_count: 0
    .wavefront_size: 32
    .workgroup_processor_mode: 1
  - .args:
      - .address_space:  global
        .offset:         0
        .size:           8
        .value_kind:     global_buffer
      - .address_space:  global
        .offset:         8
        .size:           8
        .value_kind:     global_buffer
      - .offset:         16
        .size:           4
        .value_kind:     by_value
      - .offset:         20
        .size:           4
        .value_kind:     by_value
      - .offset:         24
        .size:           4
        .value_kind:     by_value
      - .offset:         28
        .size:           4
        .value_kind:     by_value
      - .offset:         32
        .size:           12
        .value_kind:     by_value
      - .offset:         44
        .size:           12
        .value_kind:     by_value
      - .offset:         56
        .size:           12
        .value_kind:     by_value
      - .offset:         68
        .size:           12
        .value_kind:     by_value
      - .offset:         80
        .size:           4
        .value_kind:     hidden_block_count_x
      - .offset:         84
        .size:           4
        .value_kind:     hidden_block_count_y
      - .offset:         88
        .size:           4
        .value_kind:     hidden_block_count_z
      - .offset:         92
        .size:           2
        .value_kind:     hidden_group_size_x
      - .offset:         94
        .size:           2
        .value_kind:     hidden_group_size_y
      - .offset:         96
        .size:           2
        .value_kind:     hidden_group_size_z
      - .offset:         98
        .size:           2
        .value_kind:     hidden_remainder_x
      - .offset:         100
        .size:           2
        .value_kind:     hidden_remainder_y
      - .offset:         102
        .size:           2
        .value_kind:     hidden_remainder_z
      - .offset:         120
        .size:           8
        .value_kind:     hidden_global_offset_x
      - .offset:         128
        .size:           8
        .value_kind:     hidden_global_offset_y
      - .offset:         136
        .size:           8
        .value_kind:     hidden_global_offset_z
      - .offset:         144
        .size:           2
        .value_kind:     hidden_grid_dims
    .group_segment_fixed_size: 0
    .kernarg_segment_align: 8
    .kernarg_segment_size: 336
    .language:       OpenCL C
    .language_version:
      - 2
      - 0
    .max_flat_workgroup_size: 112
    .name:           _ZL33flash_attn_stream_k_fixup_generalILi112ELi4ELi4EEvPfPK15HIP_vector_typeIfLj2EEiiiiS1_IjLj3EES5_S5_S5_
    .private_segment_fixed_size: 0
    .sgpr_count:     33
    .sgpr_spill_count: 0
    .symbol:         _ZL33flash_attn_stream_k_fixup_generalILi112ELi4ELi4EEvPfPK15HIP_vector_typeIfLj2EEiiiiS1_IjLj3EES5_S5_S5_.kd
    .uniform_work_group_size: 1
    .uses_dynamic_stack: false
    .vgpr_count:     17
    .vgpr_spill_count: 0
    .wavefront_size: 32
    .workgroup_processor_mode: 1
  - .args:
      - .address_space:  global
        .offset:         0
        .size:           8
        .value_kind:     global_buffer
      - .address_space:  global
        .offset:         8
        .size:           8
        .value_kind:     global_buffer
      - .address_space:  global
        .offset:         16
        .size:           8
        .value_kind:     global_buffer
      - .address_space:  global
        .offset:         24
        .size:           8
        .value_kind:     global_buffer
      - .address_space:  global
        .offset:         32
        .size:           8
        .value_kind:     global_buffer
      - .address_space:  global
        .offset:         40
        .size:           8
        .value_kind:     global_buffer
      - .address_space:  global
        .offset:         48
        .size:           8
        .value_kind:     global_buffer
      - .address_space:  global
        .offset:         56
        .size:           8
        .value_kind:     global_buffer
      - .offset:         64
        .size:           4
        .value_kind:     by_value
      - .offset:         68
        .size:           4
        .value_kind:     by_value
      - .offset:         72
        .size:           4
        .value_kind:     by_value
      - .offset:         76
        .size:           4
        .value_kind:     by_value
      - .offset:         80
        .size:           4
        .value_kind:     by_value
      - .offset:         84
        .size:           4
        .value_kind:     by_value
      - .offset:         88
        .size:           4
        .value_kind:     by_value
      - .offset:         92
        .size:           12
        .value_kind:     by_value
      - .offset:         104
        .size:           4
        .value_kind:     by_value
      - .offset:         108
        .size:           4
        .value_kind:     by_value
      - .offset:         112
        .size:           4
        .value_kind:     by_value
      - .offset:         116
        .size:           4
        .value_kind:     by_value
      - .offset:         120
        .size:           4
        .value_kind:     by_value
      - .offset:         124
        .size:           4
        .value_kind:     by_value
      - .offset:         128
        .size:           4
        .value_kind:     by_value
      - .offset:         132
        .size:           4
        .value_kind:     by_value
      - .offset:         136
        .size:           4
        .value_kind:     by_value
      - .offset:         140
        .size:           4
        .value_kind:     by_value
      - .offset:         144
        .size:           4
        .value_kind:     by_value
      - .offset:         152
        .size:           8
        .value_kind:     by_value
      - .offset:         160
        .size:           4
        .value_kind:     by_value
      - .offset:         164
        .size:           4
        .value_kind:     by_value
      - .offset:         168
        .size:           8
        .value_kind:     by_value
      - .offset:         176
        .size:           4
        .value_kind:     by_value
      - .offset:         180
        .size:           4
        .value_kind:     by_value
      - .offset:         184
        .size:           4
        .value_kind:     by_value
      - .offset:         188
        .size:           4
        .value_kind:     by_value
      - .offset:         192
        .size:           4
        .value_kind:     by_value
      - .offset:         200
        .size:           8
        .value_kind:     by_value
      - .offset:         208
        .size:           4
        .value_kind:     hidden_block_count_x
      - .offset:         212
        .size:           4
        .value_kind:     hidden_block_count_y
      - .offset:         216
        .size:           4
        .value_kind:     hidden_block_count_z
      - .offset:         220
        .size:           2
        .value_kind:     hidden_group_size_x
      - .offset:         222
        .size:           2
        .value_kind:     hidden_group_size_y
      - .offset:         224
        .size:           2
        .value_kind:     hidden_group_size_z
      - .offset:         226
        .size:           2
        .value_kind:     hidden_remainder_x
      - .offset:         228
        .size:           2
        .value_kind:     hidden_remainder_y
      - .offset:         230
        .size:           2
        .value_kind:     hidden_remainder_z
      - .offset:         248
        .size:           8
        .value_kind:     hidden_global_offset_x
      - .offset:         256
        .size:           8
        .value_kind:     hidden_global_offset_y
      - .offset:         264
        .size:           8
        .value_kind:     hidden_global_offset_z
      - .offset:         272
        .size:           2
        .value_kind:     hidden_grid_dims
    .group_segment_fixed_size: 6464
    .kernarg_segment_align: 8
    .kernarg_segment_size: 464
    .language:       OpenCL C
    .language_version:
      - 2
      - 0
    .max_flat_workgroup_size: 256
    .name:           _ZL15flash_attn_tileILi112ELi112ELi2ELi4ELb0EEvPKcS1_S1_S1_S1_PKiPfP15HIP_vector_typeIfLj2EEffffjfiS5_IjLj3EEiiiiiiiiiiiliiliiiiil
    .private_segment_fixed_size: 0
    .sgpr_count:     46
    .sgpr_spill_count: 0
    .symbol:         _ZL15flash_attn_tileILi112ELi112ELi2ELi4ELb0EEvPKcS1_S1_S1_S1_PKiPfP15HIP_vector_typeIfLj2EEffffjfiS5_IjLj3EEiiiiiiiiiiiliiliiiiil.kd
    .uniform_work_group_size: 1
    .uses_dynamic_stack: false
    .vgpr_count:     90
    .vgpr_spill_count: 0
    .wavefront_size: 32
    .workgroup_processor_mode: 1
  - .args:
      - .address_space:  global
        .offset:         0
        .size:           8
        .value_kind:     global_buffer
      - .address_space:  global
        .offset:         8
        .size:           8
        .value_kind:     global_buffer
      - .offset:         16
        .size:           4
        .value_kind:     by_value
      - .offset:         20
        .size:           4
        .value_kind:     by_value
      - .offset:         24
        .size:           4
        .value_kind:     by_value
      - .offset:         28
        .size:           4
        .value_kind:     by_value
      - .offset:         32
        .size:           4
        .value_kind:     by_value
      - .offset:         36
        .size:           4
        .value_kind:     by_value
      - .offset:         40
        .size:           12
        .value_kind:     by_value
      - .offset:         52
        .size:           12
        .value_kind:     by_value
      - .offset:         64
        .size:           12
        .value_kind:     by_value
    .group_segment_fixed_size: 0
    .kernarg_segment_align: 8
    .kernarg_segment_size: 76
    .language:       OpenCL C
    .language_version:
      - 2
      - 0
    .max_flat_workgroup_size: 112
    .name:           _ZL33flash_attn_stream_k_fixup_uniformILi112ELi2ELi4EEvPfPK15HIP_vector_typeIfLj2EEiiiiiiS1_IjLj3EES5_S5_
    .private_segment_fixed_size: 0
    .sgpr_count:     26
    .sgpr_spill_count: 0
    .symbol:         _ZL33flash_attn_stream_k_fixup_uniformILi112ELi2ELi4EEvPfPK15HIP_vector_typeIfLj2EEiiiiiiS1_IjLj3EES5_S5_.kd
    .uniform_work_group_size: 1
    .uses_dynamic_stack: false
    .vgpr_count:     15
    .vgpr_spill_count: 0
    .wavefront_size: 32
    .workgroup_processor_mode: 1
  - .args:
      - .address_space:  global
        .offset:         0
        .size:           8
        .value_kind:     global_buffer
      - .address_space:  global
        .offset:         8
        .size:           8
        .value_kind:     global_buffer
      - .offset:         16
        .size:           4
        .value_kind:     by_value
      - .offset:         20
        .size:           4
        .value_kind:     by_value
      - .offset:         24
        .size:           4
        .value_kind:     by_value
      - .offset:         28
        .size:           4
        .value_kind:     by_value
      - .offset:         32
        .size:           12
        .value_kind:     by_value
      - .offset:         44
        .size:           12
        .value_kind:     by_value
      - .offset:         56
        .size:           12
        .value_kind:     by_value
      - .offset:         68
        .size:           12
        .value_kind:     by_value
      - .offset:         80
        .size:           4
        .value_kind:     hidden_block_count_x
      - .offset:         84
        .size:           4
        .value_kind:     hidden_block_count_y
      - .offset:         88
        .size:           4
        .value_kind:     hidden_block_count_z
      - .offset:         92
        .size:           2
        .value_kind:     hidden_group_size_x
      - .offset:         94
        .size:           2
        .value_kind:     hidden_group_size_y
      - .offset:         96
        .size:           2
        .value_kind:     hidden_group_size_z
      - .offset:         98
        .size:           2
        .value_kind:     hidden_remainder_x
      - .offset:         100
        .size:           2
        .value_kind:     hidden_remainder_y
      - .offset:         102
        .size:           2
        .value_kind:     hidden_remainder_z
      - .offset:         120
        .size:           8
        .value_kind:     hidden_global_offset_x
      - .offset:         128
        .size:           8
        .value_kind:     hidden_global_offset_y
      - .offset:         136
        .size:           8
        .value_kind:     hidden_global_offset_z
      - .offset:         144
        .size:           2
        .value_kind:     hidden_grid_dims
    .group_segment_fixed_size: 0
    .kernarg_segment_align: 8
    .kernarg_segment_size: 336
    .language:       OpenCL C
    .language_version:
      - 2
      - 0
    .max_flat_workgroup_size: 112
    .name:           _ZL33flash_attn_stream_k_fixup_generalILi112ELi2ELi4EEvPfPK15HIP_vector_typeIfLj2EEiiiiS1_IjLj3EES5_S5_S5_
    .private_segment_fixed_size: 0
    .sgpr_count:     33
    .sgpr_spill_count: 0
    .symbol:         _ZL33flash_attn_stream_k_fixup_generalILi112ELi2ELi4EEvPfPK15HIP_vector_typeIfLj2EEiiiiS1_IjLj3EES5_S5_S5_.kd
    .uniform_work_group_size: 1
    .uses_dynamic_stack: false
    .vgpr_count:     17
    .vgpr_spill_count: 0
    .wavefront_size: 32
    .workgroup_processor_mode: 1
  - .args:
      - .address_space:  global
        .offset:         0
        .size:           8
        .value_kind:     global_buffer
      - .address_space:  global
        .offset:         8
        .size:           8
        .value_kind:     global_buffer
      - .address_space:  global
        .offset:         16
        .size:           8
        .value_kind:     global_buffer
      - .address_space:  global
        .offset:         24
        .size:           8
        .value_kind:     global_buffer
      - .address_space:  global
        .offset:         32
        .size:           8
        .value_kind:     global_buffer
      - .address_space:  global
        .offset:         40
        .size:           8
        .value_kind:     global_buffer
      - .address_space:  global
        .offset:         48
        .size:           8
        .value_kind:     global_buffer
      - .address_space:  global
        .offset:         56
        .size:           8
        .value_kind:     global_buffer
      - .offset:         64
        .size:           4
        .value_kind:     by_value
      - .offset:         68
        .size:           4
        .value_kind:     by_value
      - .offset:         72
        .size:           4
        .value_kind:     by_value
      - .offset:         76
        .size:           4
        .value_kind:     by_value
      - .offset:         80
        .size:           4
        .value_kind:     by_value
      - .offset:         84
        .size:           4
        .value_kind:     by_value
      - .offset:         88
        .size:           4
        .value_kind:     by_value
      - .offset:         92
        .size:           12
        .value_kind:     by_value
      - .offset:         104
        .size:           4
        .value_kind:     by_value
      - .offset:         108
        .size:           4
        .value_kind:     by_value
      - .offset:         112
        .size:           4
        .value_kind:     by_value
      - .offset:         116
        .size:           4
        .value_kind:     by_value
      - .offset:         120
        .size:           4
        .value_kind:     by_value
      - .offset:         124
        .size:           4
        .value_kind:     by_value
      - .offset:         128
        .size:           4
        .value_kind:     by_value
      - .offset:         132
        .size:           4
        .value_kind:     by_value
      - .offset:         136
        .size:           4
        .value_kind:     by_value
      - .offset:         140
        .size:           4
        .value_kind:     by_value
      - .offset:         144
        .size:           4
        .value_kind:     by_value
      - .offset:         152
        .size:           8
        .value_kind:     by_value
      - .offset:         160
        .size:           4
        .value_kind:     by_value
      - .offset:         164
        .size:           4
        .value_kind:     by_value
      - .offset:         168
        .size:           8
        .value_kind:     by_value
      - .offset:         176
        .size:           4
        .value_kind:     by_value
      - .offset:         180
        .size:           4
        .value_kind:     by_value
      - .offset:         184
        .size:           4
        .value_kind:     by_value
      - .offset:         188
        .size:           4
        .value_kind:     by_value
      - .offset:         192
        .size:           4
        .value_kind:     by_value
      - .offset:         200
        .size:           8
        .value_kind:     by_value
      - .offset:         208
        .size:           4
        .value_kind:     hidden_block_count_x
      - .offset:         212
        .size:           4
        .value_kind:     hidden_block_count_y
      - .offset:         216
        .size:           4
        .value_kind:     hidden_block_count_z
      - .offset:         220
        .size:           2
        .value_kind:     hidden_group_size_x
      - .offset:         222
        .size:           2
        .value_kind:     hidden_group_size_y
      - .offset:         224
        .size:           2
        .value_kind:     hidden_group_size_z
      - .offset:         226
        .size:           2
        .value_kind:     hidden_remainder_x
      - .offset:         228
        .size:           2
        .value_kind:     hidden_remainder_y
      - .offset:         230
        .size:           2
        .value_kind:     hidden_remainder_z
      - .offset:         248
        .size:           8
        .value_kind:     hidden_global_offset_x
      - .offset:         256
        .size:           8
        .value_kind:     hidden_global_offset_y
      - .offset:         264
        .size:           8
        .value_kind:     hidden_global_offset_z
      - .offset:         272
        .size:           2
        .value_kind:     hidden_grid_dims
    .group_segment_fixed_size: 5312
    .kernarg_segment_align: 8
    .kernarg_segment_size: 464
    .language:       OpenCL C
    .language_version:
      - 2
      - 0
    .max_flat_workgroup_size: 128
    .name:           _ZL15flash_attn_tileILi112ELi112ELi1ELi4ELb0EEvPKcS1_S1_S1_S1_PKiPfP15HIP_vector_typeIfLj2EEffffjfiS5_IjLj3EEiiiiiiiiiiiliiliiiiil
    .private_segment_fixed_size: 0
    .sgpr_count:     46
    .sgpr_spill_count: 0
    .symbol:         _ZL15flash_attn_tileILi112ELi112ELi1ELi4ELb0EEvPKcS1_S1_S1_S1_PKiPfP15HIP_vector_typeIfLj2EEffffjfiS5_IjLj3EEiiiiiiiiiiiliiliiiiil.kd
    .uniform_work_group_size: 1
    .uses_dynamic_stack: false
    .vgpr_count:     92
    .vgpr_spill_count: 0
    .wavefront_size: 32
    .workgroup_processor_mode: 1
  - .args:
      - .address_space:  global
        .offset:         0
        .size:           8
        .value_kind:     global_buffer
      - .address_space:  global
        .offset:         8
        .size:           8
        .value_kind:     global_buffer
      - .offset:         16
        .size:           4
        .value_kind:     by_value
      - .offset:         20
        .size:           4
        .value_kind:     by_value
      - .offset:         24
        .size:           4
        .value_kind:     by_value
      - .offset:         28
        .size:           4
        .value_kind:     by_value
      - .offset:         32
        .size:           4
        .value_kind:     by_value
      - .offset:         36
        .size:           4
        .value_kind:     by_value
      - .offset:         40
        .size:           12
        .value_kind:     by_value
      - .offset:         52
        .size:           12
        .value_kind:     by_value
      - .offset:         64
        .size:           12
        .value_kind:     by_value
    .group_segment_fixed_size: 0
    .kernarg_segment_align: 8
    .kernarg_segment_size: 76
    .language:       OpenCL C
    .language_version:
      - 2
      - 0
    .max_flat_workgroup_size: 112
    .name:           _ZL33flash_attn_stream_k_fixup_uniformILi112ELi1ELi4EEvPfPK15HIP_vector_typeIfLj2EEiiiiiiS1_IjLj3EES5_S5_
    .private_segment_fixed_size: 0
    .sgpr_count:     26
    .sgpr_spill_count: 0
    .symbol:         _ZL33flash_attn_stream_k_fixup_uniformILi112ELi1ELi4EEvPfPK15HIP_vector_typeIfLj2EEiiiiiiS1_IjLj3EES5_S5_.kd
    .uniform_work_group_size: 1
    .uses_dynamic_stack: false
    .vgpr_count:     15
    .vgpr_spill_count: 0
    .wavefront_size: 32
    .workgroup_processor_mode: 1
  - .args:
      - .address_space:  global
        .offset:         0
        .size:           8
        .value_kind:     global_buffer
      - .address_space:  global
        .offset:         8
        .size:           8
        .value_kind:     global_buffer
      - .offset:         16
        .size:           4
        .value_kind:     by_value
      - .offset:         20
        .size:           4
        .value_kind:     by_value
      - .offset:         24
        .size:           4
        .value_kind:     by_value
      - .offset:         28
        .size:           4
        .value_kind:     by_value
      - .offset:         32
        .size:           12
        .value_kind:     by_value
      - .offset:         44
        .size:           12
        .value_kind:     by_value
      - .offset:         56
        .size:           12
        .value_kind:     by_value
      - .offset:         68
        .size:           12
        .value_kind:     by_value
      - .offset:         80
        .size:           4
        .value_kind:     hidden_block_count_x
      - .offset:         84
        .size:           4
        .value_kind:     hidden_block_count_y
      - .offset:         88
        .size:           4
        .value_kind:     hidden_block_count_z
      - .offset:         92
        .size:           2
        .value_kind:     hidden_group_size_x
      - .offset:         94
        .size:           2
        .value_kind:     hidden_group_size_y
      - .offset:         96
        .size:           2
        .value_kind:     hidden_group_size_z
      - .offset:         98
        .size:           2
        .value_kind:     hidden_remainder_x
      - .offset:         100
        .size:           2
        .value_kind:     hidden_remainder_y
      - .offset:         102
        .size:           2
        .value_kind:     hidden_remainder_z
      - .offset:         120
        .size:           8
        .value_kind:     hidden_global_offset_x
      - .offset:         128
        .size:           8
        .value_kind:     hidden_global_offset_y
      - .offset:         136
        .size:           8
        .value_kind:     hidden_global_offset_z
      - .offset:         144
        .size:           2
        .value_kind:     hidden_grid_dims
    .group_segment_fixed_size: 0
    .kernarg_segment_align: 8
    .kernarg_segment_size: 336
    .language:       OpenCL C
    .language_version:
      - 2
      - 0
    .max_flat_workgroup_size: 112
    .name:           _ZL33flash_attn_stream_k_fixup_generalILi112ELi1ELi4EEvPfPK15HIP_vector_typeIfLj2EEiiiiS1_IjLj3EES5_S5_S5_
    .private_segment_fixed_size: 0
    .sgpr_count:     33
    .sgpr_spill_count: 0
    .symbol:         _ZL33flash_attn_stream_k_fixup_generalILi112ELi1ELi4EEvPfPK15HIP_vector_typeIfLj2EEiiiiS1_IjLj3EES5_S5_S5_.kd
    .uniform_work_group_size: 1
    .uses_dynamic_stack: false
    .vgpr_count:     17
    .vgpr_spill_count: 0
    .wavefront_size: 32
    .workgroup_processor_mode: 1
  - .args:
      - .address_space:  global
        .offset:         0
        .size:           8
        .value_kind:     global_buffer
      - .address_space:  global
        .offset:         8
        .size:           8
        .value_kind:     global_buffer
      - .address_space:  global
        .offset:         16
        .size:           8
        .value_kind:     global_buffer
      - .address_space:  global
        .offset:         24
        .size:           8
        .value_kind:     global_buffer
      - .address_space:  global
        .offset:         32
        .size:           8
        .value_kind:     global_buffer
      - .address_space:  global
        .offset:         40
        .size:           8
        .value_kind:     global_buffer
      - .address_space:  global
        .offset:         48
        .size:           8
        .value_kind:     global_buffer
      - .address_space:  global
        .offset:         56
        .size:           8
        .value_kind:     global_buffer
      - .offset:         64
        .size:           4
        .value_kind:     by_value
      - .offset:         68
        .size:           4
        .value_kind:     by_value
      - .offset:         72
        .size:           4
        .value_kind:     by_value
      - .offset:         76
        .size:           4
        .value_kind:     by_value
      - .offset:         80
        .size:           4
        .value_kind:     by_value
      - .offset:         84
        .size:           4
        .value_kind:     by_value
      - .offset:         88
        .size:           4
        .value_kind:     by_value
      - .offset:         92
        .size:           12
        .value_kind:     by_value
      - .offset:         104
        .size:           4
        .value_kind:     by_value
      - .offset:         108
        .size:           4
        .value_kind:     by_value
      - .offset:         112
        .size:           4
        .value_kind:     by_value
      - .offset:         116
        .size:           4
        .value_kind:     by_value
      - .offset:         120
        .size:           4
        .value_kind:     by_value
      - .offset:         124
        .size:           4
        .value_kind:     by_value
      - .offset:         128
        .size:           4
        .value_kind:     by_value
      - .offset:         132
        .size:           4
        .value_kind:     by_value
      - .offset:         136
        .size:           4
        .value_kind:     by_value
      - .offset:         140
        .size:           4
        .value_kind:     by_value
      - .offset:         144
        .size:           4
        .value_kind:     by_value
      - .offset:         152
        .size:           8
        .value_kind:     by_value
      - .offset:         160
        .size:           4
        .value_kind:     by_value
      - .offset:         164
        .size:           4
        .value_kind:     by_value
      - .offset:         168
        .size:           8
        .value_kind:     by_value
      - .offset:         176
        .size:           4
        .value_kind:     by_value
      - .offset:         180
        .size:           4
        .value_kind:     by_value
      - .offset:         184
        .size:           4
        .value_kind:     by_value
      - .offset:         188
        .size:           4
        .value_kind:     by_value
      - .offset:         192
        .size:           4
        .value_kind:     by_value
      - .offset:         200
        .size:           8
        .value_kind:     by_value
      - .offset:         208
        .size:           4
        .value_kind:     hidden_block_count_x
      - .offset:         212
        .size:           4
        .value_kind:     hidden_block_count_y
      - .offset:         216
        .size:           4
        .value_kind:     hidden_block_count_z
      - .offset:         220
        .size:           2
        .value_kind:     hidden_group_size_x
      - .offset:         222
        .size:           2
        .value_kind:     hidden_group_size_y
      - .offset:         224
        .size:           2
        .value_kind:     hidden_group_size_z
      - .offset:         226
        .size:           2
        .value_kind:     hidden_remainder_x
      - .offset:         228
        .size:           2
        .value_kind:     hidden_remainder_y
      - .offset:         230
        .size:           2
        .value_kind:     hidden_remainder_z
      - .offset:         248
        .size:           8
        .value_kind:     hidden_global_offset_x
      - .offset:         256
        .size:           8
        .value_kind:     hidden_global_offset_y
      - .offset:         264
        .size:           8
        .value_kind:     hidden_global_offset_z
      - .offset:         272
        .size:           2
        .value_kind:     hidden_grid_dims
    .group_segment_fixed_size: 22592
    .kernarg_segment_align: 8
    .kernarg_segment_size: 464
    .language:       OpenCL C
    .language_version:
      - 2
      - 0
    .max_flat_workgroup_size: 256
    .name:           _ZL15flash_attn_tileILi112ELi112ELi32ELi2ELb0EEvPKcS1_S1_S1_S1_PKiPfP15HIP_vector_typeIfLj2EEffffjfiS5_IjLj3EEiiiiiiiiiiiliiliiiiil
    .private_segment_fixed_size: 0
    .sgpr_count:     56
    .sgpr_spill_count: 0
    .symbol:         _ZL15flash_attn_tileILi112ELi112ELi32ELi2ELb0EEvPKcS1_S1_S1_S1_PKiPfP15HIP_vector_typeIfLj2EEffffjfiS5_IjLj3EEiiiiiiiiiiiliiliiiiil.kd
    .uniform_work_group_size: 1
    .uses_dynamic_stack: false
    .vgpr_count:     249
    .vgpr_spill_count: 0
    .wavefront_size: 32
    .workgroup_processor_mode: 1
  - .args:
      - .actual_access:  read_only
        .address_space:  global
        .offset:         0
        .size:           8
        .value_kind:     global_buffer
      - .actual_access:  write_only
        .address_space:  global
        .offset:         8
        .size:           8
        .value_kind:     global_buffer
      - .offset:         16
        .size:           4
        .value_kind:     by_value
      - .offset:         20
        .size:           4
        .value_kind:     by_value
      - .offset:         24
        .size:           4
        .value_kind:     by_value
      - .offset:         32
        .size:           4
        .value_kind:     hidden_block_count_x
      - .offset:         36
        .size:           4
        .value_kind:     hidden_block_count_y
      - .offset:         40
        .size:           4
        .value_kind:     hidden_block_count_z
      - .offset:         44
        .size:           2
        .value_kind:     hidden_group_size_x
      - .offset:         46
        .size:           2
        .value_kind:     hidden_group_size_y
      - .offset:         48
        .size:           2
        .value_kind:     hidden_group_size_z
      - .offset:         50
        .size:           2
        .value_kind:     hidden_remainder_x
      - .offset:         52
        .size:           2
        .value_kind:     hidden_remainder_y
      - .offset:         54
        .size:           2
        .value_kind:     hidden_remainder_z
      - .offset:         72
        .size:           8
        .value_kind:     hidden_global_offset_x
      - .offset:         80
        .size:           8
        .value_kind:     hidden_global_offset_y
      - .offset:         88
        .size:           8
        .value_kind:     hidden_global_offset_z
      - .offset:         96
        .size:           2
        .value_kind:     hidden_grid_dims
    .group_segment_fixed_size: 128
    .kernarg_segment_align: 8
    .kernarg_segment_size: 288
    .language:       OpenCL C
    .language_version:
      - 2
      - 0
    .max_flat_workgroup_size: 128
    .name:           _ZL25flash_attn_mask_to_KV_maxILi32EEvPK7__half2Piiii
    .private_segment_fixed_size: 0
    .sgpr_count:     78
    .sgpr_spill_count: 0
    .symbol:         _ZL25flash_attn_mask_to_KV_maxILi32EEvPK7__half2Piiii.kd
    .uniform_work_group_size: 1
    .uses_dynamic_stack: false
    .vgpr_count:     10
    .vgpr_spill_count: 0
    .wavefront_size: 32
    .workgroup_processor_mode: 1
  - .args:
      - .address_space:  global
        .offset:         0
        .size:           8
        .value_kind:     global_buffer
      - .address_space:  global
        .offset:         8
        .size:           8
        .value_kind:     global_buffer
      - .offset:         16
        .size:           4
        .value_kind:     by_value
      - .offset:         20
        .size:           4
        .value_kind:     by_value
      - .offset:         24
        .size:           4
        .value_kind:     by_value
      - .offset:         28
        .size:           4
        .value_kind:     by_value
      - .offset:         32
        .size:           4
        .value_kind:     by_value
      - .offset:         36
        .size:           4
        .value_kind:     by_value
      - .offset:         40
        .size:           12
        .value_kind:     by_value
      - .offset:         52
        .size:           12
        .value_kind:     by_value
      - .offset:         64
        .size:           12
        .value_kind:     by_value
    .group_segment_fixed_size: 0
    .kernarg_segment_align: 8
    .kernarg_segment_size: 76
    .language:       OpenCL C
    .language_version:
      - 2
      - 0
    .max_flat_workgroup_size: 112
    .name:           _ZL33flash_attn_stream_k_fixup_uniformILi112ELi32ELi2EEvPfPK15HIP_vector_typeIfLj2EEiiiiiiS1_IjLj3EES5_S5_
    .private_segment_fixed_size: 0
    .sgpr_count:     26
    .sgpr_spill_count: 0
    .symbol:         _ZL33flash_attn_stream_k_fixup_uniformILi112ELi32ELi2EEvPfPK15HIP_vector_typeIfLj2EEiiiiiiS1_IjLj3EES5_S5_.kd
    .uniform_work_group_size: 1
    .uses_dynamic_stack: false
    .vgpr_count:     15
    .vgpr_spill_count: 0
    .wavefront_size: 32
    .workgroup_processor_mode: 1
  - .args:
      - .address_space:  global
        .offset:         0
        .size:           8
        .value_kind:     global_buffer
      - .address_space:  global
        .offset:         8
        .size:           8
        .value_kind:     global_buffer
      - .offset:         16
        .size:           4
        .value_kind:     by_value
      - .offset:         20
        .size:           4
        .value_kind:     by_value
      - .offset:         24
        .size:           4
        .value_kind:     by_value
      - .offset:         28
        .size:           4
        .value_kind:     by_value
      - .offset:         32
        .size:           12
        .value_kind:     by_value
      - .offset:         44
        .size:           12
        .value_kind:     by_value
      - .offset:         56
        .size:           12
        .value_kind:     by_value
      - .offset:         68
        .size:           12
        .value_kind:     by_value
      - .offset:         80
        .size:           4
        .value_kind:     hidden_block_count_x
      - .offset:         84
        .size:           4
        .value_kind:     hidden_block_count_y
      - .offset:         88
        .size:           4
        .value_kind:     hidden_block_count_z
      - .offset:         92
        .size:           2
        .value_kind:     hidden_group_size_x
      - .offset:         94
        .size:           2
        .value_kind:     hidden_group_size_y
      - .offset:         96
        .size:           2
        .value_kind:     hidden_group_size_z
      - .offset:         98
        .size:           2
        .value_kind:     hidden_remainder_x
      - .offset:         100
        .size:           2
        .value_kind:     hidden_remainder_y
      - .offset:         102
        .size:           2
        .value_kind:     hidden_remainder_z
      - .offset:         120
        .size:           8
        .value_kind:     hidden_global_offset_x
      - .offset:         128
        .size:           8
        .value_kind:     hidden_global_offset_y
      - .offset:         136
        .size:           8
        .value_kind:     hidden_global_offset_z
      - .offset:         144
        .size:           2
        .value_kind:     hidden_grid_dims
    .group_segment_fixed_size: 0
    .kernarg_segment_align: 8
    .kernarg_segment_size: 336
    .language:       OpenCL C
    .language_version:
      - 2
      - 0
    .max_flat_workgroup_size: 112
    .name:           _ZL33flash_attn_stream_k_fixup_generalILi112ELi32ELi2EEvPfPK15HIP_vector_typeIfLj2EEiiiiS1_IjLj3EES5_S5_S5_
    .private_segment_fixed_size: 0
    .sgpr_count:     33
    .sgpr_spill_count: 0
    .symbol:         _ZL33flash_attn_stream_k_fixup_generalILi112ELi32ELi2EEvPfPK15HIP_vector_typeIfLj2EEiiiiS1_IjLj3EES5_S5_S5_.kd
    .uniform_work_group_size: 1
    .uses_dynamic_stack: false
    .vgpr_count:     17
    .vgpr_spill_count: 0
    .wavefront_size: 32
    .workgroup_processor_mode: 1
  - .args:
      - .address_space:  global
        .offset:         0
        .size:           8
        .value_kind:     global_buffer
      - .address_space:  global
        .offset:         8
        .size:           8
        .value_kind:     global_buffer
      - .address_space:  global
        .offset:         16
        .size:           8
        .value_kind:     global_buffer
      - .address_space:  global
        .offset:         24
        .size:           8
        .value_kind:     global_buffer
      - .address_space:  global
        .offset:         32
        .size:           8
        .value_kind:     global_buffer
      - .address_space:  global
        .offset:         40
        .size:           8
        .value_kind:     global_buffer
      - .address_space:  global
        .offset:         48
        .size:           8
        .value_kind:     global_buffer
      - .address_space:  global
        .offset:         56
        .size:           8
        .value_kind:     global_buffer
      - .offset:         64
        .size:           4
        .value_kind:     by_value
      - .offset:         68
        .size:           4
        .value_kind:     by_value
      - .offset:         72
        .size:           4
        .value_kind:     by_value
      - .offset:         76
        .size:           4
        .value_kind:     by_value
      - .offset:         80
        .size:           4
        .value_kind:     by_value
      - .offset:         84
        .size:           4
        .value_kind:     by_value
      - .offset:         88
        .size:           4
        .value_kind:     by_value
      - .offset:         92
        .size:           12
        .value_kind:     by_value
      - .offset:         104
        .size:           4
        .value_kind:     by_value
      - .offset:         108
        .size:           4
        .value_kind:     by_value
      - .offset:         112
        .size:           4
        .value_kind:     by_value
      - .offset:         116
        .size:           4
        .value_kind:     by_value
      - .offset:         120
        .size:           4
        .value_kind:     by_value
      - .offset:         124
        .size:           4
        .value_kind:     by_value
      - .offset:         128
        .size:           4
        .value_kind:     by_value
      - .offset:         132
        .size:           4
        .value_kind:     by_value
      - .offset:         136
        .size:           4
        .value_kind:     by_value
      - .offset:         140
        .size:           4
        .value_kind:     by_value
      - .offset:         144
        .size:           4
        .value_kind:     by_value
      - .offset:         152
        .size:           8
        .value_kind:     by_value
      - .offset:         160
        .size:           4
        .value_kind:     by_value
      - .offset:         164
        .size:           4
        .value_kind:     by_value
      - .offset:         168
        .size:           8
        .value_kind:     by_value
      - .offset:         176
        .size:           4
        .value_kind:     by_value
      - .offset:         180
        .size:           4
        .value_kind:     by_value
      - .offset:         184
        .size:           4
        .value_kind:     by_value
      - .offset:         188
        .size:           4
        .value_kind:     by_value
      - .offset:         192
        .size:           4
        .value_kind:     by_value
      - .offset:         200
        .size:           8
        .value_kind:     by_value
      - .offset:         208
        .size:           4
        .value_kind:     hidden_block_count_x
      - .offset:         212
        .size:           4
        .value_kind:     hidden_block_count_y
      - .offset:         216
        .size:           4
        .value_kind:     hidden_block_count_z
      - .offset:         220
        .size:           2
        .value_kind:     hidden_group_size_x
      - .offset:         222
        .size:           2
        .value_kind:     hidden_group_size_y
      - .offset:         224
        .size:           2
        .value_kind:     hidden_group_size_z
      - .offset:         226
        .size:           2
        .value_kind:     hidden_remainder_x
      - .offset:         228
        .size:           2
        .value_kind:     hidden_remainder_y
      - .offset:         230
        .size:           2
        .value_kind:     hidden_remainder_z
      - .offset:         248
        .size:           8
        .value_kind:     hidden_global_offset_x
      - .offset:         256
        .size:           8
        .value_kind:     hidden_global_offset_y
      - .offset:         264
        .size:           8
        .value_kind:     hidden_global_offset_z
      - .offset:         272
        .size:           2
        .value_kind:     hidden_grid_dims
    .group_segment_fixed_size: 13376
    .kernarg_segment_align: 8
    .kernarg_segment_size: 464
    .language:       OpenCL C
    .language_version:
      - 2
      - 0
    .max_flat_workgroup_size: 256
    .name:           _ZL15flash_attn_tileILi112ELi112ELi16ELi2ELb0EEvPKcS1_S1_S1_S1_PKiPfP15HIP_vector_typeIfLj2EEffffjfiS5_IjLj3EEiiiiiiiiiiiliiliiiiil
    .private_segment_fixed_size: 0
    .sgpr_count:     50
    .sgpr_spill_count: 0
    .symbol:         _ZL15flash_attn_tileILi112ELi112ELi16ELi2ELb0EEvPKcS1_S1_S1_S1_PKiPfP15HIP_vector_typeIfLj2EEffffjfiS5_IjLj3EEiiiiiiiiiiiliiliiiiil.kd
    .uniform_work_group_size: 1
    .uses_dynamic_stack: false
    .vgpr_count:     163
    .vgpr_spill_count: 0
    .wavefront_size: 32
    .workgroup_processor_mode: 1
  - .args:
      - .address_space:  global
        .offset:         0
        .size:           8
        .value_kind:     global_buffer
      - .address_space:  global
        .offset:         8
        .size:           8
        .value_kind:     global_buffer
      - .offset:         16
        .size:           4
        .value_kind:     by_value
      - .offset:         20
        .size:           4
        .value_kind:     by_value
      - .offset:         24
        .size:           4
        .value_kind:     by_value
      - .offset:         28
        .size:           4
        .value_kind:     by_value
      - .offset:         32
        .size:           4
        .value_kind:     by_value
      - .offset:         36
        .size:           4
        .value_kind:     by_value
      - .offset:         40
        .size:           12
        .value_kind:     by_value
      - .offset:         52
        .size:           12
        .value_kind:     by_value
      - .offset:         64
        .size:           12
        .value_kind:     by_value
    .group_segment_fixed_size: 0
    .kernarg_segment_align: 8
    .kernarg_segment_size: 76
    .language:       OpenCL C
    .language_version:
      - 2
      - 0
    .max_flat_workgroup_size: 112
    .name:           _ZL33flash_attn_stream_k_fixup_uniformILi112ELi16ELi2EEvPfPK15HIP_vector_typeIfLj2EEiiiiiiS1_IjLj3EES5_S5_
    .private_segment_fixed_size: 0
    .sgpr_count:     26
    .sgpr_spill_count: 0
    .symbol:         _ZL33flash_attn_stream_k_fixup_uniformILi112ELi16ELi2EEvPfPK15HIP_vector_typeIfLj2EEiiiiiiS1_IjLj3EES5_S5_.kd
    .uniform_work_group_size: 1
    .uses_dynamic_stack: false
    .vgpr_count:     15
    .vgpr_spill_count: 0
    .wavefront_size: 32
    .workgroup_processor_mode: 1
  - .args:
      - .address_space:  global
        .offset:         0
        .size:           8
        .value_kind:     global_buffer
      - .address_space:  global
        .offset:         8
        .size:           8
        .value_kind:     global_buffer
      - .offset:         16
        .size:           4
        .value_kind:     by_value
      - .offset:         20
        .size:           4
        .value_kind:     by_value
      - .offset:         24
        .size:           4
        .value_kind:     by_value
      - .offset:         28
        .size:           4
        .value_kind:     by_value
      - .offset:         32
        .size:           12
        .value_kind:     by_value
      - .offset:         44
        .size:           12
        .value_kind:     by_value
      - .offset:         56
        .size:           12
        .value_kind:     by_value
      - .offset:         68
        .size:           12
        .value_kind:     by_value
      - .offset:         80
        .size:           4
        .value_kind:     hidden_block_count_x
      - .offset:         84
        .size:           4
        .value_kind:     hidden_block_count_y
      - .offset:         88
        .size:           4
        .value_kind:     hidden_block_count_z
      - .offset:         92
        .size:           2
        .value_kind:     hidden_group_size_x
      - .offset:         94
        .size:           2
        .value_kind:     hidden_group_size_y
      - .offset:         96
        .size:           2
        .value_kind:     hidden_group_size_z
      - .offset:         98
        .size:           2
        .value_kind:     hidden_remainder_x
      - .offset:         100
        .size:           2
        .value_kind:     hidden_remainder_y
      - .offset:         102
        .size:           2
        .value_kind:     hidden_remainder_z
      - .offset:         120
        .size:           8
        .value_kind:     hidden_global_offset_x
      - .offset:         128
        .size:           8
        .value_kind:     hidden_global_offset_y
      - .offset:         136
        .size:           8
        .value_kind:     hidden_global_offset_z
      - .offset:         144
        .size:           2
        .value_kind:     hidden_grid_dims
    .group_segment_fixed_size: 0
    .kernarg_segment_align: 8
    .kernarg_segment_size: 336
    .language:       OpenCL C
    .language_version:
      - 2
      - 0
    .max_flat_workgroup_size: 112
    .name:           _ZL33flash_attn_stream_k_fixup_generalILi112ELi16ELi2EEvPfPK15HIP_vector_typeIfLj2EEiiiiS1_IjLj3EES5_S5_S5_
    .private_segment_fixed_size: 0
    .sgpr_count:     33
    .sgpr_spill_count: 0
    .symbol:         _ZL33flash_attn_stream_k_fixup_generalILi112ELi16ELi2EEvPfPK15HIP_vector_typeIfLj2EEiiiiS1_IjLj3EES5_S5_S5_.kd
    .uniform_work_group_size: 1
    .uses_dynamic_stack: false
    .vgpr_count:     17
    .vgpr_spill_count: 0
    .wavefront_size: 32
    .workgroup_processor_mode: 1
  - .args:
      - .address_space:  global
        .offset:         0
        .size:           8
        .value_kind:     global_buffer
      - .address_space:  global
        .offset:         8
        .size:           8
        .value_kind:     global_buffer
      - .address_space:  global
        .offset:         16
        .size:           8
        .value_kind:     global_buffer
      - .address_space:  global
        .offset:         24
        .size:           8
        .value_kind:     global_buffer
      - .address_space:  global
        .offset:         32
        .size:           8
        .value_kind:     global_buffer
      - .address_space:  global
        .offset:         40
        .size:           8
        .value_kind:     global_buffer
      - .address_space:  global
        .offset:         48
        .size:           8
        .value_kind:     global_buffer
      - .address_space:  global
        .offset:         56
        .size:           8
        .value_kind:     global_buffer
      - .offset:         64
        .size:           4
        .value_kind:     by_value
      - .offset:         68
        .size:           4
        .value_kind:     by_value
      - .offset:         72
        .size:           4
        .value_kind:     by_value
      - .offset:         76
        .size:           4
        .value_kind:     by_value
      - .offset:         80
        .size:           4
        .value_kind:     by_value
      - .offset:         84
        .size:           4
        .value_kind:     by_value
      - .offset:         88
        .size:           4
        .value_kind:     by_value
      - .offset:         92
        .size:           12
        .value_kind:     by_value
      - .offset:         104
        .size:           4
        .value_kind:     by_value
      - .offset:         108
        .size:           4
        .value_kind:     by_value
      - .offset:         112
        .size:           4
        .value_kind:     by_value
      - .offset:         116
        .size:           4
        .value_kind:     by_value
      - .offset:         120
        .size:           4
        .value_kind:     by_value
      - .offset:         124
        .size:           4
        .value_kind:     by_value
      - .offset:         128
        .size:           4
        .value_kind:     by_value
      - .offset:         132
        .size:           4
        .value_kind:     by_value
      - .offset:         136
        .size:           4
        .value_kind:     by_value
      - .offset:         140
        .size:           4
        .value_kind:     by_value
      - .offset:         144
        .size:           4
        .value_kind:     by_value
      - .offset:         152
        .size:           8
        .value_kind:     by_value
      - .offset:         160
        .size:           4
        .value_kind:     by_value
      - .offset:         164
        .size:           4
        .value_kind:     by_value
      - .offset:         168
        .size:           8
        .value_kind:     by_value
      - .offset:         176
        .size:           4
        .value_kind:     by_value
      - .offset:         180
        .size:           4
        .value_kind:     by_value
      - .offset:         184
        .size:           4
        .value_kind:     by_value
      - .offset:         188
        .size:           4
        .value_kind:     by_value
      - .offset:         192
        .size:           4
        .value_kind:     by_value
      - .offset:         200
        .size:           8
        .value_kind:     by_value
      - .offset:         208
        .size:           4
        .value_kind:     hidden_block_count_x
      - .offset:         212
        .size:           4
        .value_kind:     hidden_block_count_y
      - .offset:         216
        .size:           4
        .value_kind:     hidden_block_count_z
      - .offset:         220
        .size:           2
        .value_kind:     hidden_group_size_x
      - .offset:         222
        .size:           2
        .value_kind:     hidden_group_size_y
      - .offset:         224
        .size:           2
        .value_kind:     hidden_group_size_z
      - .offset:         226
        .size:           2
        .value_kind:     hidden_remainder_x
      - .offset:         228
        .size:           2
        .value_kind:     hidden_remainder_y
      - .offset:         230
        .size:           2
        .value_kind:     hidden_remainder_z
      - .offset:         248
        .size:           8
        .value_kind:     hidden_global_offset_x
      - .offset:         256
        .size:           8
        .value_kind:     hidden_global_offset_y
      - .offset:         264
        .size:           8
        .value_kind:     hidden_global_offset_z
      - .offset:         272
        .size:           2
        .value_kind:     hidden_grid_dims
    .group_segment_fixed_size: 8768
    .kernarg_segment_align: 8
    .kernarg_segment_size: 464
    .language:       OpenCL C
    .language_version:
      - 2
      - 0
    .max_flat_workgroup_size: 256
    .name:           _ZL15flash_attn_tileILi112ELi112ELi8ELi2ELb0EEvPKcS1_S1_S1_S1_PKiPfP15HIP_vector_typeIfLj2EEffffjfiS5_IjLj3EEiiiiiiiiiiiliiliiiiil
    .private_segment_fixed_size: 0
    .sgpr_count:     44
    .sgpr_spill_count: 0
    .symbol:         _ZL15flash_attn_tileILi112ELi112ELi8ELi2ELb0EEvPKcS1_S1_S1_S1_PKiPfP15HIP_vector_typeIfLj2EEffffjfiS5_IjLj3EEiiiiiiiiiiiliiliiiiil.kd
    .uniform_work_group_size: 1
    .uses_dynamic_stack: false
    .vgpr_count:     115
    .vgpr_spill_count: 0
    .wavefront_size: 32
    .workgroup_processor_mode: 1
  - .args:
      - .address_space:  global
        .offset:         0
        .size:           8
        .value_kind:     global_buffer
      - .address_space:  global
        .offset:         8
        .size:           8
        .value_kind:     global_buffer
      - .offset:         16
        .size:           4
        .value_kind:     by_value
      - .offset:         20
        .size:           4
        .value_kind:     by_value
      - .offset:         24
        .size:           4
        .value_kind:     by_value
      - .offset:         28
        .size:           4
        .value_kind:     by_value
      - .offset:         32
        .size:           4
        .value_kind:     by_value
      - .offset:         36
        .size:           4
        .value_kind:     by_value
      - .offset:         40
        .size:           12
        .value_kind:     by_value
      - .offset:         52
        .size:           12
        .value_kind:     by_value
      - .offset:         64
        .size:           12
        .value_kind:     by_value
    .group_segment_fixed_size: 0
    .kernarg_segment_align: 8
    .kernarg_segment_size: 76
    .language:       OpenCL C
    .language_version:
      - 2
      - 0
    .max_flat_workgroup_size: 112
    .name:           _ZL33flash_attn_stream_k_fixup_uniformILi112ELi8ELi2EEvPfPK15HIP_vector_typeIfLj2EEiiiiiiS1_IjLj3EES5_S5_
    .private_segment_fixed_size: 0
    .sgpr_count:     26
    .sgpr_spill_count: 0
    .symbol:         _ZL33flash_attn_stream_k_fixup_uniformILi112ELi8ELi2EEvPfPK15HIP_vector_typeIfLj2EEiiiiiiS1_IjLj3EES5_S5_.kd
    .uniform_work_group_size: 1
    .uses_dynamic_stack: false
    .vgpr_count:     15
    .vgpr_spill_count: 0
    .wavefront_size: 32
    .workgroup_processor_mode: 1
  - .args:
      - .address_space:  global
        .offset:         0
        .size:           8
        .value_kind:     global_buffer
      - .address_space:  global
        .offset:         8
        .size:           8
        .value_kind:     global_buffer
      - .offset:         16
        .size:           4
        .value_kind:     by_value
      - .offset:         20
        .size:           4
        .value_kind:     by_value
      - .offset:         24
        .size:           4
        .value_kind:     by_value
      - .offset:         28
        .size:           4
        .value_kind:     by_value
      - .offset:         32
        .size:           12
        .value_kind:     by_value
      - .offset:         44
        .size:           12
        .value_kind:     by_value
      - .offset:         56
        .size:           12
        .value_kind:     by_value
      - .offset:         68
        .size:           12
        .value_kind:     by_value
      - .offset:         80
        .size:           4
        .value_kind:     hidden_block_count_x
      - .offset:         84
        .size:           4
        .value_kind:     hidden_block_count_y
      - .offset:         88
        .size:           4
        .value_kind:     hidden_block_count_z
      - .offset:         92
        .size:           2
        .value_kind:     hidden_group_size_x
      - .offset:         94
        .size:           2
        .value_kind:     hidden_group_size_y
      - .offset:         96
        .size:           2
        .value_kind:     hidden_group_size_z
      - .offset:         98
        .size:           2
        .value_kind:     hidden_remainder_x
      - .offset:         100
        .size:           2
        .value_kind:     hidden_remainder_y
      - .offset:         102
        .size:           2
        .value_kind:     hidden_remainder_z
      - .offset:         120
        .size:           8
        .value_kind:     hidden_global_offset_x
      - .offset:         128
        .size:           8
        .value_kind:     hidden_global_offset_y
      - .offset:         136
        .size:           8
        .value_kind:     hidden_global_offset_z
      - .offset:         144
        .size:           2
        .value_kind:     hidden_grid_dims
    .group_segment_fixed_size: 0
    .kernarg_segment_align: 8
    .kernarg_segment_size: 336
    .language:       OpenCL C
    .language_version:
      - 2
      - 0
    .max_flat_workgroup_size: 112
    .name:           _ZL33flash_attn_stream_k_fixup_generalILi112ELi8ELi2EEvPfPK15HIP_vector_typeIfLj2EEiiiiS1_IjLj3EES5_S5_S5_
    .private_segment_fixed_size: 0
    .sgpr_count:     33
    .sgpr_spill_count: 0
    .symbol:         _ZL33flash_attn_stream_k_fixup_generalILi112ELi8ELi2EEvPfPK15HIP_vector_typeIfLj2EEiiiiS1_IjLj3EES5_S5_S5_.kd
    .uniform_work_group_size: 1
    .uses_dynamic_stack: false
    .vgpr_count:     17
    .vgpr_spill_count: 0
    .wavefront_size: 32
    .workgroup_processor_mode: 1
  - .args:
      - .address_space:  global
        .offset:         0
        .size:           8
        .value_kind:     global_buffer
      - .address_space:  global
        .offset:         8
        .size:           8
        .value_kind:     global_buffer
      - .address_space:  global
        .offset:         16
        .size:           8
        .value_kind:     global_buffer
      - .address_space:  global
        .offset:         24
        .size:           8
        .value_kind:     global_buffer
      - .address_space:  global
        .offset:         32
        .size:           8
        .value_kind:     global_buffer
      - .address_space:  global
        .offset:         40
        .size:           8
        .value_kind:     global_buffer
      - .address_space:  global
        .offset:         48
        .size:           8
        .value_kind:     global_buffer
      - .address_space:  global
        .offset:         56
        .size:           8
        .value_kind:     global_buffer
      - .offset:         64
        .size:           4
        .value_kind:     by_value
      - .offset:         68
        .size:           4
        .value_kind:     by_value
      - .offset:         72
        .size:           4
        .value_kind:     by_value
      - .offset:         76
        .size:           4
        .value_kind:     by_value
      - .offset:         80
        .size:           4
        .value_kind:     by_value
      - .offset:         84
        .size:           4
        .value_kind:     by_value
      - .offset:         88
        .size:           4
        .value_kind:     by_value
      - .offset:         92
        .size:           12
        .value_kind:     by_value
      - .offset:         104
        .size:           4
        .value_kind:     by_value
      - .offset:         108
        .size:           4
        .value_kind:     by_value
      - .offset:         112
        .size:           4
        .value_kind:     by_value
      - .offset:         116
        .size:           4
        .value_kind:     by_value
      - .offset:         120
        .size:           4
        .value_kind:     by_value
      - .offset:         124
        .size:           4
        .value_kind:     by_value
      - .offset:         128
        .size:           4
        .value_kind:     by_value
      - .offset:         132
        .size:           4
        .value_kind:     by_value
      - .offset:         136
        .size:           4
        .value_kind:     by_value
      - .offset:         140
        .size:           4
        .value_kind:     by_value
      - .offset:         144
        .size:           4
        .value_kind:     by_value
      - .offset:         152
        .size:           8
        .value_kind:     by_value
      - .offset:         160
        .size:           4
        .value_kind:     by_value
      - .offset:         164
        .size:           4
        .value_kind:     by_value
      - .offset:         168
        .size:           8
        .value_kind:     by_value
      - .offset:         176
        .size:           4
        .value_kind:     by_value
      - .offset:         180
        .size:           4
        .value_kind:     by_value
      - .offset:         184
        .size:           4
        .value_kind:     by_value
      - .offset:         188
        .size:           4
        .value_kind:     by_value
      - .offset:         192
        .size:           4
        .value_kind:     by_value
      - .offset:         200
        .size:           8
        .value_kind:     by_value
      - .offset:         208
        .size:           4
        .value_kind:     hidden_block_count_x
      - .offset:         212
        .size:           4
        .value_kind:     hidden_block_count_y
      - .offset:         216
        .size:           4
        .value_kind:     hidden_block_count_z
      - .offset:         220
        .size:           2
        .value_kind:     hidden_group_size_x
      - .offset:         222
        .size:           2
        .value_kind:     hidden_group_size_y
      - .offset:         224
        .size:           2
        .value_kind:     hidden_group_size_z
      - .offset:         226
        .size:           2
        .value_kind:     hidden_remainder_x
      - .offset:         228
        .size:           2
        .value_kind:     hidden_remainder_y
      - .offset:         230
        .size:           2
        .value_kind:     hidden_remainder_z
      - .offset:         248
        .size:           8
        .value_kind:     hidden_global_offset_x
      - .offset:         256
        .size:           8
        .value_kind:     hidden_global_offset_y
      - .offset:         264
        .size:           8
        .value_kind:     hidden_global_offset_z
      - .offset:         272
        .size:           2
        .value_kind:     hidden_grid_dims
    .group_segment_fixed_size: 6464
    .kernarg_segment_align: 8
    .kernarg_segment_size: 464
    .language:       OpenCL C
    .language_version:
      - 2
      - 0
    .max_flat_workgroup_size: 256
    .name:           _ZL15flash_attn_tileILi112ELi112ELi4ELi2ELb0EEvPKcS1_S1_S1_S1_PKiPfP15HIP_vector_typeIfLj2EEffffjfiS5_IjLj3EEiiiiiiiiiiiliiliiiiil
    .private_segment_fixed_size: 0
    .sgpr_count:     46
    .sgpr_spill_count: 0
    .symbol:         _ZL15flash_attn_tileILi112ELi112ELi4ELi2ELb0EEvPKcS1_S1_S1_S1_PKiPfP15HIP_vector_typeIfLj2EEffffjfiS5_IjLj3EEiiiiiiiiiiiliiliiiiil.kd
    .uniform_work_group_size: 1
    .uses_dynamic_stack: false
    .vgpr_count:     90
    .vgpr_spill_count: 0
    .wavefront_size: 32
    .workgroup_processor_mode: 1
  - .args:
      - .address_space:  global
        .offset:         0
        .size:           8
        .value_kind:     global_buffer
      - .address_space:  global
        .offset:         8
        .size:           8
        .value_kind:     global_buffer
      - .offset:         16
        .size:           4
        .value_kind:     by_value
      - .offset:         20
        .size:           4
        .value_kind:     by_value
      - .offset:         24
        .size:           4
        .value_kind:     by_value
      - .offset:         28
        .size:           4
        .value_kind:     by_value
      - .offset:         32
        .size:           4
        .value_kind:     by_value
      - .offset:         36
        .size:           4
        .value_kind:     by_value
      - .offset:         40
        .size:           12
        .value_kind:     by_value
      - .offset:         52
        .size:           12
        .value_kind:     by_value
      - .offset:         64
        .size:           12
        .value_kind:     by_value
    .group_segment_fixed_size: 0
    .kernarg_segment_align: 8
    .kernarg_segment_size: 76
    .language:       OpenCL C
    .language_version:
      - 2
      - 0
    .max_flat_workgroup_size: 112
    .name:           _ZL33flash_attn_stream_k_fixup_uniformILi112ELi4ELi2EEvPfPK15HIP_vector_typeIfLj2EEiiiiiiS1_IjLj3EES5_S5_
    .private_segment_fixed_size: 0
    .sgpr_count:     26
    .sgpr_spill_count: 0
    .symbol:         _ZL33flash_attn_stream_k_fixup_uniformILi112ELi4ELi2EEvPfPK15HIP_vector_typeIfLj2EEiiiiiiS1_IjLj3EES5_S5_.kd
    .uniform_work_group_size: 1
    .uses_dynamic_stack: false
    .vgpr_count:     15
    .vgpr_spill_count: 0
    .wavefront_size: 32
    .workgroup_processor_mode: 1
  - .args:
      - .address_space:  global
        .offset:         0
        .size:           8
        .value_kind:     global_buffer
      - .address_space:  global
        .offset:         8
        .size:           8
        .value_kind:     global_buffer
      - .offset:         16
        .size:           4
        .value_kind:     by_value
      - .offset:         20
        .size:           4
        .value_kind:     by_value
      - .offset:         24
        .size:           4
        .value_kind:     by_value
      - .offset:         28
        .size:           4
        .value_kind:     by_value
      - .offset:         32
        .size:           12
        .value_kind:     by_value
      - .offset:         44
        .size:           12
        .value_kind:     by_value
      - .offset:         56
        .size:           12
        .value_kind:     by_value
      - .offset:         68
        .size:           12
        .value_kind:     by_value
      - .offset:         80
        .size:           4
        .value_kind:     hidden_block_count_x
      - .offset:         84
        .size:           4
        .value_kind:     hidden_block_count_y
      - .offset:         88
        .size:           4
        .value_kind:     hidden_block_count_z
      - .offset:         92
        .size:           2
        .value_kind:     hidden_group_size_x
      - .offset:         94
        .size:           2
        .value_kind:     hidden_group_size_y
      - .offset:         96
        .size:           2
        .value_kind:     hidden_group_size_z
      - .offset:         98
        .size:           2
        .value_kind:     hidden_remainder_x
      - .offset:         100
        .size:           2
        .value_kind:     hidden_remainder_y
      - .offset:         102
        .size:           2
        .value_kind:     hidden_remainder_z
      - .offset:         120
        .size:           8
        .value_kind:     hidden_global_offset_x
      - .offset:         128
        .size:           8
        .value_kind:     hidden_global_offset_y
      - .offset:         136
        .size:           8
        .value_kind:     hidden_global_offset_z
      - .offset:         144
        .size:           2
        .value_kind:     hidden_grid_dims
    .group_segment_fixed_size: 0
    .kernarg_segment_align: 8
    .kernarg_segment_size: 336
    .language:       OpenCL C
    .language_version:
      - 2
      - 0
    .max_flat_workgroup_size: 112
    .name:           _ZL33flash_attn_stream_k_fixup_generalILi112ELi4ELi2EEvPfPK15HIP_vector_typeIfLj2EEiiiiS1_IjLj3EES5_S5_S5_
    .private_segment_fixed_size: 0
    .sgpr_count:     33
    .sgpr_spill_count: 0
    .symbol:         _ZL33flash_attn_stream_k_fixup_generalILi112ELi4ELi2EEvPfPK15HIP_vector_typeIfLj2EEiiiiS1_IjLj3EES5_S5_S5_.kd
    .uniform_work_group_size: 1
    .uses_dynamic_stack: false
    .vgpr_count:     17
    .vgpr_spill_count: 0
    .wavefront_size: 32
    .workgroup_processor_mode: 1
  - .args:
      - .address_space:  global
        .offset:         0
        .size:           8
        .value_kind:     global_buffer
      - .address_space:  global
        .offset:         8
        .size:           8
        .value_kind:     global_buffer
      - .address_space:  global
        .offset:         16
        .size:           8
        .value_kind:     global_buffer
      - .address_space:  global
        .offset:         24
        .size:           8
        .value_kind:     global_buffer
      - .address_space:  global
        .offset:         32
        .size:           8
        .value_kind:     global_buffer
      - .address_space:  global
        .offset:         40
        .size:           8
        .value_kind:     global_buffer
      - .address_space:  global
        .offset:         48
        .size:           8
        .value_kind:     global_buffer
      - .address_space:  global
        .offset:         56
        .size:           8
        .value_kind:     global_buffer
      - .offset:         64
        .size:           4
        .value_kind:     by_value
      - .offset:         68
        .size:           4
        .value_kind:     by_value
      - .offset:         72
        .size:           4
        .value_kind:     by_value
      - .offset:         76
        .size:           4
        .value_kind:     by_value
      - .offset:         80
        .size:           4
        .value_kind:     by_value
      - .offset:         84
        .size:           4
        .value_kind:     by_value
      - .offset:         88
        .size:           4
        .value_kind:     by_value
      - .offset:         92
        .size:           12
        .value_kind:     by_value
      - .offset:         104
        .size:           4
        .value_kind:     by_value
      - .offset:         108
        .size:           4
        .value_kind:     by_value
      - .offset:         112
        .size:           4
        .value_kind:     by_value
      - .offset:         116
        .size:           4
        .value_kind:     by_value
      - .offset:         120
        .size:           4
        .value_kind:     by_value
      - .offset:         124
        .size:           4
        .value_kind:     by_value
      - .offset:         128
        .size:           4
        .value_kind:     by_value
      - .offset:         132
        .size:           4
        .value_kind:     by_value
      - .offset:         136
        .size:           4
        .value_kind:     by_value
      - .offset:         140
        .size:           4
        .value_kind:     by_value
      - .offset:         144
        .size:           4
        .value_kind:     by_value
      - .offset:         152
        .size:           8
        .value_kind:     by_value
      - .offset:         160
        .size:           4
        .value_kind:     by_value
      - .offset:         164
        .size:           4
        .value_kind:     by_value
      - .offset:         168
        .size:           8
        .value_kind:     by_value
      - .offset:         176
        .size:           4
        .value_kind:     by_value
      - .offset:         180
        .size:           4
        .value_kind:     by_value
      - .offset:         184
        .size:           4
        .value_kind:     by_value
      - .offset:         188
        .size:           4
        .value_kind:     by_value
      - .offset:         192
        .size:           4
        .value_kind:     by_value
      - .offset:         200
        .size:           8
        .value_kind:     by_value
      - .offset:         208
        .size:           4
        .value_kind:     hidden_block_count_x
      - .offset:         212
        .size:           4
        .value_kind:     hidden_block_count_y
      - .offset:         216
        .size:           4
        .value_kind:     hidden_block_count_z
      - .offset:         220
        .size:           2
        .value_kind:     hidden_group_size_x
      - .offset:         222
        .size:           2
        .value_kind:     hidden_group_size_y
      - .offset:         224
        .size:           2
        .value_kind:     hidden_group_size_z
      - .offset:         226
        .size:           2
        .value_kind:     hidden_remainder_x
      - .offset:         228
        .size:           2
        .value_kind:     hidden_remainder_y
      - .offset:         230
        .size:           2
        .value_kind:     hidden_remainder_z
      - .offset:         248
        .size:           8
        .value_kind:     hidden_global_offset_x
      - .offset:         256
        .size:           8
        .value_kind:     hidden_global_offset_y
      - .offset:         264
        .size:           8
        .value_kind:     hidden_global_offset_z
      - .offset:         272
        .size:           2
        .value_kind:     hidden_grid_dims
    .group_segment_fixed_size: 5312
    .kernarg_segment_align: 8
    .kernarg_segment_size: 464
    .language:       OpenCL C
    .language_version:
      - 2
      - 0
    .max_flat_workgroup_size: 128
    .name:           _ZL15flash_attn_tileILi112ELi112ELi2ELi2ELb0EEvPKcS1_S1_S1_S1_PKiPfP15HIP_vector_typeIfLj2EEffffjfiS5_IjLj3EEiiiiiiiiiiiliiliiiiil
    .private_segment_fixed_size: 0
    .sgpr_count:     46
    .sgpr_spill_count: 0
    .symbol:         _ZL15flash_attn_tileILi112ELi112ELi2ELi2ELb0EEvPKcS1_S1_S1_S1_PKiPfP15HIP_vector_typeIfLj2EEffffjfiS5_IjLj3EEiiiiiiiiiiiliiliiiiil.kd
    .uniform_work_group_size: 1
    .uses_dynamic_stack: false
    .vgpr_count:     92
    .vgpr_spill_count: 0
    .wavefront_size: 32
    .workgroup_processor_mode: 1
  - .args:
      - .address_space:  global
        .offset:         0
        .size:           8
        .value_kind:     global_buffer
      - .address_space:  global
        .offset:         8
        .size:           8
        .value_kind:     global_buffer
      - .offset:         16
        .size:           4
        .value_kind:     by_value
      - .offset:         20
        .size:           4
        .value_kind:     by_value
      - .offset:         24
        .size:           4
        .value_kind:     by_value
      - .offset:         28
        .size:           4
        .value_kind:     by_value
      - .offset:         32
        .size:           4
        .value_kind:     by_value
      - .offset:         36
        .size:           4
        .value_kind:     by_value
      - .offset:         40
        .size:           12
        .value_kind:     by_value
      - .offset:         52
        .size:           12
        .value_kind:     by_value
      - .offset:         64
        .size:           12
        .value_kind:     by_value
    .group_segment_fixed_size: 0
    .kernarg_segment_align: 8
    .kernarg_segment_size: 76
    .language:       OpenCL C
    .language_version:
      - 2
      - 0
    .max_flat_workgroup_size: 112
    .name:           _ZL33flash_attn_stream_k_fixup_uniformILi112ELi2ELi2EEvPfPK15HIP_vector_typeIfLj2EEiiiiiiS1_IjLj3EES5_S5_
    .private_segment_fixed_size: 0
    .sgpr_count:     26
    .sgpr_spill_count: 0
    .symbol:         _ZL33flash_attn_stream_k_fixup_uniformILi112ELi2ELi2EEvPfPK15HIP_vector_typeIfLj2EEiiiiiiS1_IjLj3EES5_S5_.kd
    .uniform_work_group_size: 1
    .uses_dynamic_stack: false
    .vgpr_count:     15
    .vgpr_spill_count: 0
    .wavefront_size: 32
    .workgroup_processor_mode: 1
  - .args:
      - .address_space:  global
        .offset:         0
        .size:           8
        .value_kind:     global_buffer
      - .address_space:  global
        .offset:         8
        .size:           8
        .value_kind:     global_buffer
      - .offset:         16
        .size:           4
        .value_kind:     by_value
      - .offset:         20
        .size:           4
        .value_kind:     by_value
      - .offset:         24
        .size:           4
        .value_kind:     by_value
      - .offset:         28
        .size:           4
        .value_kind:     by_value
      - .offset:         32
        .size:           12
        .value_kind:     by_value
      - .offset:         44
        .size:           12
        .value_kind:     by_value
      - .offset:         56
        .size:           12
        .value_kind:     by_value
      - .offset:         68
        .size:           12
        .value_kind:     by_value
      - .offset:         80
        .size:           4
        .value_kind:     hidden_block_count_x
      - .offset:         84
        .size:           4
        .value_kind:     hidden_block_count_y
      - .offset:         88
        .size:           4
        .value_kind:     hidden_block_count_z
      - .offset:         92
        .size:           2
        .value_kind:     hidden_group_size_x
      - .offset:         94
        .size:           2
        .value_kind:     hidden_group_size_y
      - .offset:         96
        .size:           2
        .value_kind:     hidden_group_size_z
      - .offset:         98
        .size:           2
        .value_kind:     hidden_remainder_x
      - .offset:         100
        .size:           2
        .value_kind:     hidden_remainder_y
      - .offset:         102
        .size:           2
        .value_kind:     hidden_remainder_z
      - .offset:         120
        .size:           8
        .value_kind:     hidden_global_offset_x
      - .offset:         128
        .size:           8
        .value_kind:     hidden_global_offset_y
      - .offset:         136
        .size:           8
        .value_kind:     hidden_global_offset_z
      - .offset:         144
        .size:           2
        .value_kind:     hidden_grid_dims
    .group_segment_fixed_size: 0
    .kernarg_segment_align: 8
    .kernarg_segment_size: 336
    .language:       OpenCL C
    .language_version:
      - 2
      - 0
    .max_flat_workgroup_size: 112
    .name:           _ZL33flash_attn_stream_k_fixup_generalILi112ELi2ELi2EEvPfPK15HIP_vector_typeIfLj2EEiiiiS1_IjLj3EES5_S5_S5_
    .private_segment_fixed_size: 0
    .sgpr_count:     33
    .sgpr_spill_count: 0
    .symbol:         _ZL33flash_attn_stream_k_fixup_generalILi112ELi2ELi2EEvPfPK15HIP_vector_typeIfLj2EEiiiiS1_IjLj3EES5_S5_S5_.kd
    .uniform_work_group_size: 1
    .uses_dynamic_stack: false
    .vgpr_count:     17
    .vgpr_spill_count: 0
    .wavefront_size: 32
    .workgroup_processor_mode: 1
  - .args:
      - .address_space:  global
        .offset:         0
        .size:           8
        .value_kind:     global_buffer
      - .address_space:  global
        .offset:         8
        .size:           8
        .value_kind:     global_buffer
      - .address_space:  global
        .offset:         16
        .size:           8
        .value_kind:     global_buffer
      - .address_space:  global
        .offset:         24
        .size:           8
        .value_kind:     global_buffer
      - .address_space:  global
        .offset:         32
        .size:           8
        .value_kind:     global_buffer
      - .address_space:  global
        .offset:         40
        .size:           8
        .value_kind:     global_buffer
      - .address_space:  global
        .offset:         48
        .size:           8
        .value_kind:     global_buffer
      - .address_space:  global
        .offset:         56
        .size:           8
        .value_kind:     global_buffer
      - .offset:         64
        .size:           4
        .value_kind:     by_value
      - .offset:         68
        .size:           4
        .value_kind:     by_value
      - .offset:         72
        .size:           4
        .value_kind:     by_value
      - .offset:         76
        .size:           4
        .value_kind:     by_value
      - .offset:         80
        .size:           4
        .value_kind:     by_value
      - .offset:         84
        .size:           4
        .value_kind:     by_value
      - .offset:         88
        .size:           4
        .value_kind:     by_value
      - .offset:         92
        .size:           12
        .value_kind:     by_value
      - .offset:         104
        .size:           4
        .value_kind:     by_value
      - .offset:         108
        .size:           4
        .value_kind:     by_value
      - .offset:         112
        .size:           4
        .value_kind:     by_value
      - .offset:         116
        .size:           4
        .value_kind:     by_value
      - .offset:         120
        .size:           4
        .value_kind:     by_value
      - .offset:         124
        .size:           4
        .value_kind:     by_value
      - .offset:         128
        .size:           4
        .value_kind:     by_value
      - .offset:         132
        .size:           4
        .value_kind:     by_value
      - .offset:         136
        .size:           4
        .value_kind:     by_value
      - .offset:         140
        .size:           4
        .value_kind:     by_value
      - .offset:         144
        .size:           4
        .value_kind:     by_value
      - .offset:         152
        .size:           8
        .value_kind:     by_value
      - .offset:         160
        .size:           4
        .value_kind:     by_value
      - .offset:         164
        .size:           4
        .value_kind:     by_value
      - .offset:         168
        .size:           8
        .value_kind:     by_value
      - .offset:         176
        .size:           4
        .value_kind:     by_value
      - .offset:         180
        .size:           4
        .value_kind:     by_value
      - .offset:         184
        .size:           4
        .value_kind:     by_value
      - .offset:         188
        .size:           4
        .value_kind:     by_value
      - .offset:         192
        .size:           4
        .value_kind:     by_value
      - .offset:         200
        .size:           8
        .value_kind:     by_value
      - .offset:         208
        .size:           4
        .value_kind:     hidden_block_count_x
      - .offset:         212
        .size:           4
        .value_kind:     hidden_block_count_y
      - .offset:         216
        .size:           4
        .value_kind:     hidden_block_count_z
      - .offset:         220
        .size:           2
        .value_kind:     hidden_group_size_x
      - .offset:         222
        .size:           2
        .value_kind:     hidden_group_size_y
      - .offset:         224
        .size:           2
        .value_kind:     hidden_group_size_z
      - .offset:         226
        .size:           2
        .value_kind:     hidden_remainder_x
      - .offset:         228
        .size:           2
        .value_kind:     hidden_remainder_y
      - .offset:         230
        .size:           2
        .value_kind:     hidden_remainder_z
      - .offset:         248
        .size:           8
        .value_kind:     hidden_global_offset_x
      - .offset:         256
        .size:           8
        .value_kind:     hidden_global_offset_y
      - .offset:         264
        .size:           8
        .value_kind:     hidden_global_offset_z
      - .offset:         272
        .size:           2
        .value_kind:     hidden_grid_dims
    .group_segment_fixed_size: 4736
    .kernarg_segment_align: 8
    .kernarg_segment_size: 464
    .language:       OpenCL C
    .language_version:
      - 2
      - 0
    .max_flat_workgroup_size: 64
    .name:           _ZL15flash_attn_tileILi112ELi112ELi1ELi2ELb0EEvPKcS1_S1_S1_S1_PKiPfP15HIP_vector_typeIfLj2EEffffjfiS5_IjLj3EEiiiiiiiiiiiliiliiiiil
    .private_segment_fixed_size: 0
    .sgpr_count:     46
    .sgpr_spill_count: 0
    .symbol:         _ZL15flash_attn_tileILi112ELi112ELi1ELi2ELb0EEvPKcS1_S1_S1_S1_PKiPfP15HIP_vector_typeIfLj2EEffffjfiS5_IjLj3EEiiiiiiiiiiiliiliiiiil.kd
    .uniform_work_group_size: 1
    .uses_dynamic_stack: false
    .vgpr_count:     106
    .vgpr_spill_count: 0
    .wavefront_size: 32
    .workgroup_processor_mode: 1
  - .args:
      - .address_space:  global
        .offset:         0
        .size:           8
        .value_kind:     global_buffer
      - .address_space:  global
        .offset:         8
        .size:           8
        .value_kind:     global_buffer
      - .offset:         16
        .size:           4
        .value_kind:     by_value
      - .offset:         20
        .size:           4
        .value_kind:     by_value
      - .offset:         24
        .size:           4
        .value_kind:     by_value
      - .offset:         28
        .size:           4
        .value_kind:     by_value
      - .offset:         32
        .size:           4
        .value_kind:     by_value
      - .offset:         36
        .size:           4
        .value_kind:     by_value
      - .offset:         40
        .size:           12
        .value_kind:     by_value
      - .offset:         52
        .size:           12
        .value_kind:     by_value
      - .offset:         64
        .size:           12
        .value_kind:     by_value
    .group_segment_fixed_size: 0
    .kernarg_segment_align: 8
    .kernarg_segment_size: 76
    .language:       OpenCL C
    .language_version:
      - 2
      - 0
    .max_flat_workgroup_size: 112
    .name:           _ZL33flash_attn_stream_k_fixup_uniformILi112ELi1ELi2EEvPfPK15HIP_vector_typeIfLj2EEiiiiiiS1_IjLj3EES5_S5_
    .private_segment_fixed_size: 0
    .sgpr_count:     26
    .sgpr_spill_count: 0
    .symbol:         _ZL33flash_attn_stream_k_fixup_uniformILi112ELi1ELi2EEvPfPK15HIP_vector_typeIfLj2EEiiiiiiS1_IjLj3EES5_S5_.kd
    .uniform_work_group_size: 1
    .uses_dynamic_stack: false
    .vgpr_count:     15
    .vgpr_spill_count: 0
    .wavefront_size: 32
    .workgroup_processor_mode: 1
  - .args:
      - .address_space:  global
        .offset:         0
        .size:           8
        .value_kind:     global_buffer
      - .address_space:  global
        .offset:         8
        .size:           8
        .value_kind:     global_buffer
      - .offset:         16
        .size:           4
        .value_kind:     by_value
      - .offset:         20
        .size:           4
        .value_kind:     by_value
      - .offset:         24
        .size:           4
        .value_kind:     by_value
      - .offset:         28
        .size:           4
        .value_kind:     by_value
      - .offset:         32
        .size:           12
        .value_kind:     by_value
      - .offset:         44
        .size:           12
        .value_kind:     by_value
      - .offset:         56
        .size:           12
        .value_kind:     by_value
      - .offset:         68
        .size:           12
        .value_kind:     by_value
      - .offset:         80
        .size:           4
        .value_kind:     hidden_block_count_x
      - .offset:         84
        .size:           4
        .value_kind:     hidden_block_count_y
      - .offset:         88
        .size:           4
        .value_kind:     hidden_block_count_z
      - .offset:         92
        .size:           2
        .value_kind:     hidden_group_size_x
      - .offset:         94
        .size:           2
        .value_kind:     hidden_group_size_y
      - .offset:         96
        .size:           2
        .value_kind:     hidden_group_size_z
      - .offset:         98
        .size:           2
        .value_kind:     hidden_remainder_x
      - .offset:         100
        .size:           2
        .value_kind:     hidden_remainder_y
      - .offset:         102
        .size:           2
        .value_kind:     hidden_remainder_z
      - .offset:         120
        .size:           8
        .value_kind:     hidden_global_offset_x
      - .offset:         128
        .size:           8
        .value_kind:     hidden_global_offset_y
      - .offset:         136
        .size:           8
        .value_kind:     hidden_global_offset_z
      - .offset:         144
        .size:           2
        .value_kind:     hidden_grid_dims
    .group_segment_fixed_size: 0
    .kernarg_segment_align: 8
    .kernarg_segment_size: 336
    .language:       OpenCL C
    .language_version:
      - 2
      - 0
    .max_flat_workgroup_size: 112
    .name:           _ZL33flash_attn_stream_k_fixup_generalILi112ELi1ELi2EEvPfPK15HIP_vector_typeIfLj2EEiiiiS1_IjLj3EES5_S5_S5_
    .private_segment_fixed_size: 0
    .sgpr_count:     33
    .sgpr_spill_count: 0
    .symbol:         _ZL33flash_attn_stream_k_fixup_generalILi112ELi1ELi2EEvPfPK15HIP_vector_typeIfLj2EEiiiiS1_IjLj3EES5_S5_S5_.kd
    .uniform_work_group_size: 1
    .uses_dynamic_stack: false
    .vgpr_count:     17
    .vgpr_spill_count: 0
    .wavefront_size: 32
    .workgroup_processor_mode: 1
  - .args:
      - .address_space:  global
        .offset:         0
        .size:           8
        .value_kind:     global_buffer
      - .address_space:  global
        .offset:         8
        .size:           8
        .value_kind:     global_buffer
      - .address_space:  global
        .offset:         16
        .size:           8
        .value_kind:     global_buffer
      - .address_space:  global
        .offset:         24
        .size:           8
        .value_kind:     global_buffer
      - .address_space:  global
        .offset:         32
        .size:           8
        .value_kind:     global_buffer
      - .address_space:  global
        .offset:         40
        .size:           8
        .value_kind:     global_buffer
      - .address_space:  global
        .offset:         48
        .size:           8
        .value_kind:     global_buffer
      - .address_space:  global
        .offset:         56
        .size:           8
        .value_kind:     global_buffer
      - .offset:         64
        .size:           4
        .value_kind:     by_value
      - .offset:         68
        .size:           4
        .value_kind:     by_value
      - .offset:         72
        .size:           4
        .value_kind:     by_value
      - .offset:         76
        .size:           4
        .value_kind:     by_value
      - .offset:         80
        .size:           4
        .value_kind:     by_value
      - .offset:         84
        .size:           4
        .value_kind:     by_value
      - .offset:         88
        .size:           4
        .value_kind:     by_value
      - .offset:         92
        .size:           12
        .value_kind:     by_value
      - .offset:         104
        .size:           4
        .value_kind:     by_value
      - .offset:         108
        .size:           4
        .value_kind:     by_value
      - .offset:         112
        .size:           4
        .value_kind:     by_value
      - .offset:         116
        .size:           4
        .value_kind:     by_value
      - .offset:         120
        .size:           4
        .value_kind:     by_value
      - .offset:         124
        .size:           4
        .value_kind:     by_value
      - .offset:         128
        .size:           4
        .value_kind:     by_value
      - .offset:         132
        .size:           4
        .value_kind:     by_value
      - .offset:         136
        .size:           4
        .value_kind:     by_value
      - .offset:         140
        .size:           4
        .value_kind:     by_value
      - .offset:         144
        .size:           4
        .value_kind:     by_value
      - .offset:         152
        .size:           8
        .value_kind:     by_value
      - .offset:         160
        .size:           4
        .value_kind:     by_value
      - .offset:         164
        .size:           4
        .value_kind:     by_value
      - .offset:         168
        .size:           8
        .value_kind:     by_value
      - .offset:         176
        .size:           4
        .value_kind:     by_value
      - .offset:         180
        .size:           4
        .value_kind:     by_value
      - .offset:         184
        .size:           4
        .value_kind:     by_value
      - .offset:         188
        .size:           4
        .value_kind:     by_value
      - .offset:         192
        .size:           4
        .value_kind:     by_value
      - .offset:         200
        .size:           8
        .value_kind:     by_value
      - .offset:         208
        .size:           4
        .value_kind:     hidden_block_count_x
      - .offset:         212
        .size:           4
        .value_kind:     hidden_block_count_y
      - .offset:         216
        .size:           4
        .value_kind:     hidden_block_count_z
      - .offset:         220
        .size:           2
        .value_kind:     hidden_group_size_x
      - .offset:         222
        .size:           2
        .value_kind:     hidden_group_size_y
      - .offset:         224
        .size:           2
        .value_kind:     hidden_group_size_z
      - .offset:         226
        .size:           2
        .value_kind:     hidden_remainder_x
      - .offset:         228
        .size:           2
        .value_kind:     hidden_remainder_y
      - .offset:         230
        .size:           2
        .value_kind:     hidden_remainder_z
      - .offset:         248
        .size:           8
        .value_kind:     hidden_global_offset_x
      - .offset:         256
        .size:           8
        .value_kind:     hidden_global_offset_y
      - .offset:         264
        .size:           8
        .value_kind:     hidden_global_offset_z
      - .offset:         272
        .size:           2
        .value_kind:     hidden_grid_dims
    .group_segment_fixed_size: 22592
    .kernarg_segment_align: 8
    .kernarg_segment_size: 464
    .language:       OpenCL C
    .language_version:
      - 2
      - 0
    .max_flat_workgroup_size: 256
    .name:           _ZL15flash_attn_tileILi112ELi112ELi64ELi1ELb0EEvPKcS1_S1_S1_S1_PKiPfP15HIP_vector_typeIfLj2EEffffjfiS5_IjLj3EEiiiiiiiiiiiliiliiiiil
    .private_segment_fixed_size: 32
    .sgpr_count:     66
    .sgpr_spill_count: 0
    .symbol:         _ZL15flash_attn_tileILi112ELi112ELi64ELi1ELb0EEvPKcS1_S1_S1_S1_PKiPfP15HIP_vector_typeIfLj2EEffffjfiS5_IjLj3EEiiiiiiiiiiiliiliiiiil.kd
    .uniform_work_group_size: 1
    .uses_dynamic_stack: false
    .vgpr_count:     247
    .vgpr_spill_count: 0
    .wavefront_size: 32
    .workgroup_processor_mode: 1
  - .args:
      - .actual_access:  read_only
        .address_space:  global
        .offset:         0
        .size:           8
        .value_kind:     global_buffer
      - .actual_access:  write_only
        .address_space:  global
        .offset:         8
        .size:           8
        .value_kind:     global_buffer
      - .offset:         16
        .size:           4
        .value_kind:     by_value
      - .offset:         20
        .size:           4
        .value_kind:     by_value
      - .offset:         24
        .size:           4
        .value_kind:     by_value
      - .offset:         32
        .size:           4
        .value_kind:     hidden_block_count_x
      - .offset:         36
        .size:           4
        .value_kind:     hidden_block_count_y
      - .offset:         40
        .size:           4
        .value_kind:     hidden_block_count_z
      - .offset:         44
        .size:           2
        .value_kind:     hidden_group_size_x
      - .offset:         46
        .size:           2
        .value_kind:     hidden_group_size_y
      - .offset:         48
        .size:           2
        .value_kind:     hidden_group_size_z
      - .offset:         50
        .size:           2
        .value_kind:     hidden_remainder_x
      - .offset:         52
        .size:           2
        .value_kind:     hidden_remainder_y
      - .offset:         54
        .size:           2
        .value_kind:     hidden_remainder_z
      - .offset:         72
        .size:           8
        .value_kind:     hidden_global_offset_x
      - .offset:         80
        .size:           8
        .value_kind:     hidden_global_offset_y
      - .offset:         88
        .size:           8
        .value_kind:     hidden_global_offset_z
      - .offset:         96
        .size:           2
        .value_kind:     hidden_grid_dims
    .group_segment_fixed_size: 128
    .kernarg_segment_align: 8
    .kernarg_segment_size: 288
    .language:       OpenCL C
    .language_version:
      - 2
      - 0
    .max_flat_workgroup_size: 128
    .name:           _ZL25flash_attn_mask_to_KV_maxILi64EEvPK7__half2Piiii
    .private_segment_fixed_size: 0
    .sgpr_count:     107
    .sgpr_spill_count: 37
    .symbol:         _ZL25flash_attn_mask_to_KV_maxILi64EEvPK7__half2Piiii.kd
    .uniform_work_group_size: 1
    .uses_dynamic_stack: false
    .vgpr_count:     12
    .vgpr_spill_count: 0
    .wavefront_size: 32
    .workgroup_processor_mode: 1
  - .args:
      - .address_space:  global
        .offset:         0
        .size:           8
        .value_kind:     global_buffer
      - .address_space:  global
        .offset:         8
        .size:           8
        .value_kind:     global_buffer
      - .offset:         16
        .size:           4
        .value_kind:     by_value
      - .offset:         20
        .size:           4
        .value_kind:     by_value
      - .offset:         24
        .size:           4
        .value_kind:     by_value
      - .offset:         28
        .size:           4
        .value_kind:     by_value
      - .offset:         32
        .size:           4
        .value_kind:     by_value
      - .offset:         36
        .size:           4
        .value_kind:     by_value
      - .offset:         40
        .size:           12
        .value_kind:     by_value
      - .offset:         52
        .size:           12
        .value_kind:     by_value
      - .offset:         64
        .size:           12
        .value_kind:     by_value
    .group_segment_fixed_size: 0
    .kernarg_segment_align: 8
    .kernarg_segment_size: 76
    .language:       OpenCL C
    .language_version:
      - 2
      - 0
    .max_flat_workgroup_size: 112
    .name:           _ZL33flash_attn_stream_k_fixup_uniformILi112ELi64ELi1EEvPfPK15HIP_vector_typeIfLj2EEiiiiiiS1_IjLj3EES5_S5_
    .private_segment_fixed_size: 0
    .sgpr_count:     26
    .sgpr_spill_count: 0
    .symbol:         _ZL33flash_attn_stream_k_fixup_uniformILi112ELi64ELi1EEvPfPK15HIP_vector_typeIfLj2EEiiiiiiS1_IjLj3EES5_S5_.kd
    .uniform_work_group_size: 1
    .uses_dynamic_stack: false
    .vgpr_count:     15
    .vgpr_spill_count: 0
    .wavefront_size: 32
    .workgroup_processor_mode: 1
  - .args:
      - .address_space:  global
        .offset:         0
        .size:           8
        .value_kind:     global_buffer
      - .address_space:  global
        .offset:         8
        .size:           8
        .value_kind:     global_buffer
      - .offset:         16
        .size:           4
        .value_kind:     by_value
      - .offset:         20
        .size:           4
        .value_kind:     by_value
      - .offset:         24
        .size:           4
        .value_kind:     by_value
      - .offset:         28
        .size:           4
        .value_kind:     by_value
      - .offset:         32
        .size:           12
        .value_kind:     by_value
      - .offset:         44
        .size:           12
        .value_kind:     by_value
      - .offset:         56
        .size:           12
        .value_kind:     by_value
      - .offset:         68
        .size:           12
        .value_kind:     by_value
      - .offset:         80
        .size:           4
        .value_kind:     hidden_block_count_x
      - .offset:         84
        .size:           4
        .value_kind:     hidden_block_count_y
      - .offset:         88
        .size:           4
        .value_kind:     hidden_block_count_z
      - .offset:         92
        .size:           2
        .value_kind:     hidden_group_size_x
      - .offset:         94
        .size:           2
        .value_kind:     hidden_group_size_y
      - .offset:         96
        .size:           2
        .value_kind:     hidden_group_size_z
      - .offset:         98
        .size:           2
        .value_kind:     hidden_remainder_x
      - .offset:         100
        .size:           2
        .value_kind:     hidden_remainder_y
      - .offset:         102
        .size:           2
        .value_kind:     hidden_remainder_z
      - .offset:         120
        .size:           8
        .value_kind:     hidden_global_offset_x
      - .offset:         128
        .size:           8
        .value_kind:     hidden_global_offset_y
      - .offset:         136
        .size:           8
        .value_kind:     hidden_global_offset_z
      - .offset:         144
        .size:           2
        .value_kind:     hidden_grid_dims
    .group_segment_fixed_size: 0
    .kernarg_segment_align: 8
    .kernarg_segment_size: 336
    .language:       OpenCL C
    .language_version:
      - 2
      - 0
    .max_flat_workgroup_size: 112
    .name:           _ZL33flash_attn_stream_k_fixup_generalILi112ELi64ELi1EEvPfPK15HIP_vector_typeIfLj2EEiiiiS1_IjLj3EES5_S5_S5_
    .private_segment_fixed_size: 0
    .sgpr_count:     33
    .sgpr_spill_count: 0
    .symbol:         _ZL33flash_attn_stream_k_fixup_generalILi112ELi64ELi1EEvPfPK15HIP_vector_typeIfLj2EEiiiiS1_IjLj3EES5_S5_S5_.kd
    .uniform_work_group_size: 1
    .uses_dynamic_stack: false
    .vgpr_count:     17
    .vgpr_spill_count: 0
    .wavefront_size: 32
    .workgroup_processor_mode: 1
  - .args:
      - .address_space:  global
        .offset:         0
        .size:           8
        .value_kind:     global_buffer
      - .address_space:  global
        .offset:         8
        .size:           8
        .value_kind:     global_buffer
      - .address_space:  global
        .offset:         16
        .size:           8
        .value_kind:     global_buffer
      - .address_space:  global
        .offset:         24
        .size:           8
        .value_kind:     global_buffer
      - .address_space:  global
        .offset:         32
        .size:           8
        .value_kind:     global_buffer
      - .address_space:  global
        .offset:         40
        .size:           8
        .value_kind:     global_buffer
      - .address_space:  global
        .offset:         48
        .size:           8
        .value_kind:     global_buffer
      - .address_space:  global
        .offset:         56
        .size:           8
        .value_kind:     global_buffer
      - .offset:         64
        .size:           4
        .value_kind:     by_value
      - .offset:         68
        .size:           4
        .value_kind:     by_value
      - .offset:         72
        .size:           4
        .value_kind:     by_value
      - .offset:         76
        .size:           4
        .value_kind:     by_value
      - .offset:         80
        .size:           4
        .value_kind:     by_value
      - .offset:         84
        .size:           4
        .value_kind:     by_value
      - .offset:         88
        .size:           4
        .value_kind:     by_value
      - .offset:         92
        .size:           12
        .value_kind:     by_value
      - .offset:         104
        .size:           4
        .value_kind:     by_value
      - .offset:         108
        .size:           4
        .value_kind:     by_value
      - .offset:         112
        .size:           4
        .value_kind:     by_value
      - .offset:         116
        .size:           4
        .value_kind:     by_value
      - .offset:         120
        .size:           4
        .value_kind:     by_value
      - .offset:         124
        .size:           4
        .value_kind:     by_value
      - .offset:         128
        .size:           4
        .value_kind:     by_value
      - .offset:         132
        .size:           4
        .value_kind:     by_value
      - .offset:         136
        .size:           4
        .value_kind:     by_value
      - .offset:         140
        .size:           4
        .value_kind:     by_value
      - .offset:         144
        .size:           4
        .value_kind:     by_value
      - .offset:         152
        .size:           8
        .value_kind:     by_value
      - .offset:         160
        .size:           4
        .value_kind:     by_value
      - .offset:         164
        .size:           4
        .value_kind:     by_value
      - .offset:         168
        .size:           8
        .value_kind:     by_value
      - .offset:         176
        .size:           4
        .value_kind:     by_value
      - .offset:         180
        .size:           4
        .value_kind:     by_value
      - .offset:         184
        .size:           4
        .value_kind:     by_value
      - .offset:         188
        .size:           4
        .value_kind:     by_value
      - .offset:         192
        .size:           4
        .value_kind:     by_value
      - .offset:         200
        .size:           8
        .value_kind:     by_value
      - .offset:         208
        .size:           4
        .value_kind:     hidden_block_count_x
      - .offset:         212
        .size:           4
        .value_kind:     hidden_block_count_y
      - .offset:         216
        .size:           4
        .value_kind:     hidden_block_count_z
      - .offset:         220
        .size:           2
        .value_kind:     hidden_group_size_x
      - .offset:         222
        .size:           2
        .value_kind:     hidden_group_size_y
      - .offset:         224
        .size:           2
        .value_kind:     hidden_group_size_z
      - .offset:         226
        .size:           2
        .value_kind:     hidden_remainder_x
      - .offset:         228
        .size:           2
        .value_kind:     hidden_remainder_y
      - .offset:         230
        .size:           2
        .value_kind:     hidden_remainder_z
      - .offset:         248
        .size:           8
        .value_kind:     hidden_global_offset_x
      - .offset:         256
        .size:           8
        .value_kind:     hidden_global_offset_y
      - .offset:         264
        .size:           8
        .value_kind:     hidden_global_offset_z
      - .offset:         272
        .size:           2
        .value_kind:     hidden_grid_dims
    .group_segment_fixed_size: 13376
    .kernarg_segment_align: 8
    .kernarg_segment_size: 464
    .language:       OpenCL C
    .language_version:
      - 2
      - 0
    .max_flat_workgroup_size: 256
    .name:           _ZL15flash_attn_tileILi112ELi112ELi32ELi1ELb0EEvPKcS1_S1_S1_S1_PKiPfP15HIP_vector_typeIfLj2EEffffjfiS5_IjLj3EEiiiiiiiiiiiliiliiiiil
    .private_segment_fixed_size: 32
    .sgpr_count:     58
    .sgpr_spill_count: 0
    .symbol:         _ZL15flash_attn_tileILi112ELi112ELi32ELi1ELb0EEvPKcS1_S1_S1_S1_PKiPfP15HIP_vector_typeIfLj2EEffffjfiS5_IjLj3EEiiiiiiiiiiiliiliiiiil.kd
    .uniform_work_group_size: 1
    .uses_dynamic_stack: false
    .vgpr_count:     172
    .vgpr_spill_count: 0
    .wavefront_size: 32
    .workgroup_processor_mode: 1
  - .args:
      - .address_space:  global
        .offset:         0
        .size:           8
        .value_kind:     global_buffer
      - .address_space:  global
        .offset:         8
        .size:           8
        .value_kind:     global_buffer
      - .offset:         16
        .size:           4
        .value_kind:     by_value
      - .offset:         20
        .size:           4
        .value_kind:     by_value
      - .offset:         24
        .size:           4
        .value_kind:     by_value
      - .offset:         28
        .size:           4
        .value_kind:     by_value
      - .offset:         32
        .size:           4
        .value_kind:     by_value
      - .offset:         36
        .size:           4
        .value_kind:     by_value
      - .offset:         40
        .size:           12
        .value_kind:     by_value
      - .offset:         52
        .size:           12
        .value_kind:     by_value
      - .offset:         64
        .size:           12
        .value_kind:     by_value
    .group_segment_fixed_size: 0
    .kernarg_segment_align: 8
    .kernarg_segment_size: 76
    .language:       OpenCL C
    .language_version:
      - 2
      - 0
    .max_flat_workgroup_size: 112
    .name:           _ZL33flash_attn_stream_k_fixup_uniformILi112ELi32ELi1EEvPfPK15HIP_vector_typeIfLj2EEiiiiiiS1_IjLj3EES5_S5_
    .private_segment_fixed_size: 0
    .sgpr_count:     26
    .sgpr_spill_count: 0
    .symbol:         _ZL33flash_attn_stream_k_fixup_uniformILi112ELi32ELi1EEvPfPK15HIP_vector_typeIfLj2EEiiiiiiS1_IjLj3EES5_S5_.kd
    .uniform_work_group_size: 1
    .uses_dynamic_stack: false
    .vgpr_count:     15
    .vgpr_spill_count: 0
    .wavefront_size: 32
    .workgroup_processor_mode: 1
  - .args:
      - .address_space:  global
        .offset:         0
        .size:           8
        .value_kind:     global_buffer
      - .address_space:  global
        .offset:         8
        .size:           8
        .value_kind:     global_buffer
      - .offset:         16
        .size:           4
        .value_kind:     by_value
      - .offset:         20
        .size:           4
        .value_kind:     by_value
      - .offset:         24
        .size:           4
        .value_kind:     by_value
      - .offset:         28
        .size:           4
        .value_kind:     by_value
      - .offset:         32
        .size:           12
        .value_kind:     by_value
      - .offset:         44
        .size:           12
        .value_kind:     by_value
      - .offset:         56
        .size:           12
        .value_kind:     by_value
      - .offset:         68
        .size:           12
        .value_kind:     by_value
      - .offset:         80
        .size:           4
        .value_kind:     hidden_block_count_x
      - .offset:         84
        .size:           4
        .value_kind:     hidden_block_count_y
      - .offset:         88
        .size:           4
        .value_kind:     hidden_block_count_z
      - .offset:         92
        .size:           2
        .value_kind:     hidden_group_size_x
      - .offset:         94
        .size:           2
        .value_kind:     hidden_group_size_y
      - .offset:         96
        .size:           2
        .value_kind:     hidden_group_size_z
      - .offset:         98
        .size:           2
        .value_kind:     hidden_remainder_x
      - .offset:         100
        .size:           2
        .value_kind:     hidden_remainder_y
      - .offset:         102
        .size:           2
        .value_kind:     hidden_remainder_z
      - .offset:         120
        .size:           8
        .value_kind:     hidden_global_offset_x
      - .offset:         128
        .size:           8
        .value_kind:     hidden_global_offset_y
      - .offset:         136
        .size:           8
        .value_kind:     hidden_global_offset_z
      - .offset:         144
        .size:           2
        .value_kind:     hidden_grid_dims
    .group_segment_fixed_size: 0
    .kernarg_segment_align: 8
    .kernarg_segment_size: 336
    .language:       OpenCL C
    .language_version:
      - 2
      - 0
    .max_flat_workgroup_size: 112
    .name:           _ZL33flash_attn_stream_k_fixup_generalILi112ELi32ELi1EEvPfPK15HIP_vector_typeIfLj2EEiiiiS1_IjLj3EES5_S5_S5_
    .private_segment_fixed_size: 0
    .sgpr_count:     33
    .sgpr_spill_count: 0
    .symbol:         _ZL33flash_attn_stream_k_fixup_generalILi112ELi32ELi1EEvPfPK15HIP_vector_typeIfLj2EEiiiiS1_IjLj3EES5_S5_S5_.kd
    .uniform_work_group_size: 1
    .uses_dynamic_stack: false
    .vgpr_count:     17
    .vgpr_spill_count: 0
    .wavefront_size: 32
    .workgroup_processor_mode: 1
  - .args:
      - .address_space:  global
        .offset:         0
        .size:           8
        .value_kind:     global_buffer
      - .address_space:  global
        .offset:         8
        .size:           8
        .value_kind:     global_buffer
      - .address_space:  global
        .offset:         16
        .size:           8
        .value_kind:     global_buffer
      - .address_space:  global
        .offset:         24
        .size:           8
        .value_kind:     global_buffer
      - .address_space:  global
        .offset:         32
        .size:           8
        .value_kind:     global_buffer
      - .address_space:  global
        .offset:         40
        .size:           8
        .value_kind:     global_buffer
      - .address_space:  global
        .offset:         48
        .size:           8
        .value_kind:     global_buffer
      - .address_space:  global
        .offset:         56
        .size:           8
        .value_kind:     global_buffer
      - .offset:         64
        .size:           4
        .value_kind:     by_value
      - .offset:         68
        .size:           4
        .value_kind:     by_value
      - .offset:         72
        .size:           4
        .value_kind:     by_value
      - .offset:         76
        .size:           4
        .value_kind:     by_value
      - .offset:         80
        .size:           4
        .value_kind:     by_value
      - .offset:         84
        .size:           4
        .value_kind:     by_value
      - .offset:         88
        .size:           4
        .value_kind:     by_value
      - .offset:         92
        .size:           12
        .value_kind:     by_value
      - .offset:         104
        .size:           4
        .value_kind:     by_value
      - .offset:         108
        .size:           4
        .value_kind:     by_value
      - .offset:         112
        .size:           4
        .value_kind:     by_value
      - .offset:         116
        .size:           4
        .value_kind:     by_value
      - .offset:         120
        .size:           4
        .value_kind:     by_value
      - .offset:         124
        .size:           4
        .value_kind:     by_value
      - .offset:         128
        .size:           4
        .value_kind:     by_value
      - .offset:         132
        .size:           4
        .value_kind:     by_value
      - .offset:         136
        .size:           4
        .value_kind:     by_value
      - .offset:         140
        .size:           4
        .value_kind:     by_value
      - .offset:         144
        .size:           4
        .value_kind:     by_value
      - .offset:         152
        .size:           8
        .value_kind:     by_value
      - .offset:         160
        .size:           4
        .value_kind:     by_value
      - .offset:         164
        .size:           4
        .value_kind:     by_value
      - .offset:         168
        .size:           8
        .value_kind:     by_value
      - .offset:         176
        .size:           4
        .value_kind:     by_value
      - .offset:         180
        .size:           4
        .value_kind:     by_value
      - .offset:         184
        .size:           4
        .value_kind:     by_value
      - .offset:         188
        .size:           4
        .value_kind:     by_value
      - .offset:         192
        .size:           4
        .value_kind:     by_value
      - .offset:         200
        .size:           8
        .value_kind:     by_value
      - .offset:         208
        .size:           4
        .value_kind:     hidden_block_count_x
      - .offset:         212
        .size:           4
        .value_kind:     hidden_block_count_y
      - .offset:         216
        .size:           4
        .value_kind:     hidden_block_count_z
      - .offset:         220
        .size:           2
        .value_kind:     hidden_group_size_x
      - .offset:         222
        .size:           2
        .value_kind:     hidden_group_size_y
      - .offset:         224
        .size:           2
        .value_kind:     hidden_group_size_z
      - .offset:         226
        .size:           2
        .value_kind:     hidden_remainder_x
      - .offset:         228
        .size:           2
        .value_kind:     hidden_remainder_y
      - .offset:         230
        .size:           2
        .value_kind:     hidden_remainder_z
      - .offset:         248
        .size:           8
        .value_kind:     hidden_global_offset_x
      - .offset:         256
        .size:           8
        .value_kind:     hidden_global_offset_y
      - .offset:         264
        .size:           8
        .value_kind:     hidden_global_offset_z
      - .offset:         272
        .size:           2
        .value_kind:     hidden_grid_dims
    .group_segment_fixed_size: 8768
    .kernarg_segment_align: 8
    .kernarg_segment_size: 464
    .language:       OpenCL C
    .language_version:
      - 2
      - 0
    .max_flat_workgroup_size: 256
    .name:           _ZL15flash_attn_tileILi112ELi112ELi16ELi1ELb0EEvPKcS1_S1_S1_S1_PKiPfP15HIP_vector_typeIfLj2EEffffjfiS5_IjLj3EEiiiiiiiiiiiliiliiiiil
    .private_segment_fixed_size: 32
    .sgpr_count:     54
    .sgpr_spill_count: 0
    .symbol:         _ZL15flash_attn_tileILi112ELi112ELi16ELi1ELb0EEvPKcS1_S1_S1_S1_PKiPfP15HIP_vector_typeIfLj2EEffffjfiS5_IjLj3EEiiiiiiiiiiiliiliiiiil.kd
    .uniform_work_group_size: 1
    .uses_dynamic_stack: false
    .vgpr_count:     122
    .vgpr_spill_count: 0
    .wavefront_size: 32
    .workgroup_processor_mode: 1
  - .args:
      - .address_space:  global
        .offset:         0
        .size:           8
        .value_kind:     global_buffer
      - .address_space:  global
        .offset:         8
        .size:           8
        .value_kind:     global_buffer
      - .offset:         16
        .size:           4
        .value_kind:     by_value
      - .offset:         20
        .size:           4
        .value_kind:     by_value
      - .offset:         24
        .size:           4
        .value_kind:     by_value
      - .offset:         28
        .size:           4
        .value_kind:     by_value
      - .offset:         32
        .size:           4
        .value_kind:     by_value
      - .offset:         36
        .size:           4
        .value_kind:     by_value
      - .offset:         40
        .size:           12
        .value_kind:     by_value
      - .offset:         52
        .size:           12
        .value_kind:     by_value
      - .offset:         64
        .size:           12
        .value_kind:     by_value
    .group_segment_fixed_size: 0
    .kernarg_segment_align: 8
    .kernarg_segment_size: 76
    .language:       OpenCL C
    .language_version:
      - 2
      - 0
    .max_flat_workgroup_size: 112
    .name:           _ZL33flash_attn_stream_k_fixup_uniformILi112ELi16ELi1EEvPfPK15HIP_vector_typeIfLj2EEiiiiiiS1_IjLj3EES5_S5_
    .private_segment_fixed_size: 0
    .sgpr_count:     26
    .sgpr_spill_count: 0
    .symbol:         _ZL33flash_attn_stream_k_fixup_uniformILi112ELi16ELi1EEvPfPK15HIP_vector_typeIfLj2EEiiiiiiS1_IjLj3EES5_S5_.kd
    .uniform_work_group_size: 1
    .uses_dynamic_stack: false
    .vgpr_count:     15
    .vgpr_spill_count: 0
    .wavefront_size: 32
    .workgroup_processor_mode: 1
  - .args:
      - .address_space:  global
        .offset:         0
        .size:           8
        .value_kind:     global_buffer
      - .address_space:  global
        .offset:         8
        .size:           8
        .value_kind:     global_buffer
      - .offset:         16
        .size:           4
        .value_kind:     by_value
      - .offset:         20
        .size:           4
        .value_kind:     by_value
      - .offset:         24
        .size:           4
        .value_kind:     by_value
      - .offset:         28
        .size:           4
        .value_kind:     by_value
      - .offset:         32
        .size:           12
        .value_kind:     by_value
      - .offset:         44
        .size:           12
        .value_kind:     by_value
      - .offset:         56
        .size:           12
        .value_kind:     by_value
      - .offset:         68
        .size:           12
        .value_kind:     by_value
      - .offset:         80
        .size:           4
        .value_kind:     hidden_block_count_x
      - .offset:         84
        .size:           4
        .value_kind:     hidden_block_count_y
      - .offset:         88
        .size:           4
        .value_kind:     hidden_block_count_z
      - .offset:         92
        .size:           2
        .value_kind:     hidden_group_size_x
      - .offset:         94
        .size:           2
        .value_kind:     hidden_group_size_y
      - .offset:         96
        .size:           2
        .value_kind:     hidden_group_size_z
      - .offset:         98
        .size:           2
        .value_kind:     hidden_remainder_x
      - .offset:         100
        .size:           2
        .value_kind:     hidden_remainder_y
      - .offset:         102
        .size:           2
        .value_kind:     hidden_remainder_z
      - .offset:         120
        .size:           8
        .value_kind:     hidden_global_offset_x
      - .offset:         128
        .size:           8
        .value_kind:     hidden_global_offset_y
      - .offset:         136
        .size:           8
        .value_kind:     hidden_global_offset_z
      - .offset:         144
        .size:           2
        .value_kind:     hidden_grid_dims
    .group_segment_fixed_size: 0
    .kernarg_segment_align: 8
    .kernarg_segment_size: 336
    .language:       OpenCL C
    .language_version:
      - 2
      - 0
    .max_flat_workgroup_size: 112
    .name:           _ZL33flash_attn_stream_k_fixup_generalILi112ELi16ELi1EEvPfPK15HIP_vector_typeIfLj2EEiiiiS1_IjLj3EES5_S5_S5_
    .private_segment_fixed_size: 0
    .sgpr_count:     33
    .sgpr_spill_count: 0
    .symbol:         _ZL33flash_attn_stream_k_fixup_generalILi112ELi16ELi1EEvPfPK15HIP_vector_typeIfLj2EEiiiiS1_IjLj3EES5_S5_S5_.kd
    .uniform_work_group_size: 1
    .uses_dynamic_stack: false
    .vgpr_count:     17
    .vgpr_spill_count: 0
    .wavefront_size: 32
    .workgroup_processor_mode: 1
  - .args:
      - .address_space:  global
        .offset:         0
        .size:           8
        .value_kind:     global_buffer
      - .address_space:  global
        .offset:         8
        .size:           8
        .value_kind:     global_buffer
      - .address_space:  global
        .offset:         16
        .size:           8
        .value_kind:     global_buffer
      - .address_space:  global
        .offset:         24
        .size:           8
        .value_kind:     global_buffer
      - .address_space:  global
        .offset:         32
        .size:           8
        .value_kind:     global_buffer
      - .address_space:  global
        .offset:         40
        .size:           8
        .value_kind:     global_buffer
      - .address_space:  global
        .offset:         48
        .size:           8
        .value_kind:     global_buffer
      - .address_space:  global
        .offset:         56
        .size:           8
        .value_kind:     global_buffer
      - .offset:         64
        .size:           4
        .value_kind:     by_value
      - .offset:         68
        .size:           4
        .value_kind:     by_value
      - .offset:         72
        .size:           4
        .value_kind:     by_value
      - .offset:         76
        .size:           4
        .value_kind:     by_value
      - .offset:         80
        .size:           4
        .value_kind:     by_value
      - .offset:         84
        .size:           4
        .value_kind:     by_value
      - .offset:         88
        .size:           4
        .value_kind:     by_value
      - .offset:         92
        .size:           12
        .value_kind:     by_value
      - .offset:         104
        .size:           4
        .value_kind:     by_value
      - .offset:         108
        .size:           4
        .value_kind:     by_value
      - .offset:         112
        .size:           4
        .value_kind:     by_value
      - .offset:         116
        .size:           4
        .value_kind:     by_value
      - .offset:         120
        .size:           4
        .value_kind:     by_value
      - .offset:         124
        .size:           4
        .value_kind:     by_value
      - .offset:         128
        .size:           4
        .value_kind:     by_value
      - .offset:         132
        .size:           4
        .value_kind:     by_value
      - .offset:         136
        .size:           4
        .value_kind:     by_value
      - .offset:         140
        .size:           4
        .value_kind:     by_value
      - .offset:         144
        .size:           4
        .value_kind:     by_value
      - .offset:         152
        .size:           8
        .value_kind:     by_value
      - .offset:         160
        .size:           4
        .value_kind:     by_value
      - .offset:         164
        .size:           4
        .value_kind:     by_value
      - .offset:         168
        .size:           8
        .value_kind:     by_value
      - .offset:         176
        .size:           4
        .value_kind:     by_value
      - .offset:         180
        .size:           4
        .value_kind:     by_value
      - .offset:         184
        .size:           4
        .value_kind:     by_value
      - .offset:         188
        .size:           4
        .value_kind:     by_value
      - .offset:         192
        .size:           4
        .value_kind:     by_value
      - .offset:         200
        .size:           8
        .value_kind:     by_value
      - .offset:         208
        .size:           4
        .value_kind:     hidden_block_count_x
      - .offset:         212
        .size:           4
        .value_kind:     hidden_block_count_y
      - .offset:         216
        .size:           4
        .value_kind:     hidden_block_count_z
      - .offset:         220
        .size:           2
        .value_kind:     hidden_group_size_x
      - .offset:         222
        .size:           2
        .value_kind:     hidden_group_size_y
      - .offset:         224
        .size:           2
        .value_kind:     hidden_group_size_z
      - .offset:         226
        .size:           2
        .value_kind:     hidden_remainder_x
      - .offset:         228
        .size:           2
        .value_kind:     hidden_remainder_y
      - .offset:         230
        .size:           2
        .value_kind:     hidden_remainder_z
      - .offset:         248
        .size:           8
        .value_kind:     hidden_global_offset_x
      - .offset:         256
        .size:           8
        .value_kind:     hidden_global_offset_y
      - .offset:         264
        .size:           8
        .value_kind:     hidden_global_offset_z
      - .offset:         272
        .size:           2
        .value_kind:     hidden_grid_dims
    .group_segment_fixed_size: 6464
    .kernarg_segment_align: 8
    .kernarg_segment_size: 464
    .language:       OpenCL C
    .language_version:
      - 2
      - 0
    .max_flat_workgroup_size: 256
    .name:           _ZL15flash_attn_tileILi112ELi112ELi8ELi1ELb0EEvPKcS1_S1_S1_S1_PKiPfP15HIP_vector_typeIfLj2EEffffjfiS5_IjLj3EEiiiiiiiiiiiliiliiiiil
    .private_segment_fixed_size: 32
    .sgpr_count:     54
    .sgpr_spill_count: 0
    .symbol:         _ZL15flash_attn_tileILi112ELi112ELi8ELi1ELb0EEvPKcS1_S1_S1_S1_PKiPfP15HIP_vector_typeIfLj2EEffffjfiS5_IjLj3EEiiiiiiiiiiiliiliiiiil.kd
    .uniform_work_group_size: 1
    .uses_dynamic_stack: false
    .vgpr_count:     91
    .vgpr_spill_count: 0
    .wavefront_size: 32
    .workgroup_processor_mode: 1
  - .args:
      - .address_space:  global
        .offset:         0
        .size:           8
        .value_kind:     global_buffer
      - .address_space:  global
        .offset:         8
        .size:           8
        .value_kind:     global_buffer
      - .offset:         16
        .size:           4
        .value_kind:     by_value
      - .offset:         20
        .size:           4
        .value_kind:     by_value
      - .offset:         24
        .size:           4
        .value_kind:     by_value
      - .offset:         28
        .size:           4
        .value_kind:     by_value
      - .offset:         32
        .size:           4
        .value_kind:     by_value
      - .offset:         36
        .size:           4
        .value_kind:     by_value
      - .offset:         40
        .size:           12
        .value_kind:     by_value
      - .offset:         52
        .size:           12
        .value_kind:     by_value
      - .offset:         64
        .size:           12
        .value_kind:     by_value
    .group_segment_fixed_size: 0
    .kernarg_segment_align: 8
    .kernarg_segment_size: 76
    .language:       OpenCL C
    .language_version:
      - 2
      - 0
    .max_flat_workgroup_size: 112
    .name:           _ZL33flash_attn_stream_k_fixup_uniformILi112ELi8ELi1EEvPfPK15HIP_vector_typeIfLj2EEiiiiiiS1_IjLj3EES5_S5_
    .private_segment_fixed_size: 0
    .sgpr_count:     26
    .sgpr_spill_count: 0
    .symbol:         _ZL33flash_attn_stream_k_fixup_uniformILi112ELi8ELi1EEvPfPK15HIP_vector_typeIfLj2EEiiiiiiS1_IjLj3EES5_S5_.kd
    .uniform_work_group_size: 1
    .uses_dynamic_stack: false
    .vgpr_count:     15
    .vgpr_spill_count: 0
    .wavefront_size: 32
    .workgroup_processor_mode: 1
  - .args:
      - .address_space:  global
        .offset:         0
        .size:           8
        .value_kind:     global_buffer
      - .address_space:  global
        .offset:         8
        .size:           8
        .value_kind:     global_buffer
      - .offset:         16
        .size:           4
        .value_kind:     by_value
      - .offset:         20
        .size:           4
        .value_kind:     by_value
      - .offset:         24
        .size:           4
        .value_kind:     by_value
      - .offset:         28
        .size:           4
        .value_kind:     by_value
      - .offset:         32
        .size:           12
        .value_kind:     by_value
      - .offset:         44
        .size:           12
        .value_kind:     by_value
      - .offset:         56
        .size:           12
        .value_kind:     by_value
      - .offset:         68
        .size:           12
        .value_kind:     by_value
      - .offset:         80
        .size:           4
        .value_kind:     hidden_block_count_x
      - .offset:         84
        .size:           4
        .value_kind:     hidden_block_count_y
      - .offset:         88
        .size:           4
        .value_kind:     hidden_block_count_z
      - .offset:         92
        .size:           2
        .value_kind:     hidden_group_size_x
      - .offset:         94
        .size:           2
        .value_kind:     hidden_group_size_y
      - .offset:         96
        .size:           2
        .value_kind:     hidden_group_size_z
      - .offset:         98
        .size:           2
        .value_kind:     hidden_remainder_x
      - .offset:         100
        .size:           2
        .value_kind:     hidden_remainder_y
      - .offset:         102
        .size:           2
        .value_kind:     hidden_remainder_z
      - .offset:         120
        .size:           8
        .value_kind:     hidden_global_offset_x
      - .offset:         128
        .size:           8
        .value_kind:     hidden_global_offset_y
      - .offset:         136
        .size:           8
        .value_kind:     hidden_global_offset_z
      - .offset:         144
        .size:           2
        .value_kind:     hidden_grid_dims
    .group_segment_fixed_size: 0
    .kernarg_segment_align: 8
    .kernarg_segment_size: 336
    .language:       OpenCL C
    .language_version:
      - 2
      - 0
    .max_flat_workgroup_size: 112
    .name:           _ZL33flash_attn_stream_k_fixup_generalILi112ELi8ELi1EEvPfPK15HIP_vector_typeIfLj2EEiiiiS1_IjLj3EES5_S5_S5_
    .private_segment_fixed_size: 0
    .sgpr_count:     33
    .sgpr_spill_count: 0
    .symbol:         _ZL33flash_attn_stream_k_fixup_generalILi112ELi8ELi1EEvPfPK15HIP_vector_typeIfLj2EEiiiiS1_IjLj3EES5_S5_S5_.kd
    .uniform_work_group_size: 1
    .uses_dynamic_stack: false
    .vgpr_count:     17
    .vgpr_spill_count: 0
    .wavefront_size: 32
    .workgroup_processor_mode: 1
  - .args:
      - .address_space:  global
        .offset:         0
        .size:           8
        .value_kind:     global_buffer
      - .address_space:  global
        .offset:         8
        .size:           8
        .value_kind:     global_buffer
      - .address_space:  global
        .offset:         16
        .size:           8
        .value_kind:     global_buffer
      - .address_space:  global
        .offset:         24
        .size:           8
        .value_kind:     global_buffer
      - .address_space:  global
        .offset:         32
        .size:           8
        .value_kind:     global_buffer
      - .address_space:  global
        .offset:         40
        .size:           8
        .value_kind:     global_buffer
      - .address_space:  global
        .offset:         48
        .size:           8
        .value_kind:     global_buffer
      - .address_space:  global
        .offset:         56
        .size:           8
        .value_kind:     global_buffer
      - .offset:         64
        .size:           4
        .value_kind:     by_value
      - .offset:         68
        .size:           4
        .value_kind:     by_value
      - .offset:         72
        .size:           4
        .value_kind:     by_value
      - .offset:         76
        .size:           4
        .value_kind:     by_value
      - .offset:         80
        .size:           4
        .value_kind:     by_value
      - .offset:         84
        .size:           4
        .value_kind:     by_value
      - .offset:         88
        .size:           4
        .value_kind:     by_value
      - .offset:         92
        .size:           12
        .value_kind:     by_value
      - .offset:         104
        .size:           4
        .value_kind:     by_value
      - .offset:         108
        .size:           4
        .value_kind:     by_value
      - .offset:         112
        .size:           4
        .value_kind:     by_value
      - .offset:         116
        .size:           4
        .value_kind:     by_value
      - .offset:         120
        .size:           4
        .value_kind:     by_value
      - .offset:         124
        .size:           4
        .value_kind:     by_value
      - .offset:         128
        .size:           4
        .value_kind:     by_value
      - .offset:         132
        .size:           4
        .value_kind:     by_value
      - .offset:         136
        .size:           4
        .value_kind:     by_value
      - .offset:         140
        .size:           4
        .value_kind:     by_value
      - .offset:         144
        .size:           4
        .value_kind:     by_value
      - .offset:         152
        .size:           8
        .value_kind:     by_value
      - .offset:         160
        .size:           4
        .value_kind:     by_value
      - .offset:         164
        .size:           4
        .value_kind:     by_value
      - .offset:         168
        .size:           8
        .value_kind:     by_value
      - .offset:         176
        .size:           4
        .value_kind:     by_value
      - .offset:         180
        .size:           4
        .value_kind:     by_value
      - .offset:         184
        .size:           4
        .value_kind:     by_value
      - .offset:         188
        .size:           4
        .value_kind:     by_value
      - .offset:         192
        .size:           4
        .value_kind:     by_value
      - .offset:         200
        .size:           8
        .value_kind:     by_value
      - .offset:         208
        .size:           4
        .value_kind:     hidden_block_count_x
      - .offset:         212
        .size:           4
        .value_kind:     hidden_block_count_y
      - .offset:         216
        .size:           4
        .value_kind:     hidden_block_count_z
      - .offset:         220
        .size:           2
        .value_kind:     hidden_group_size_x
      - .offset:         222
        .size:           2
        .value_kind:     hidden_group_size_y
      - .offset:         224
        .size:           2
        .value_kind:     hidden_group_size_z
      - .offset:         226
        .size:           2
        .value_kind:     hidden_remainder_x
      - .offset:         228
        .size:           2
        .value_kind:     hidden_remainder_y
      - .offset:         230
        .size:           2
        .value_kind:     hidden_remainder_z
      - .offset:         248
        .size:           8
        .value_kind:     hidden_global_offset_x
      - .offset:         256
        .size:           8
        .value_kind:     hidden_global_offset_y
      - .offset:         264
        .size:           8
        .value_kind:     hidden_global_offset_z
      - .offset:         272
        .size:           2
        .value_kind:     hidden_grid_dims
    .group_segment_fixed_size: 5312
    .kernarg_segment_align: 8
    .kernarg_segment_size: 464
    .language:       OpenCL C
    .language_version:
      - 2
      - 0
    .max_flat_workgroup_size: 128
    .name:           _ZL15flash_attn_tileILi112ELi112ELi4ELi1ELb0EEvPKcS1_S1_S1_S1_PKiPfP15HIP_vector_typeIfLj2EEffffjfiS5_IjLj3EEiiiiiiiiiiiliiliiiiil
    .private_segment_fixed_size: 32
    .sgpr_count:     54
    .sgpr_spill_count: 0
    .symbol:         _ZL15flash_attn_tileILi112ELi112ELi4ELi1ELb0EEvPKcS1_S1_S1_S1_PKiPfP15HIP_vector_typeIfLj2EEffffjfiS5_IjLj3EEiiiiiiiiiiiliiliiiiil.kd
    .uniform_work_group_size: 1
    .uses_dynamic_stack: false
    .vgpr_count:     93
    .vgpr_spill_count: 0
    .wavefront_size: 32
    .workgroup_processor_mode: 1
  - .args:
      - .address_space:  global
        .offset:         0
        .size:           8
        .value_kind:     global_buffer
      - .address_space:  global
        .offset:         8
        .size:           8
        .value_kind:     global_buffer
      - .offset:         16
        .size:           4
        .value_kind:     by_value
      - .offset:         20
        .size:           4
        .value_kind:     by_value
      - .offset:         24
        .size:           4
        .value_kind:     by_value
      - .offset:         28
        .size:           4
        .value_kind:     by_value
      - .offset:         32
        .size:           4
        .value_kind:     by_value
      - .offset:         36
        .size:           4
        .value_kind:     by_value
      - .offset:         40
        .size:           12
        .value_kind:     by_value
      - .offset:         52
        .size:           12
        .value_kind:     by_value
      - .offset:         64
        .size:           12
        .value_kind:     by_value
    .group_segment_fixed_size: 0
    .kernarg_segment_align: 8
    .kernarg_segment_size: 76
    .language:       OpenCL C
    .language_version:
      - 2
      - 0
    .max_flat_workgroup_size: 112
    .name:           _ZL33flash_attn_stream_k_fixup_uniformILi112ELi4ELi1EEvPfPK15HIP_vector_typeIfLj2EEiiiiiiS1_IjLj3EES5_S5_
    .private_segment_fixed_size: 0
    .sgpr_count:     26
    .sgpr_spill_count: 0
    .symbol:         _ZL33flash_attn_stream_k_fixup_uniformILi112ELi4ELi1EEvPfPK15HIP_vector_typeIfLj2EEiiiiiiS1_IjLj3EES5_S5_.kd
    .uniform_work_group_size: 1
    .uses_dynamic_stack: false
    .vgpr_count:     15
    .vgpr_spill_count: 0
    .wavefront_size: 32
    .workgroup_processor_mode: 1
  - .args:
      - .address_space:  global
        .offset:         0
        .size:           8
        .value_kind:     global_buffer
      - .address_space:  global
        .offset:         8
        .size:           8
        .value_kind:     global_buffer
      - .offset:         16
        .size:           4
        .value_kind:     by_value
      - .offset:         20
        .size:           4
        .value_kind:     by_value
      - .offset:         24
        .size:           4
        .value_kind:     by_value
      - .offset:         28
        .size:           4
        .value_kind:     by_value
      - .offset:         32
        .size:           12
        .value_kind:     by_value
      - .offset:         44
        .size:           12
        .value_kind:     by_value
      - .offset:         56
        .size:           12
        .value_kind:     by_value
      - .offset:         68
        .size:           12
        .value_kind:     by_value
      - .offset:         80
        .size:           4
        .value_kind:     hidden_block_count_x
      - .offset:         84
        .size:           4
        .value_kind:     hidden_block_count_y
      - .offset:         88
        .size:           4
        .value_kind:     hidden_block_count_z
      - .offset:         92
        .size:           2
        .value_kind:     hidden_group_size_x
      - .offset:         94
        .size:           2
        .value_kind:     hidden_group_size_y
      - .offset:         96
        .size:           2
        .value_kind:     hidden_group_size_z
      - .offset:         98
        .size:           2
        .value_kind:     hidden_remainder_x
      - .offset:         100
        .size:           2
        .value_kind:     hidden_remainder_y
      - .offset:         102
        .size:           2
        .value_kind:     hidden_remainder_z
      - .offset:         120
        .size:           8
        .value_kind:     hidden_global_offset_x
      - .offset:         128
        .size:           8
        .value_kind:     hidden_global_offset_y
      - .offset:         136
        .size:           8
        .value_kind:     hidden_global_offset_z
      - .offset:         144
        .size:           2
        .value_kind:     hidden_grid_dims
    .group_segment_fixed_size: 0
    .kernarg_segment_align: 8
    .kernarg_segment_size: 336
    .language:       OpenCL C
    .language_version:
      - 2
      - 0
    .max_flat_workgroup_size: 112
    .name:           _ZL33flash_attn_stream_k_fixup_generalILi112ELi4ELi1EEvPfPK15HIP_vector_typeIfLj2EEiiiiS1_IjLj3EES5_S5_S5_
    .private_segment_fixed_size: 0
    .sgpr_count:     33
    .sgpr_spill_count: 0
    .symbol:         _ZL33flash_attn_stream_k_fixup_generalILi112ELi4ELi1EEvPfPK15HIP_vector_typeIfLj2EEiiiiS1_IjLj3EES5_S5_S5_.kd
    .uniform_work_group_size: 1
    .uses_dynamic_stack: false
    .vgpr_count:     17
    .vgpr_spill_count: 0
    .wavefront_size: 32
    .workgroup_processor_mode: 1
  - .args:
      - .address_space:  global
        .offset:         0
        .size:           8
        .value_kind:     global_buffer
      - .address_space:  global
        .offset:         8
        .size:           8
        .value_kind:     global_buffer
      - .address_space:  global
        .offset:         16
        .size:           8
        .value_kind:     global_buffer
      - .address_space:  global
        .offset:         24
        .size:           8
        .value_kind:     global_buffer
      - .address_space:  global
        .offset:         32
        .size:           8
        .value_kind:     global_buffer
      - .address_space:  global
        .offset:         40
        .size:           8
        .value_kind:     global_buffer
      - .address_space:  global
        .offset:         48
        .size:           8
        .value_kind:     global_buffer
      - .address_space:  global
        .offset:         56
        .size:           8
        .value_kind:     global_buffer
      - .offset:         64
        .size:           4
        .value_kind:     by_value
      - .offset:         68
        .size:           4
        .value_kind:     by_value
      - .offset:         72
        .size:           4
        .value_kind:     by_value
      - .offset:         76
        .size:           4
        .value_kind:     by_value
      - .offset:         80
        .size:           4
        .value_kind:     by_value
      - .offset:         84
        .size:           4
        .value_kind:     by_value
      - .offset:         88
        .size:           4
        .value_kind:     by_value
      - .offset:         92
        .size:           12
        .value_kind:     by_value
      - .offset:         104
        .size:           4
        .value_kind:     by_value
      - .offset:         108
        .size:           4
        .value_kind:     by_value
      - .offset:         112
        .size:           4
        .value_kind:     by_value
      - .offset:         116
        .size:           4
        .value_kind:     by_value
      - .offset:         120
        .size:           4
        .value_kind:     by_value
      - .offset:         124
        .size:           4
        .value_kind:     by_value
      - .offset:         128
        .size:           4
        .value_kind:     by_value
      - .offset:         132
        .size:           4
        .value_kind:     by_value
      - .offset:         136
        .size:           4
        .value_kind:     by_value
      - .offset:         140
        .size:           4
        .value_kind:     by_value
      - .offset:         144
        .size:           4
        .value_kind:     by_value
      - .offset:         152
        .size:           8
        .value_kind:     by_value
      - .offset:         160
        .size:           4
        .value_kind:     by_value
      - .offset:         164
        .size:           4
        .value_kind:     by_value
      - .offset:         168
        .size:           8
        .value_kind:     by_value
      - .offset:         176
        .size:           4
        .value_kind:     by_value
      - .offset:         180
        .size:           4
        .value_kind:     by_value
      - .offset:         184
        .size:           4
        .value_kind:     by_value
      - .offset:         188
        .size:           4
        .value_kind:     by_value
      - .offset:         192
        .size:           4
        .value_kind:     by_value
      - .offset:         200
        .size:           8
        .value_kind:     by_value
      - .offset:         208
        .size:           4
        .value_kind:     hidden_block_count_x
      - .offset:         212
        .size:           4
        .value_kind:     hidden_block_count_y
      - .offset:         216
        .size:           4
        .value_kind:     hidden_block_count_z
      - .offset:         220
        .size:           2
        .value_kind:     hidden_group_size_x
      - .offset:         222
        .size:           2
        .value_kind:     hidden_group_size_y
      - .offset:         224
        .size:           2
        .value_kind:     hidden_group_size_z
      - .offset:         226
        .size:           2
        .value_kind:     hidden_remainder_x
      - .offset:         228
        .size:           2
        .value_kind:     hidden_remainder_y
      - .offset:         230
        .size:           2
        .value_kind:     hidden_remainder_z
      - .offset:         248
        .size:           8
        .value_kind:     hidden_global_offset_x
      - .offset:         256
        .size:           8
        .value_kind:     hidden_global_offset_y
      - .offset:         264
        .size:           8
        .value_kind:     hidden_global_offset_z
      - .offset:         272
        .size:           2
        .value_kind:     hidden_grid_dims
    .group_segment_fixed_size: 4736
    .kernarg_segment_align: 8
    .kernarg_segment_size: 464
    .language:       OpenCL C
    .language_version:
      - 2
      - 0
    .max_flat_workgroup_size: 64
    .name:           _ZL15flash_attn_tileILi112ELi112ELi2ELi1ELb0EEvPKcS1_S1_S1_S1_PKiPfP15HIP_vector_typeIfLj2EEffffjfiS5_IjLj3EEiiiiiiiiiiiliiliiiiil
    .private_segment_fixed_size: 32
    .sgpr_count:     54
    .sgpr_spill_count: 0
    .symbol:         _ZL15flash_attn_tileILi112ELi112ELi2ELi1ELb0EEvPKcS1_S1_S1_S1_PKiPfP15HIP_vector_typeIfLj2EEffffjfiS5_IjLj3EEiiiiiiiiiiiliiliiiiil.kd
    .uniform_work_group_size: 1
    .uses_dynamic_stack: false
    .vgpr_count:     107
    .vgpr_spill_count: 0
    .wavefront_size: 32
    .workgroup_processor_mode: 1
  - .args:
      - .address_space:  global
        .offset:         0
        .size:           8
        .value_kind:     global_buffer
      - .address_space:  global
        .offset:         8
        .size:           8
        .value_kind:     global_buffer
      - .offset:         16
        .size:           4
        .value_kind:     by_value
      - .offset:         20
        .size:           4
        .value_kind:     by_value
      - .offset:         24
        .size:           4
        .value_kind:     by_value
      - .offset:         28
        .size:           4
        .value_kind:     by_value
      - .offset:         32
        .size:           4
        .value_kind:     by_value
      - .offset:         36
        .size:           4
        .value_kind:     by_value
      - .offset:         40
        .size:           12
        .value_kind:     by_value
      - .offset:         52
        .size:           12
        .value_kind:     by_value
      - .offset:         64
        .size:           12
        .value_kind:     by_value
    .group_segment_fixed_size: 0
    .kernarg_segment_align: 8
    .kernarg_segment_size: 76
    .language:       OpenCL C
    .language_version:
      - 2
      - 0
    .max_flat_workgroup_size: 112
    .name:           _ZL33flash_attn_stream_k_fixup_uniformILi112ELi2ELi1EEvPfPK15HIP_vector_typeIfLj2EEiiiiiiS1_IjLj3EES5_S5_
    .private_segment_fixed_size: 0
    .sgpr_count:     26
    .sgpr_spill_count: 0
    .symbol:         _ZL33flash_attn_stream_k_fixup_uniformILi112ELi2ELi1EEvPfPK15HIP_vector_typeIfLj2EEiiiiiiS1_IjLj3EES5_S5_.kd
    .uniform_work_group_size: 1
    .uses_dynamic_stack: false
    .vgpr_count:     15
    .vgpr_spill_count: 0
    .wavefront_size: 32
    .workgroup_processor_mode: 1
  - .args:
      - .address_space:  global
        .offset:         0
        .size:           8
        .value_kind:     global_buffer
      - .address_space:  global
        .offset:         8
        .size:           8
        .value_kind:     global_buffer
      - .offset:         16
        .size:           4
        .value_kind:     by_value
      - .offset:         20
        .size:           4
        .value_kind:     by_value
      - .offset:         24
        .size:           4
        .value_kind:     by_value
      - .offset:         28
        .size:           4
        .value_kind:     by_value
      - .offset:         32
        .size:           12
        .value_kind:     by_value
      - .offset:         44
        .size:           12
        .value_kind:     by_value
      - .offset:         56
        .size:           12
        .value_kind:     by_value
      - .offset:         68
        .size:           12
        .value_kind:     by_value
      - .offset:         80
        .size:           4
        .value_kind:     hidden_block_count_x
      - .offset:         84
        .size:           4
        .value_kind:     hidden_block_count_y
      - .offset:         88
        .size:           4
        .value_kind:     hidden_block_count_z
      - .offset:         92
        .size:           2
        .value_kind:     hidden_group_size_x
      - .offset:         94
        .size:           2
        .value_kind:     hidden_group_size_y
      - .offset:         96
        .size:           2
        .value_kind:     hidden_group_size_z
      - .offset:         98
        .size:           2
        .value_kind:     hidden_remainder_x
      - .offset:         100
        .size:           2
        .value_kind:     hidden_remainder_y
      - .offset:         102
        .size:           2
        .value_kind:     hidden_remainder_z
      - .offset:         120
        .size:           8
        .value_kind:     hidden_global_offset_x
      - .offset:         128
        .size:           8
        .value_kind:     hidden_global_offset_y
      - .offset:         136
        .size:           8
        .value_kind:     hidden_global_offset_z
      - .offset:         144
        .size:           2
        .value_kind:     hidden_grid_dims
    .group_segment_fixed_size: 0
    .kernarg_segment_align: 8
    .kernarg_segment_size: 336
    .language:       OpenCL C
    .language_version:
      - 2
      - 0
    .max_flat_workgroup_size: 112
    .name:           _ZL33flash_attn_stream_k_fixup_generalILi112ELi2ELi1EEvPfPK15HIP_vector_typeIfLj2EEiiiiS1_IjLj3EES5_S5_S5_
    .private_segment_fixed_size: 0
    .sgpr_count:     33
    .sgpr_spill_count: 0
    .symbol:         _ZL33flash_attn_stream_k_fixup_generalILi112ELi2ELi1EEvPfPK15HIP_vector_typeIfLj2EEiiiiS1_IjLj3EES5_S5_S5_.kd
    .uniform_work_group_size: 1
    .uses_dynamic_stack: false
    .vgpr_count:     17
    .vgpr_spill_count: 0
    .wavefront_size: 32
    .workgroup_processor_mode: 1
  - .args:
      - .address_space:  global
        .offset:         0
        .size:           8
        .value_kind:     global_buffer
      - .address_space:  global
        .offset:         8
        .size:           8
        .value_kind:     global_buffer
      - .address_space:  global
        .offset:         16
        .size:           8
        .value_kind:     global_buffer
      - .address_space:  global
        .offset:         24
        .size:           8
        .value_kind:     global_buffer
      - .address_space:  global
        .offset:         32
        .size:           8
        .value_kind:     global_buffer
      - .address_space:  global
        .offset:         40
        .size:           8
        .value_kind:     global_buffer
      - .address_space:  global
        .offset:         48
        .size:           8
        .value_kind:     global_buffer
      - .address_space:  global
        .offset:         56
        .size:           8
        .value_kind:     global_buffer
      - .offset:         64
        .size:           4
        .value_kind:     by_value
      - .offset:         68
        .size:           4
        .value_kind:     by_value
      - .offset:         72
        .size:           4
        .value_kind:     by_value
      - .offset:         76
        .size:           4
        .value_kind:     by_value
      - .offset:         80
        .size:           4
        .value_kind:     by_value
      - .offset:         84
        .size:           4
        .value_kind:     by_value
      - .offset:         88
        .size:           4
        .value_kind:     by_value
      - .offset:         92
        .size:           12
        .value_kind:     by_value
      - .offset:         104
        .size:           4
        .value_kind:     by_value
      - .offset:         108
        .size:           4
        .value_kind:     by_value
      - .offset:         112
        .size:           4
        .value_kind:     by_value
      - .offset:         116
        .size:           4
        .value_kind:     by_value
      - .offset:         120
        .size:           4
        .value_kind:     by_value
      - .offset:         124
        .size:           4
        .value_kind:     by_value
      - .offset:         128
        .size:           4
        .value_kind:     by_value
      - .offset:         132
        .size:           4
        .value_kind:     by_value
      - .offset:         136
        .size:           4
        .value_kind:     by_value
      - .offset:         140
        .size:           4
        .value_kind:     by_value
      - .offset:         144
        .size:           4
        .value_kind:     by_value
      - .offset:         152
        .size:           8
        .value_kind:     by_value
      - .offset:         160
        .size:           4
        .value_kind:     by_value
      - .offset:         164
        .size:           4
        .value_kind:     by_value
      - .offset:         168
        .size:           8
        .value_kind:     by_value
      - .offset:         176
        .size:           4
        .value_kind:     by_value
      - .offset:         180
        .size:           4
        .value_kind:     by_value
      - .offset:         184
        .size:           4
        .value_kind:     by_value
      - .offset:         188
        .size:           4
        .value_kind:     by_value
      - .offset:         192
        .size:           4
        .value_kind:     by_value
      - .offset:         200
        .size:           8
        .value_kind:     by_value
      - .offset:         208
        .size:           4
        .value_kind:     hidden_block_count_x
      - .offset:         212
        .size:           4
        .value_kind:     hidden_block_count_y
      - .offset:         216
        .size:           4
        .value_kind:     hidden_block_count_z
      - .offset:         220
        .size:           2
        .value_kind:     hidden_group_size_x
      - .offset:         222
        .size:           2
        .value_kind:     hidden_group_size_y
      - .offset:         224
        .size:           2
        .value_kind:     hidden_group_size_z
      - .offset:         226
        .size:           2
        .value_kind:     hidden_remainder_x
      - .offset:         228
        .size:           2
        .value_kind:     hidden_remainder_y
      - .offset:         230
        .size:           2
        .value_kind:     hidden_remainder_z
      - .offset:         248
        .size:           8
        .value_kind:     hidden_global_offset_x
      - .offset:         256
        .size:           8
        .value_kind:     hidden_global_offset_y
      - .offset:         264
        .size:           8
        .value_kind:     hidden_global_offset_z
      - .offset:         272
        .size:           2
        .value_kind:     hidden_grid_dims
      - .offset:         288
        .size:           8
        .value_kind:     hidden_hostcall_buffer
    .group_segment_fixed_size: 0
    .kernarg_segment_align: 8
    .kernarg_segment_size: 464
    .language:       OpenCL C
    .language_version:
      - 2
      - 0
    .max_flat_workgroup_size: 256
    .name:           _ZL15flash_attn_tileILi112ELi112ELi8ELi8ELb1EEvPKcS1_S1_S1_S1_PKiPfP15HIP_vector_typeIfLj2EEffffjfiS5_IjLj3EEiiiiiiiiiiiliiliiiiil
    .private_segment_fixed_size: 16
    .sgpr_count:     36
    .sgpr_spill_count: 0
    .symbol:         _ZL15flash_attn_tileILi112ELi112ELi8ELi8ELb1EEvPKcS1_S1_S1_S1_PKiPfP15HIP_vector_typeIfLj2EEffffjfiS5_IjLj3EEiiiiiiiiiiiliiliiiiil.kd
    .uniform_work_group_size: 1
    .uses_dynamic_stack: false
    .vgpr_count:     40
    .vgpr_spill_count: 0
    .wavefront_size: 32
    .workgroup_processor_mode: 1
  - .args:
      - .address_space:  global
        .offset:         0
        .size:           8
        .value_kind:     global_buffer
      - .address_space:  global
        .offset:         8
        .size:           8
        .value_kind:     global_buffer
      - .address_space:  global
        .offset:         16
        .size:           8
        .value_kind:     global_buffer
      - .address_space:  global
        .offset:         24
        .size:           8
        .value_kind:     global_buffer
      - .address_space:  global
        .offset:         32
        .size:           8
        .value_kind:     global_buffer
      - .address_space:  global
        .offset:         40
        .size:           8
        .value_kind:     global_buffer
      - .address_space:  global
        .offset:         48
        .size:           8
        .value_kind:     global_buffer
      - .address_space:  global
        .offset:         56
        .size:           8
        .value_kind:     global_buffer
      - .offset:         64
        .size:           4
        .value_kind:     by_value
      - .offset:         68
        .size:           4
        .value_kind:     by_value
      - .offset:         72
        .size:           4
        .value_kind:     by_value
      - .offset:         76
        .size:           4
        .value_kind:     by_value
      - .offset:         80
        .size:           4
        .value_kind:     by_value
      - .offset:         84
        .size:           4
        .value_kind:     by_value
      - .offset:         88
        .size:           4
        .value_kind:     by_value
      - .offset:         92
        .size:           12
        .value_kind:     by_value
      - .offset:         104
        .size:           4
        .value_kind:     by_value
      - .offset:         108
        .size:           4
        .value_kind:     by_value
      - .offset:         112
        .size:           4
        .value_kind:     by_value
      - .offset:         116
        .size:           4
        .value_kind:     by_value
      - .offset:         120
        .size:           4
        .value_kind:     by_value
      - .offset:         124
        .size:           4
        .value_kind:     by_value
      - .offset:         128
        .size:           4
        .value_kind:     by_value
      - .offset:         132
        .size:           4
        .value_kind:     by_value
      - .offset:         136
        .size:           4
        .value_kind:     by_value
      - .offset:         140
        .size:           4
        .value_kind:     by_value
      - .offset:         144
        .size:           4
        .value_kind:     by_value
      - .offset:         152
        .size:           8
        .value_kind:     by_value
      - .offset:         160
        .size:           4
        .value_kind:     by_value
      - .offset:         164
        .size:           4
        .value_kind:     by_value
      - .offset:         168
        .size:           8
        .value_kind:     by_value
      - .offset:         176
        .size:           4
        .value_kind:     by_value
      - .offset:         180
        .size:           4
        .value_kind:     by_value
      - .offset:         184
        .size:           4
        .value_kind:     by_value
      - .offset:         188
        .size:           4
        .value_kind:     by_value
      - .offset:         192
        .size:           4
        .value_kind:     by_value
      - .offset:         200
        .size:           8
        .value_kind:     by_value
      - .offset:         208
        .size:           4
        .value_kind:     hidden_block_count_x
      - .offset:         212
        .size:           4
        .value_kind:     hidden_block_count_y
      - .offset:         216
        .size:           4
        .value_kind:     hidden_block_count_z
      - .offset:         220
        .size:           2
        .value_kind:     hidden_group_size_x
      - .offset:         222
        .size:           2
        .value_kind:     hidden_group_size_y
      - .offset:         224
        .size:           2
        .value_kind:     hidden_group_size_z
      - .offset:         226
        .size:           2
        .value_kind:     hidden_remainder_x
      - .offset:         228
        .size:           2
        .value_kind:     hidden_remainder_y
      - .offset:         230
        .size:           2
        .value_kind:     hidden_remainder_z
      - .offset:         248
        .size:           8
        .value_kind:     hidden_global_offset_x
      - .offset:         256
        .size:           8
        .value_kind:     hidden_global_offset_y
      - .offset:         264
        .size:           8
        .value_kind:     hidden_global_offset_z
      - .offset:         272
        .size:           2
        .value_kind:     hidden_grid_dims
      - .offset:         288
        .size:           8
        .value_kind:     hidden_hostcall_buffer
    .group_segment_fixed_size: 0
    .kernarg_segment_align: 8
    .kernarg_segment_size: 464
    .language:       OpenCL C
    .language_version:
      - 2
      - 0
    .max_flat_workgroup_size: 256
    .name:           _ZL15flash_attn_tileILi112ELi112ELi4ELi8ELb1EEvPKcS1_S1_S1_S1_PKiPfP15HIP_vector_typeIfLj2EEffffjfiS5_IjLj3EEiiiiiiiiiiiliiliiiiil
    .private_segment_fixed_size: 16
    .sgpr_count:     36
    .sgpr_spill_count: 0
    .symbol:         _ZL15flash_attn_tileILi112ELi112ELi4ELi8ELb1EEvPKcS1_S1_S1_S1_PKiPfP15HIP_vector_typeIfLj2EEffffjfiS5_IjLj3EEiiiiiiiiiiiliiliiiiil.kd
    .uniform_work_group_size: 1
    .uses_dynamic_stack: false
    .vgpr_count:     40
    .vgpr_spill_count: 0
    .wavefront_size: 32
    .workgroup_processor_mode: 1
  - .args:
      - .address_space:  global
        .offset:         0
        .size:           8
        .value_kind:     global_buffer
      - .address_space:  global
        .offset:         8
        .size:           8
        .value_kind:     global_buffer
      - .address_space:  global
        .offset:         16
        .size:           8
        .value_kind:     global_buffer
      - .address_space:  global
        .offset:         24
        .size:           8
        .value_kind:     global_buffer
      - .address_space:  global
        .offset:         32
        .size:           8
        .value_kind:     global_buffer
      - .address_space:  global
        .offset:         40
        .size:           8
        .value_kind:     global_buffer
      - .address_space:  global
        .offset:         48
        .size:           8
        .value_kind:     global_buffer
      - .address_space:  global
        .offset:         56
        .size:           8
        .value_kind:     global_buffer
      - .offset:         64
        .size:           4
        .value_kind:     by_value
      - .offset:         68
        .size:           4
        .value_kind:     by_value
      - .offset:         72
        .size:           4
        .value_kind:     by_value
      - .offset:         76
        .size:           4
        .value_kind:     by_value
      - .offset:         80
        .size:           4
        .value_kind:     by_value
      - .offset:         84
        .size:           4
        .value_kind:     by_value
      - .offset:         88
        .size:           4
        .value_kind:     by_value
      - .offset:         92
        .size:           12
        .value_kind:     by_value
      - .offset:         104
        .size:           4
        .value_kind:     by_value
      - .offset:         108
        .size:           4
        .value_kind:     by_value
      - .offset:         112
        .size:           4
        .value_kind:     by_value
      - .offset:         116
        .size:           4
        .value_kind:     by_value
      - .offset:         120
        .size:           4
        .value_kind:     by_value
      - .offset:         124
        .size:           4
        .value_kind:     by_value
      - .offset:         128
        .size:           4
        .value_kind:     by_value
      - .offset:         132
        .size:           4
        .value_kind:     by_value
      - .offset:         136
        .size:           4
        .value_kind:     by_value
      - .offset:         140
        .size:           4
        .value_kind:     by_value
      - .offset:         144
        .size:           4
        .value_kind:     by_value
      - .offset:         152
        .size:           8
        .value_kind:     by_value
      - .offset:         160
        .size:           4
        .value_kind:     by_value
      - .offset:         164
        .size:           4
        .value_kind:     by_value
      - .offset:         168
        .size:           8
        .value_kind:     by_value
      - .offset:         176
        .size:           4
        .value_kind:     by_value
      - .offset:         180
        .size:           4
        .value_kind:     by_value
      - .offset:         184
        .size:           4
        .value_kind:     by_value
      - .offset:         188
        .size:           4
        .value_kind:     by_value
      - .offset:         192
        .size:           4
        .value_kind:     by_value
      - .offset:         200
        .size:           8
        .value_kind:     by_value
      - .offset:         208
        .size:           4
        .value_kind:     hidden_block_count_x
      - .offset:         212
        .size:           4
        .value_kind:     hidden_block_count_y
      - .offset:         216
        .size:           4
        .value_kind:     hidden_block_count_z
      - .offset:         220
        .size:           2
        .value_kind:     hidden_group_size_x
      - .offset:         222
        .size:           2
        .value_kind:     hidden_group_size_y
      - .offset:         224
        .size:           2
        .value_kind:     hidden_group_size_z
      - .offset:         226
        .size:           2
        .value_kind:     hidden_remainder_x
      - .offset:         228
        .size:           2
        .value_kind:     hidden_remainder_y
      - .offset:         230
        .size:           2
        .value_kind:     hidden_remainder_z
      - .offset:         248
        .size:           8
        .value_kind:     hidden_global_offset_x
      - .offset:         256
        .size:           8
        .value_kind:     hidden_global_offset_y
      - .offset:         264
        .size:           8
        .value_kind:     hidden_global_offset_z
      - .offset:         272
        .size:           2
        .value_kind:     hidden_grid_dims
      - .offset:         288
        .size:           8
        .value_kind:     hidden_hostcall_buffer
    .group_segment_fixed_size: 0
    .kernarg_segment_align: 8
    .kernarg_segment_size: 464
    .language:       OpenCL C
    .language_version:
      - 2
      - 0
    .max_flat_workgroup_size: 256
    .name:           _ZL15flash_attn_tileILi112ELi112ELi2ELi8ELb1EEvPKcS1_S1_S1_S1_PKiPfP15HIP_vector_typeIfLj2EEffffjfiS5_IjLj3EEiiiiiiiiiiiliiliiiiil
    .private_segment_fixed_size: 16
    .sgpr_count:     36
    .sgpr_spill_count: 0
    .symbol:         _ZL15flash_attn_tileILi112ELi112ELi2ELi8ELb1EEvPKcS1_S1_S1_S1_PKiPfP15HIP_vector_typeIfLj2EEffffjfiS5_IjLj3EEiiiiiiiiiiiliiliiiiil.kd
    .uniform_work_group_size: 1
    .uses_dynamic_stack: false
    .vgpr_count:     40
    .vgpr_spill_count: 0
    .wavefront_size: 32
    .workgroup_processor_mode: 1
  - .args:
      - .address_space:  global
        .offset:         0
        .size:           8
        .value_kind:     global_buffer
      - .address_space:  global
        .offset:         8
        .size:           8
        .value_kind:     global_buffer
      - .address_space:  global
        .offset:         16
        .size:           8
        .value_kind:     global_buffer
      - .address_space:  global
        .offset:         24
        .size:           8
        .value_kind:     global_buffer
      - .address_space:  global
        .offset:         32
        .size:           8
        .value_kind:     global_buffer
      - .address_space:  global
        .offset:         40
        .size:           8
        .value_kind:     global_buffer
      - .address_space:  global
        .offset:         48
        .size:           8
        .value_kind:     global_buffer
      - .address_space:  global
        .offset:         56
        .size:           8
        .value_kind:     global_buffer
      - .offset:         64
        .size:           4
        .value_kind:     by_value
      - .offset:         68
        .size:           4
        .value_kind:     by_value
      - .offset:         72
        .size:           4
        .value_kind:     by_value
      - .offset:         76
        .size:           4
        .value_kind:     by_value
      - .offset:         80
        .size:           4
        .value_kind:     by_value
      - .offset:         84
        .size:           4
        .value_kind:     by_value
      - .offset:         88
        .size:           4
        .value_kind:     by_value
      - .offset:         92
        .size:           12
        .value_kind:     by_value
      - .offset:         104
        .size:           4
        .value_kind:     by_value
      - .offset:         108
        .size:           4
        .value_kind:     by_value
      - .offset:         112
        .size:           4
        .value_kind:     by_value
      - .offset:         116
        .size:           4
        .value_kind:     by_value
      - .offset:         120
        .size:           4
        .value_kind:     by_value
      - .offset:         124
        .size:           4
        .value_kind:     by_value
      - .offset:         128
        .size:           4
        .value_kind:     by_value
      - .offset:         132
        .size:           4
        .value_kind:     by_value
      - .offset:         136
        .size:           4
        .value_kind:     by_value
      - .offset:         140
        .size:           4
        .value_kind:     by_value
      - .offset:         144
        .size:           4
        .value_kind:     by_value
      - .offset:         152
        .size:           8
        .value_kind:     by_value
      - .offset:         160
        .size:           4
        .value_kind:     by_value
      - .offset:         164
        .size:           4
        .value_kind:     by_value
      - .offset:         168
        .size:           8
        .value_kind:     by_value
      - .offset:         176
        .size:           4
        .value_kind:     by_value
      - .offset:         180
        .size:           4
        .value_kind:     by_value
      - .offset:         184
        .size:           4
        .value_kind:     by_value
      - .offset:         188
        .size:           4
        .value_kind:     by_value
      - .offset:         192
        .size:           4
        .value_kind:     by_value
      - .offset:         200
        .size:           8
        .value_kind:     by_value
      - .offset:         208
        .size:           4
        .value_kind:     hidden_block_count_x
      - .offset:         212
        .size:           4
        .value_kind:     hidden_block_count_y
      - .offset:         216
        .size:           4
        .value_kind:     hidden_block_count_z
      - .offset:         220
        .size:           2
        .value_kind:     hidden_group_size_x
      - .offset:         222
        .size:           2
        .value_kind:     hidden_group_size_y
      - .offset:         224
        .size:           2
        .value_kind:     hidden_group_size_z
      - .offset:         226
        .size:           2
        .value_kind:     hidden_remainder_x
      - .offset:         228
        .size:           2
        .value_kind:     hidden_remainder_y
      - .offset:         230
        .size:           2
        .value_kind:     hidden_remainder_z
      - .offset:         248
        .size:           8
        .value_kind:     hidden_global_offset_x
      - .offset:         256
        .size:           8
        .value_kind:     hidden_global_offset_y
      - .offset:         264
        .size:           8
        .value_kind:     hidden_global_offset_z
      - .offset:         272
        .size:           2
        .value_kind:     hidden_grid_dims
      - .offset:         288
        .size:           8
        .value_kind:     hidden_hostcall_buffer
    .group_segment_fixed_size: 0
    .kernarg_segment_align: 8
    .kernarg_segment_size: 464
    .language:       OpenCL C
    .language_version:
      - 2
      - 0
    .max_flat_workgroup_size: 256
    .name:           _ZL15flash_attn_tileILi112ELi112ELi1ELi8ELb1EEvPKcS1_S1_S1_S1_PKiPfP15HIP_vector_typeIfLj2EEffffjfiS5_IjLj3EEiiiiiiiiiiiliiliiiiil
    .private_segment_fixed_size: 16
    .sgpr_count:     36
    .sgpr_spill_count: 0
    .symbol:         _ZL15flash_attn_tileILi112ELi112ELi1ELi8ELb1EEvPKcS1_S1_S1_S1_PKiPfP15HIP_vector_typeIfLj2EEffffjfiS5_IjLj3EEiiiiiiiiiiiliiliiiiil.kd
    .uniform_work_group_size: 1
    .uses_dynamic_stack: false
    .vgpr_count:     40
    .vgpr_spill_count: 0
    .wavefront_size: 32
    .workgroup_processor_mode: 1
  - .args:
      - .address_space:  global
        .offset:         0
        .size:           8
        .value_kind:     global_buffer
      - .address_space:  global
        .offset:         8
        .size:           8
        .value_kind:     global_buffer
      - .address_space:  global
        .offset:         16
        .size:           8
        .value_kind:     global_buffer
      - .address_space:  global
        .offset:         24
        .size:           8
        .value_kind:     global_buffer
      - .address_space:  global
        .offset:         32
        .size:           8
        .value_kind:     global_buffer
      - .address_space:  global
        .offset:         40
        .size:           8
        .value_kind:     global_buffer
      - .address_space:  global
        .offset:         48
        .size:           8
        .value_kind:     global_buffer
      - .address_space:  global
        .offset:         56
        .size:           8
        .value_kind:     global_buffer
      - .offset:         64
        .size:           4
        .value_kind:     by_value
      - .offset:         68
        .size:           4
        .value_kind:     by_value
      - .offset:         72
        .size:           4
        .value_kind:     by_value
      - .offset:         76
        .size:           4
        .value_kind:     by_value
      - .offset:         80
        .size:           4
        .value_kind:     by_value
      - .offset:         84
        .size:           4
        .value_kind:     by_value
      - .offset:         88
        .size:           4
        .value_kind:     by_value
      - .offset:         92
        .size:           12
        .value_kind:     by_value
      - .offset:         104
        .size:           4
        .value_kind:     by_value
      - .offset:         108
        .size:           4
        .value_kind:     by_value
      - .offset:         112
        .size:           4
        .value_kind:     by_value
      - .offset:         116
        .size:           4
        .value_kind:     by_value
      - .offset:         120
        .size:           4
        .value_kind:     by_value
      - .offset:         124
        .size:           4
        .value_kind:     by_value
      - .offset:         128
        .size:           4
        .value_kind:     by_value
      - .offset:         132
        .size:           4
        .value_kind:     by_value
      - .offset:         136
        .size:           4
        .value_kind:     by_value
      - .offset:         140
        .size:           4
        .value_kind:     by_value
      - .offset:         144
        .size:           4
        .value_kind:     by_value
      - .offset:         152
        .size:           8
        .value_kind:     by_value
      - .offset:         160
        .size:           4
        .value_kind:     by_value
      - .offset:         164
        .size:           4
        .value_kind:     by_value
      - .offset:         168
        .size:           8
        .value_kind:     by_value
      - .offset:         176
        .size:           4
        .value_kind:     by_value
      - .offset:         180
        .size:           4
        .value_kind:     by_value
      - .offset:         184
        .size:           4
        .value_kind:     by_value
      - .offset:         188
        .size:           4
        .value_kind:     by_value
      - .offset:         192
        .size:           4
        .value_kind:     by_value
      - .offset:         200
        .size:           8
        .value_kind:     by_value
      - .offset:         208
        .size:           4
        .value_kind:     hidden_block_count_x
      - .offset:         212
        .size:           4
        .value_kind:     hidden_block_count_y
      - .offset:         216
        .size:           4
        .value_kind:     hidden_block_count_z
      - .offset:         220
        .size:           2
        .value_kind:     hidden_group_size_x
      - .offset:         222
        .size:           2
        .value_kind:     hidden_group_size_y
      - .offset:         224
        .size:           2
        .value_kind:     hidden_group_size_z
      - .offset:         226
        .size:           2
        .value_kind:     hidden_remainder_x
      - .offset:         228
        .size:           2
        .value_kind:     hidden_remainder_y
      - .offset:         230
        .size:           2
        .value_kind:     hidden_remainder_z
      - .offset:         248
        .size:           8
        .value_kind:     hidden_global_offset_x
      - .offset:         256
        .size:           8
        .value_kind:     hidden_global_offset_y
      - .offset:         264
        .size:           8
        .value_kind:     hidden_global_offset_z
      - .offset:         272
        .size:           2
        .value_kind:     hidden_grid_dims
      - .offset:         288
        .size:           8
        .value_kind:     hidden_hostcall_buffer
    .group_segment_fixed_size: 0
    .kernarg_segment_align: 8
    .kernarg_segment_size: 464
    .language:       OpenCL C
    .language_version:
      - 2
      - 0
    .max_flat_workgroup_size: 256
    .name:           _ZL15flash_attn_tileILi112ELi112ELi16ELi4ELb1EEvPKcS1_S1_S1_S1_PKiPfP15HIP_vector_typeIfLj2EEffffjfiS5_IjLj3EEiiiiiiiiiiiliiliiiiil
    .private_segment_fixed_size: 16
    .sgpr_count:     36
    .sgpr_spill_count: 0
    .symbol:         _ZL15flash_attn_tileILi112ELi112ELi16ELi4ELb1EEvPKcS1_S1_S1_S1_PKiPfP15HIP_vector_typeIfLj2EEffffjfiS5_IjLj3EEiiiiiiiiiiiliiliiiiil.kd
    .uniform_work_group_size: 1
    .uses_dynamic_stack: false
    .vgpr_count:     40
    .vgpr_spill_count: 0
    .wavefront_size: 32
    .workgroup_processor_mode: 1
  - .args:
      - .address_space:  global
        .offset:         0
        .size:           8
        .value_kind:     global_buffer
      - .address_space:  global
        .offset:         8
        .size:           8
        .value_kind:     global_buffer
      - .address_space:  global
        .offset:         16
        .size:           8
        .value_kind:     global_buffer
      - .address_space:  global
        .offset:         24
        .size:           8
        .value_kind:     global_buffer
      - .address_space:  global
        .offset:         32
        .size:           8
        .value_kind:     global_buffer
      - .address_space:  global
        .offset:         40
        .size:           8
        .value_kind:     global_buffer
      - .address_space:  global
        .offset:         48
        .size:           8
        .value_kind:     global_buffer
      - .address_space:  global
        .offset:         56
        .size:           8
        .value_kind:     global_buffer
      - .offset:         64
        .size:           4
        .value_kind:     by_value
      - .offset:         68
        .size:           4
        .value_kind:     by_value
      - .offset:         72
        .size:           4
        .value_kind:     by_value
      - .offset:         76
        .size:           4
        .value_kind:     by_value
      - .offset:         80
        .size:           4
        .value_kind:     by_value
      - .offset:         84
        .size:           4
        .value_kind:     by_value
      - .offset:         88
        .size:           4
        .value_kind:     by_value
      - .offset:         92
        .size:           12
        .value_kind:     by_value
      - .offset:         104
        .size:           4
        .value_kind:     by_value
      - .offset:         108
        .size:           4
        .value_kind:     by_value
      - .offset:         112
        .size:           4
        .value_kind:     by_value
      - .offset:         116
        .size:           4
        .value_kind:     by_value
      - .offset:         120
        .size:           4
        .value_kind:     by_value
      - .offset:         124
        .size:           4
        .value_kind:     by_value
      - .offset:         128
        .size:           4
        .value_kind:     by_value
      - .offset:         132
        .size:           4
        .value_kind:     by_value
      - .offset:         136
        .size:           4
        .value_kind:     by_value
      - .offset:         140
        .size:           4
        .value_kind:     by_value
      - .offset:         144
        .size:           4
        .value_kind:     by_value
      - .offset:         152
        .size:           8
        .value_kind:     by_value
      - .offset:         160
        .size:           4
        .value_kind:     by_value
      - .offset:         164
        .size:           4
        .value_kind:     by_value
      - .offset:         168
        .size:           8
        .value_kind:     by_value
      - .offset:         176
        .size:           4
        .value_kind:     by_value
      - .offset:         180
        .size:           4
        .value_kind:     by_value
      - .offset:         184
        .size:           4
        .value_kind:     by_value
      - .offset:         188
        .size:           4
        .value_kind:     by_value
      - .offset:         192
        .size:           4
        .value_kind:     by_value
      - .offset:         200
        .size:           8
        .value_kind:     by_value
      - .offset:         208
        .size:           4
        .value_kind:     hidden_block_count_x
      - .offset:         212
        .size:           4
        .value_kind:     hidden_block_count_y
      - .offset:         216
        .size:           4
        .value_kind:     hidden_block_count_z
      - .offset:         220
        .size:           2
        .value_kind:     hidden_group_size_x
      - .offset:         222
        .size:           2
        .value_kind:     hidden_group_size_y
      - .offset:         224
        .size:           2
        .value_kind:     hidden_group_size_z
      - .offset:         226
        .size:           2
        .value_kind:     hidden_remainder_x
      - .offset:         228
        .size:           2
        .value_kind:     hidden_remainder_y
      - .offset:         230
        .size:           2
        .value_kind:     hidden_remainder_z
      - .offset:         248
        .size:           8
        .value_kind:     hidden_global_offset_x
      - .offset:         256
        .size:           8
        .value_kind:     hidden_global_offset_y
      - .offset:         264
        .size:           8
        .value_kind:     hidden_global_offset_z
      - .offset:         272
        .size:           2
        .value_kind:     hidden_grid_dims
      - .offset:         288
        .size:           8
        .value_kind:     hidden_hostcall_buffer
    .group_segment_fixed_size: 0
    .kernarg_segment_align: 8
    .kernarg_segment_size: 464
    .language:       OpenCL C
    .language_version:
      - 2
      - 0
    .max_flat_workgroup_size: 256
    .name:           _ZL15flash_attn_tileILi112ELi112ELi8ELi4ELb1EEvPKcS1_S1_S1_S1_PKiPfP15HIP_vector_typeIfLj2EEffffjfiS5_IjLj3EEiiiiiiiiiiiliiliiiiil
    .private_segment_fixed_size: 16
    .sgpr_count:     36
    .sgpr_spill_count: 0
    .symbol:         _ZL15flash_attn_tileILi112ELi112ELi8ELi4ELb1EEvPKcS1_S1_S1_S1_PKiPfP15HIP_vector_typeIfLj2EEffffjfiS5_IjLj3EEiiiiiiiiiiiliiliiiiil.kd
    .uniform_work_group_size: 1
    .uses_dynamic_stack: false
    .vgpr_count:     40
    .vgpr_spill_count: 0
    .wavefront_size: 32
    .workgroup_processor_mode: 1
  - .args:
      - .address_space:  global
        .offset:         0
        .size:           8
        .value_kind:     global_buffer
      - .address_space:  global
        .offset:         8
        .size:           8
        .value_kind:     global_buffer
      - .address_space:  global
        .offset:         16
        .size:           8
        .value_kind:     global_buffer
      - .address_space:  global
        .offset:         24
        .size:           8
        .value_kind:     global_buffer
      - .address_space:  global
        .offset:         32
        .size:           8
        .value_kind:     global_buffer
      - .address_space:  global
        .offset:         40
        .size:           8
        .value_kind:     global_buffer
      - .address_space:  global
        .offset:         48
        .size:           8
        .value_kind:     global_buffer
      - .address_space:  global
        .offset:         56
        .size:           8
        .value_kind:     global_buffer
      - .offset:         64
        .size:           4
        .value_kind:     by_value
      - .offset:         68
        .size:           4
        .value_kind:     by_value
      - .offset:         72
        .size:           4
        .value_kind:     by_value
      - .offset:         76
        .size:           4
        .value_kind:     by_value
      - .offset:         80
        .size:           4
        .value_kind:     by_value
      - .offset:         84
        .size:           4
        .value_kind:     by_value
      - .offset:         88
        .size:           4
        .value_kind:     by_value
      - .offset:         92
        .size:           12
        .value_kind:     by_value
      - .offset:         104
        .size:           4
        .value_kind:     by_value
      - .offset:         108
        .size:           4
        .value_kind:     by_value
      - .offset:         112
        .size:           4
        .value_kind:     by_value
      - .offset:         116
        .size:           4
        .value_kind:     by_value
      - .offset:         120
        .size:           4
        .value_kind:     by_value
      - .offset:         124
        .size:           4
        .value_kind:     by_value
      - .offset:         128
        .size:           4
        .value_kind:     by_value
      - .offset:         132
        .size:           4
        .value_kind:     by_value
      - .offset:         136
        .size:           4
        .value_kind:     by_value
      - .offset:         140
        .size:           4
        .value_kind:     by_value
      - .offset:         144
        .size:           4
        .value_kind:     by_value
      - .offset:         152
        .size:           8
        .value_kind:     by_value
      - .offset:         160
        .size:           4
        .value_kind:     by_value
      - .offset:         164
        .size:           4
        .value_kind:     by_value
      - .offset:         168
        .size:           8
        .value_kind:     by_value
      - .offset:         176
        .size:           4
        .value_kind:     by_value
      - .offset:         180
        .size:           4
        .value_kind:     by_value
      - .offset:         184
        .size:           4
        .value_kind:     by_value
      - .offset:         188
        .size:           4
        .value_kind:     by_value
      - .offset:         192
        .size:           4
        .value_kind:     by_value
      - .offset:         200
        .size:           8
        .value_kind:     by_value
      - .offset:         208
        .size:           4
        .value_kind:     hidden_block_count_x
      - .offset:         212
        .size:           4
        .value_kind:     hidden_block_count_y
      - .offset:         216
        .size:           4
        .value_kind:     hidden_block_count_z
      - .offset:         220
        .size:           2
        .value_kind:     hidden_group_size_x
      - .offset:         222
        .size:           2
        .value_kind:     hidden_group_size_y
      - .offset:         224
        .size:           2
        .value_kind:     hidden_group_size_z
      - .offset:         226
        .size:           2
        .value_kind:     hidden_remainder_x
      - .offset:         228
        .size:           2
        .value_kind:     hidden_remainder_y
      - .offset:         230
        .size:           2
        .value_kind:     hidden_remainder_z
      - .offset:         248
        .size:           8
        .value_kind:     hidden_global_offset_x
      - .offset:         256
        .size:           8
        .value_kind:     hidden_global_offset_y
      - .offset:         264
        .size:           8
        .value_kind:     hidden_global_offset_z
      - .offset:         272
        .size:           2
        .value_kind:     hidden_grid_dims
      - .offset:         288
        .size:           8
        .value_kind:     hidden_hostcall_buffer
    .group_segment_fixed_size: 0
    .kernarg_segment_align: 8
    .kernarg_segment_size: 464
    .language:       OpenCL C
    .language_version:
      - 2
      - 0
    .max_flat_workgroup_size: 256
    .name:           _ZL15flash_attn_tileILi112ELi112ELi4ELi4ELb1EEvPKcS1_S1_S1_S1_PKiPfP15HIP_vector_typeIfLj2EEffffjfiS5_IjLj3EEiiiiiiiiiiiliiliiiiil
    .private_segment_fixed_size: 16
    .sgpr_count:     36
    .sgpr_spill_count: 0
    .symbol:         _ZL15flash_attn_tileILi112ELi112ELi4ELi4ELb1EEvPKcS1_S1_S1_S1_PKiPfP15HIP_vector_typeIfLj2EEffffjfiS5_IjLj3EEiiiiiiiiiiiliiliiiiil.kd
    .uniform_work_group_size: 1
    .uses_dynamic_stack: false
    .vgpr_count:     40
    .vgpr_spill_count: 0
    .wavefront_size: 32
    .workgroup_processor_mode: 1
  - .args:
      - .address_space:  global
        .offset:         0
        .size:           8
        .value_kind:     global_buffer
      - .address_space:  global
        .offset:         8
        .size:           8
        .value_kind:     global_buffer
      - .address_space:  global
        .offset:         16
        .size:           8
        .value_kind:     global_buffer
      - .address_space:  global
        .offset:         24
        .size:           8
        .value_kind:     global_buffer
      - .address_space:  global
        .offset:         32
        .size:           8
        .value_kind:     global_buffer
      - .address_space:  global
        .offset:         40
        .size:           8
        .value_kind:     global_buffer
      - .address_space:  global
        .offset:         48
        .size:           8
        .value_kind:     global_buffer
      - .address_space:  global
        .offset:         56
        .size:           8
        .value_kind:     global_buffer
      - .offset:         64
        .size:           4
        .value_kind:     by_value
      - .offset:         68
        .size:           4
        .value_kind:     by_value
      - .offset:         72
        .size:           4
        .value_kind:     by_value
      - .offset:         76
        .size:           4
        .value_kind:     by_value
      - .offset:         80
        .size:           4
        .value_kind:     by_value
      - .offset:         84
        .size:           4
        .value_kind:     by_value
      - .offset:         88
        .size:           4
        .value_kind:     by_value
      - .offset:         92
        .size:           12
        .value_kind:     by_value
      - .offset:         104
        .size:           4
        .value_kind:     by_value
      - .offset:         108
        .size:           4
        .value_kind:     by_value
      - .offset:         112
        .size:           4
        .value_kind:     by_value
      - .offset:         116
        .size:           4
        .value_kind:     by_value
      - .offset:         120
        .size:           4
        .value_kind:     by_value
      - .offset:         124
        .size:           4
        .value_kind:     by_value
      - .offset:         128
        .size:           4
        .value_kind:     by_value
      - .offset:         132
        .size:           4
        .value_kind:     by_value
      - .offset:         136
        .size:           4
        .value_kind:     by_value
      - .offset:         140
        .size:           4
        .value_kind:     by_value
      - .offset:         144
        .size:           4
        .value_kind:     by_value
      - .offset:         152
        .size:           8
        .value_kind:     by_value
      - .offset:         160
        .size:           4
        .value_kind:     by_value
      - .offset:         164
        .size:           4
        .value_kind:     by_value
      - .offset:         168
        .size:           8
        .value_kind:     by_value
      - .offset:         176
        .size:           4
        .value_kind:     by_value
      - .offset:         180
        .size:           4
        .value_kind:     by_value
      - .offset:         184
        .size:           4
        .value_kind:     by_value
      - .offset:         188
        .size:           4
        .value_kind:     by_value
      - .offset:         192
        .size:           4
        .value_kind:     by_value
      - .offset:         200
        .size:           8
        .value_kind:     by_value
      - .offset:         208
        .size:           4
        .value_kind:     hidden_block_count_x
      - .offset:         212
        .size:           4
        .value_kind:     hidden_block_count_y
      - .offset:         216
        .size:           4
        .value_kind:     hidden_block_count_z
      - .offset:         220
        .size:           2
        .value_kind:     hidden_group_size_x
      - .offset:         222
        .size:           2
        .value_kind:     hidden_group_size_y
      - .offset:         224
        .size:           2
        .value_kind:     hidden_group_size_z
      - .offset:         226
        .size:           2
        .value_kind:     hidden_remainder_x
      - .offset:         228
        .size:           2
        .value_kind:     hidden_remainder_y
      - .offset:         230
        .size:           2
        .value_kind:     hidden_remainder_z
      - .offset:         248
        .size:           8
        .value_kind:     hidden_global_offset_x
      - .offset:         256
        .size:           8
        .value_kind:     hidden_global_offset_y
      - .offset:         264
        .size:           8
        .value_kind:     hidden_global_offset_z
      - .offset:         272
        .size:           2
        .value_kind:     hidden_grid_dims
      - .offset:         288
        .size:           8
        .value_kind:     hidden_hostcall_buffer
    .group_segment_fixed_size: 0
    .kernarg_segment_align: 8
    .kernarg_segment_size: 464
    .language:       OpenCL C
    .language_version:
      - 2
      - 0
    .max_flat_workgroup_size: 256
    .name:           _ZL15flash_attn_tileILi112ELi112ELi2ELi4ELb1EEvPKcS1_S1_S1_S1_PKiPfP15HIP_vector_typeIfLj2EEffffjfiS5_IjLj3EEiiiiiiiiiiiliiliiiiil
    .private_segment_fixed_size: 16
    .sgpr_count:     36
    .sgpr_spill_count: 0
    .symbol:         _ZL15flash_attn_tileILi112ELi112ELi2ELi4ELb1EEvPKcS1_S1_S1_S1_PKiPfP15HIP_vector_typeIfLj2EEffffjfiS5_IjLj3EEiiiiiiiiiiiliiliiiiil.kd
    .uniform_work_group_size: 1
    .uses_dynamic_stack: false
    .vgpr_count:     40
    .vgpr_spill_count: 0
    .wavefront_size: 32
    .workgroup_processor_mode: 1
  - .args:
      - .address_space:  global
        .offset:         0
        .size:           8
        .value_kind:     global_buffer
      - .address_space:  global
        .offset:         8
        .size:           8
        .value_kind:     global_buffer
      - .address_space:  global
        .offset:         16
        .size:           8
        .value_kind:     global_buffer
      - .address_space:  global
        .offset:         24
        .size:           8
        .value_kind:     global_buffer
      - .address_space:  global
        .offset:         32
        .size:           8
        .value_kind:     global_buffer
      - .address_space:  global
        .offset:         40
        .size:           8
        .value_kind:     global_buffer
      - .address_space:  global
        .offset:         48
        .size:           8
        .value_kind:     global_buffer
      - .address_space:  global
        .offset:         56
        .size:           8
        .value_kind:     global_buffer
      - .offset:         64
        .size:           4
        .value_kind:     by_value
      - .offset:         68
        .size:           4
        .value_kind:     by_value
      - .offset:         72
        .size:           4
        .value_kind:     by_value
      - .offset:         76
        .size:           4
        .value_kind:     by_value
      - .offset:         80
        .size:           4
        .value_kind:     by_value
      - .offset:         84
        .size:           4
        .value_kind:     by_value
      - .offset:         88
        .size:           4
        .value_kind:     by_value
      - .offset:         92
        .size:           12
        .value_kind:     by_value
      - .offset:         104
        .size:           4
        .value_kind:     by_value
      - .offset:         108
        .size:           4
        .value_kind:     by_value
      - .offset:         112
        .size:           4
        .value_kind:     by_value
      - .offset:         116
        .size:           4
        .value_kind:     by_value
      - .offset:         120
        .size:           4
        .value_kind:     by_value
      - .offset:         124
        .size:           4
        .value_kind:     by_value
      - .offset:         128
        .size:           4
        .value_kind:     by_value
      - .offset:         132
        .size:           4
        .value_kind:     by_value
      - .offset:         136
        .size:           4
        .value_kind:     by_value
      - .offset:         140
        .size:           4
        .value_kind:     by_value
      - .offset:         144
        .size:           4
        .value_kind:     by_value
      - .offset:         152
        .size:           8
        .value_kind:     by_value
      - .offset:         160
        .size:           4
        .value_kind:     by_value
      - .offset:         164
        .size:           4
        .value_kind:     by_value
      - .offset:         168
        .size:           8
        .value_kind:     by_value
      - .offset:         176
        .size:           4
        .value_kind:     by_value
      - .offset:         180
        .size:           4
        .value_kind:     by_value
      - .offset:         184
        .size:           4
        .value_kind:     by_value
      - .offset:         188
        .size:           4
        .value_kind:     by_value
      - .offset:         192
        .size:           4
        .value_kind:     by_value
      - .offset:         200
        .size:           8
        .value_kind:     by_value
      - .offset:         208
        .size:           4
        .value_kind:     hidden_block_count_x
      - .offset:         212
        .size:           4
        .value_kind:     hidden_block_count_y
      - .offset:         216
        .size:           4
        .value_kind:     hidden_block_count_z
      - .offset:         220
        .size:           2
        .value_kind:     hidden_group_size_x
      - .offset:         222
        .size:           2
        .value_kind:     hidden_group_size_y
      - .offset:         224
        .size:           2
        .value_kind:     hidden_group_size_z
      - .offset:         226
        .size:           2
        .value_kind:     hidden_remainder_x
      - .offset:         228
        .size:           2
        .value_kind:     hidden_remainder_y
      - .offset:         230
        .size:           2
        .value_kind:     hidden_remainder_z
      - .offset:         248
        .size:           8
        .value_kind:     hidden_global_offset_x
      - .offset:         256
        .size:           8
        .value_kind:     hidden_global_offset_y
      - .offset:         264
        .size:           8
        .value_kind:     hidden_global_offset_z
      - .offset:         272
        .size:           2
        .value_kind:     hidden_grid_dims
      - .offset:         288
        .size:           8
        .value_kind:     hidden_hostcall_buffer
    .group_segment_fixed_size: 0
    .kernarg_segment_align: 8
    .kernarg_segment_size: 464
    .language:       OpenCL C
    .language_version:
      - 2
      - 0
    .max_flat_workgroup_size: 128
    .name:           _ZL15flash_attn_tileILi112ELi112ELi1ELi4ELb1EEvPKcS1_S1_S1_S1_PKiPfP15HIP_vector_typeIfLj2EEffffjfiS5_IjLj3EEiiiiiiiiiiiliiliiiiil
    .private_segment_fixed_size: 16
    .sgpr_count:     36
    .sgpr_spill_count: 0
    .symbol:         _ZL15flash_attn_tileILi112ELi112ELi1ELi4ELb1EEvPKcS1_S1_S1_S1_PKiPfP15HIP_vector_typeIfLj2EEffffjfiS5_IjLj3EEiiiiiiiiiiiliiliiiiil.kd
    .uniform_work_group_size: 1
    .uses_dynamic_stack: false
    .vgpr_count:     40
    .vgpr_spill_count: 0
    .wavefront_size: 32
    .workgroup_processor_mode: 1
  - .args:
      - .address_space:  global
        .offset:         0
        .size:           8
        .value_kind:     global_buffer
      - .address_space:  global
        .offset:         8
        .size:           8
        .value_kind:     global_buffer
      - .address_space:  global
        .offset:         16
        .size:           8
        .value_kind:     global_buffer
      - .address_space:  global
        .offset:         24
        .size:           8
        .value_kind:     global_buffer
      - .address_space:  global
        .offset:         32
        .size:           8
        .value_kind:     global_buffer
      - .address_space:  global
        .offset:         40
        .size:           8
        .value_kind:     global_buffer
      - .address_space:  global
        .offset:         48
        .size:           8
        .value_kind:     global_buffer
      - .address_space:  global
        .offset:         56
        .size:           8
        .value_kind:     global_buffer
      - .offset:         64
        .size:           4
        .value_kind:     by_value
      - .offset:         68
        .size:           4
        .value_kind:     by_value
      - .offset:         72
        .size:           4
        .value_kind:     by_value
      - .offset:         76
        .size:           4
        .value_kind:     by_value
      - .offset:         80
        .size:           4
        .value_kind:     by_value
      - .offset:         84
        .size:           4
        .value_kind:     by_value
      - .offset:         88
        .size:           4
        .value_kind:     by_value
      - .offset:         92
        .size:           12
        .value_kind:     by_value
      - .offset:         104
        .size:           4
        .value_kind:     by_value
      - .offset:         108
        .size:           4
        .value_kind:     by_value
      - .offset:         112
        .size:           4
        .value_kind:     by_value
      - .offset:         116
        .size:           4
        .value_kind:     by_value
      - .offset:         120
        .size:           4
        .value_kind:     by_value
      - .offset:         124
        .size:           4
        .value_kind:     by_value
      - .offset:         128
        .size:           4
        .value_kind:     by_value
      - .offset:         132
        .size:           4
        .value_kind:     by_value
      - .offset:         136
        .size:           4
        .value_kind:     by_value
      - .offset:         140
        .size:           4
        .value_kind:     by_value
      - .offset:         144
        .size:           4
        .value_kind:     by_value
      - .offset:         152
        .size:           8
        .value_kind:     by_value
      - .offset:         160
        .size:           4
        .value_kind:     by_value
      - .offset:         164
        .size:           4
        .value_kind:     by_value
      - .offset:         168
        .size:           8
        .value_kind:     by_value
      - .offset:         176
        .size:           4
        .value_kind:     by_value
      - .offset:         180
        .size:           4
        .value_kind:     by_value
      - .offset:         184
        .size:           4
        .value_kind:     by_value
      - .offset:         188
        .size:           4
        .value_kind:     by_value
      - .offset:         192
        .size:           4
        .value_kind:     by_value
      - .offset:         200
        .size:           8
        .value_kind:     by_value
      - .offset:         208
        .size:           4
        .value_kind:     hidden_block_count_x
      - .offset:         212
        .size:           4
        .value_kind:     hidden_block_count_y
      - .offset:         216
        .size:           4
        .value_kind:     hidden_block_count_z
      - .offset:         220
        .size:           2
        .value_kind:     hidden_group_size_x
      - .offset:         222
        .size:           2
        .value_kind:     hidden_group_size_y
      - .offset:         224
        .size:           2
        .value_kind:     hidden_group_size_z
      - .offset:         226
        .size:           2
        .value_kind:     hidden_remainder_x
      - .offset:         228
        .size:           2
        .value_kind:     hidden_remainder_y
      - .offset:         230
        .size:           2
        .value_kind:     hidden_remainder_z
      - .offset:         248
        .size:           8
        .value_kind:     hidden_global_offset_x
      - .offset:         256
        .size:           8
        .value_kind:     hidden_global_offset_y
      - .offset:         264
        .size:           8
        .value_kind:     hidden_global_offset_z
      - .offset:         272
        .size:           2
        .value_kind:     hidden_grid_dims
      - .offset:         288
        .size:           8
        .value_kind:     hidden_hostcall_buffer
    .group_segment_fixed_size: 0
    .kernarg_segment_align: 8
    .kernarg_segment_size: 464
    .language:       OpenCL C
    .language_version:
      - 2
      - 0
    .max_flat_workgroup_size: 256
    .name:           _ZL15flash_attn_tileILi112ELi112ELi32ELi2ELb1EEvPKcS1_S1_S1_S1_PKiPfP15HIP_vector_typeIfLj2EEffffjfiS5_IjLj3EEiiiiiiiiiiiliiliiiiil
    .private_segment_fixed_size: 16
    .sgpr_count:     36
    .sgpr_spill_count: 0
    .symbol:         _ZL15flash_attn_tileILi112ELi112ELi32ELi2ELb1EEvPKcS1_S1_S1_S1_PKiPfP15HIP_vector_typeIfLj2EEffffjfiS5_IjLj3EEiiiiiiiiiiiliiliiiiil.kd
    .uniform_work_group_size: 1
    .uses_dynamic_stack: false
    .vgpr_count:     40
    .vgpr_spill_count: 0
    .wavefront_size: 32
    .workgroup_processor_mode: 1
  - .args:
      - .address_space:  global
        .offset:         0
        .size:           8
        .value_kind:     global_buffer
      - .address_space:  global
        .offset:         8
        .size:           8
        .value_kind:     global_buffer
      - .address_space:  global
        .offset:         16
        .size:           8
        .value_kind:     global_buffer
      - .address_space:  global
        .offset:         24
        .size:           8
        .value_kind:     global_buffer
      - .address_space:  global
        .offset:         32
        .size:           8
        .value_kind:     global_buffer
      - .address_space:  global
        .offset:         40
        .size:           8
        .value_kind:     global_buffer
      - .address_space:  global
        .offset:         48
        .size:           8
        .value_kind:     global_buffer
      - .address_space:  global
        .offset:         56
        .size:           8
        .value_kind:     global_buffer
      - .offset:         64
        .size:           4
        .value_kind:     by_value
      - .offset:         68
        .size:           4
        .value_kind:     by_value
      - .offset:         72
        .size:           4
        .value_kind:     by_value
      - .offset:         76
        .size:           4
        .value_kind:     by_value
      - .offset:         80
        .size:           4
        .value_kind:     by_value
      - .offset:         84
        .size:           4
        .value_kind:     by_value
      - .offset:         88
        .size:           4
        .value_kind:     by_value
      - .offset:         92
        .size:           12
        .value_kind:     by_value
      - .offset:         104
        .size:           4
        .value_kind:     by_value
      - .offset:         108
        .size:           4
        .value_kind:     by_value
      - .offset:         112
        .size:           4
        .value_kind:     by_value
      - .offset:         116
        .size:           4
        .value_kind:     by_value
      - .offset:         120
        .size:           4
        .value_kind:     by_value
      - .offset:         124
        .size:           4
        .value_kind:     by_value
      - .offset:         128
        .size:           4
        .value_kind:     by_value
      - .offset:         132
        .size:           4
        .value_kind:     by_value
      - .offset:         136
        .size:           4
        .value_kind:     by_value
      - .offset:         140
        .size:           4
        .value_kind:     by_value
      - .offset:         144
        .size:           4
        .value_kind:     by_value
      - .offset:         152
        .size:           8
        .value_kind:     by_value
      - .offset:         160
        .size:           4
        .value_kind:     by_value
      - .offset:         164
        .size:           4
        .value_kind:     by_value
      - .offset:         168
        .size:           8
        .value_kind:     by_value
      - .offset:         176
        .size:           4
        .value_kind:     by_value
      - .offset:         180
        .size:           4
        .value_kind:     by_value
      - .offset:         184
        .size:           4
        .value_kind:     by_value
      - .offset:         188
        .size:           4
        .value_kind:     by_value
      - .offset:         192
        .size:           4
        .value_kind:     by_value
      - .offset:         200
        .size:           8
        .value_kind:     by_value
      - .offset:         208
        .size:           4
        .value_kind:     hidden_block_count_x
      - .offset:         212
        .size:           4
        .value_kind:     hidden_block_count_y
      - .offset:         216
        .size:           4
        .value_kind:     hidden_block_count_z
      - .offset:         220
        .size:           2
        .value_kind:     hidden_group_size_x
      - .offset:         222
        .size:           2
        .value_kind:     hidden_group_size_y
      - .offset:         224
        .size:           2
        .value_kind:     hidden_group_size_z
      - .offset:         226
        .size:           2
        .value_kind:     hidden_remainder_x
      - .offset:         228
        .size:           2
        .value_kind:     hidden_remainder_y
      - .offset:         230
        .size:           2
        .value_kind:     hidden_remainder_z
      - .offset:         248
        .size:           8
        .value_kind:     hidden_global_offset_x
      - .offset:         256
        .size:           8
        .value_kind:     hidden_global_offset_y
      - .offset:         264
        .size:           8
        .value_kind:     hidden_global_offset_z
      - .offset:         272
        .size:           2
        .value_kind:     hidden_grid_dims
      - .offset:         288
        .size:           8
        .value_kind:     hidden_hostcall_buffer
    .group_segment_fixed_size: 0
    .kernarg_segment_align: 8
    .kernarg_segment_size: 464
    .language:       OpenCL C
    .language_version:
      - 2
      - 0
    .max_flat_workgroup_size: 256
    .name:           _ZL15flash_attn_tileILi112ELi112ELi16ELi2ELb1EEvPKcS1_S1_S1_S1_PKiPfP15HIP_vector_typeIfLj2EEffffjfiS5_IjLj3EEiiiiiiiiiiiliiliiiiil
    .private_segment_fixed_size: 16
    .sgpr_count:     36
    .sgpr_spill_count: 0
    .symbol:         _ZL15flash_attn_tileILi112ELi112ELi16ELi2ELb1EEvPKcS1_S1_S1_S1_PKiPfP15HIP_vector_typeIfLj2EEffffjfiS5_IjLj3EEiiiiiiiiiiiliiliiiiil.kd
    .uniform_work_group_size: 1
    .uses_dynamic_stack: false
    .vgpr_count:     40
    .vgpr_spill_count: 0
    .wavefront_size: 32
    .workgroup_processor_mode: 1
  - .args:
      - .address_space:  global
        .offset:         0
        .size:           8
        .value_kind:     global_buffer
      - .address_space:  global
        .offset:         8
        .size:           8
        .value_kind:     global_buffer
      - .address_space:  global
        .offset:         16
        .size:           8
        .value_kind:     global_buffer
      - .address_space:  global
        .offset:         24
        .size:           8
        .value_kind:     global_buffer
      - .address_space:  global
        .offset:         32
        .size:           8
        .value_kind:     global_buffer
      - .address_space:  global
        .offset:         40
        .size:           8
        .value_kind:     global_buffer
      - .address_space:  global
        .offset:         48
        .size:           8
        .value_kind:     global_buffer
      - .address_space:  global
        .offset:         56
        .size:           8
        .value_kind:     global_buffer
      - .offset:         64
        .size:           4
        .value_kind:     by_value
      - .offset:         68
        .size:           4
        .value_kind:     by_value
      - .offset:         72
        .size:           4
        .value_kind:     by_value
      - .offset:         76
        .size:           4
        .value_kind:     by_value
      - .offset:         80
        .size:           4
        .value_kind:     by_value
      - .offset:         84
        .size:           4
        .value_kind:     by_value
      - .offset:         88
        .size:           4
        .value_kind:     by_value
      - .offset:         92
        .size:           12
        .value_kind:     by_value
      - .offset:         104
        .size:           4
        .value_kind:     by_value
      - .offset:         108
        .size:           4
        .value_kind:     by_value
      - .offset:         112
        .size:           4
        .value_kind:     by_value
      - .offset:         116
        .size:           4
        .value_kind:     by_value
      - .offset:         120
        .size:           4
        .value_kind:     by_value
      - .offset:         124
        .size:           4
        .value_kind:     by_value
      - .offset:         128
        .size:           4
        .value_kind:     by_value
      - .offset:         132
        .size:           4
        .value_kind:     by_value
      - .offset:         136
        .size:           4
        .value_kind:     by_value
      - .offset:         140
        .size:           4
        .value_kind:     by_value
      - .offset:         144
        .size:           4
        .value_kind:     by_value
      - .offset:         152
        .size:           8
        .value_kind:     by_value
      - .offset:         160
        .size:           4
        .value_kind:     by_value
      - .offset:         164
        .size:           4
        .value_kind:     by_value
      - .offset:         168
        .size:           8
        .value_kind:     by_value
      - .offset:         176
        .size:           4
        .value_kind:     by_value
      - .offset:         180
        .size:           4
        .value_kind:     by_value
      - .offset:         184
        .size:           4
        .value_kind:     by_value
      - .offset:         188
        .size:           4
        .value_kind:     by_value
      - .offset:         192
        .size:           4
        .value_kind:     by_value
      - .offset:         200
        .size:           8
        .value_kind:     by_value
      - .offset:         208
        .size:           4
        .value_kind:     hidden_block_count_x
      - .offset:         212
        .size:           4
        .value_kind:     hidden_block_count_y
      - .offset:         216
        .size:           4
        .value_kind:     hidden_block_count_z
      - .offset:         220
        .size:           2
        .value_kind:     hidden_group_size_x
      - .offset:         222
        .size:           2
        .value_kind:     hidden_group_size_y
      - .offset:         224
        .size:           2
        .value_kind:     hidden_group_size_z
      - .offset:         226
        .size:           2
        .value_kind:     hidden_remainder_x
      - .offset:         228
        .size:           2
        .value_kind:     hidden_remainder_y
      - .offset:         230
        .size:           2
        .value_kind:     hidden_remainder_z
      - .offset:         248
        .size:           8
        .value_kind:     hidden_global_offset_x
      - .offset:         256
        .size:           8
        .value_kind:     hidden_global_offset_y
      - .offset:         264
        .size:           8
        .value_kind:     hidden_global_offset_z
      - .offset:         272
        .size:           2
        .value_kind:     hidden_grid_dims
      - .offset:         288
        .size:           8
        .value_kind:     hidden_hostcall_buffer
    .group_segment_fixed_size: 0
    .kernarg_segment_align: 8
    .kernarg_segment_size: 464
    .language:       OpenCL C
    .language_version:
      - 2
      - 0
    .max_flat_workgroup_size: 256
    .name:           _ZL15flash_attn_tileILi112ELi112ELi8ELi2ELb1EEvPKcS1_S1_S1_S1_PKiPfP15HIP_vector_typeIfLj2EEffffjfiS5_IjLj3EEiiiiiiiiiiiliiliiiiil
    .private_segment_fixed_size: 16
    .sgpr_count:     36
    .sgpr_spill_count: 0
    .symbol:         _ZL15flash_attn_tileILi112ELi112ELi8ELi2ELb1EEvPKcS1_S1_S1_S1_PKiPfP15HIP_vector_typeIfLj2EEffffjfiS5_IjLj3EEiiiiiiiiiiiliiliiiiil.kd
    .uniform_work_group_size: 1
    .uses_dynamic_stack: false
    .vgpr_count:     40
    .vgpr_spill_count: 0
    .wavefront_size: 32
    .workgroup_processor_mode: 1
  - .args:
      - .address_space:  global
        .offset:         0
        .size:           8
        .value_kind:     global_buffer
      - .address_space:  global
        .offset:         8
        .size:           8
        .value_kind:     global_buffer
      - .address_space:  global
        .offset:         16
        .size:           8
        .value_kind:     global_buffer
      - .address_space:  global
        .offset:         24
        .size:           8
        .value_kind:     global_buffer
      - .address_space:  global
        .offset:         32
        .size:           8
        .value_kind:     global_buffer
      - .address_space:  global
        .offset:         40
        .size:           8
        .value_kind:     global_buffer
      - .address_space:  global
        .offset:         48
        .size:           8
        .value_kind:     global_buffer
      - .address_space:  global
        .offset:         56
        .size:           8
        .value_kind:     global_buffer
      - .offset:         64
        .size:           4
        .value_kind:     by_value
      - .offset:         68
        .size:           4
        .value_kind:     by_value
      - .offset:         72
        .size:           4
        .value_kind:     by_value
      - .offset:         76
        .size:           4
        .value_kind:     by_value
      - .offset:         80
        .size:           4
        .value_kind:     by_value
      - .offset:         84
        .size:           4
        .value_kind:     by_value
      - .offset:         88
        .size:           4
        .value_kind:     by_value
      - .offset:         92
        .size:           12
        .value_kind:     by_value
      - .offset:         104
        .size:           4
        .value_kind:     by_value
      - .offset:         108
        .size:           4
        .value_kind:     by_value
      - .offset:         112
        .size:           4
        .value_kind:     by_value
      - .offset:         116
        .size:           4
        .value_kind:     by_value
      - .offset:         120
        .size:           4
        .value_kind:     by_value
      - .offset:         124
        .size:           4
        .value_kind:     by_value
      - .offset:         128
        .size:           4
        .value_kind:     by_value
      - .offset:         132
        .size:           4
        .value_kind:     by_value
      - .offset:         136
        .size:           4
        .value_kind:     by_value
      - .offset:         140
        .size:           4
        .value_kind:     by_value
      - .offset:         144
        .size:           4
        .value_kind:     by_value
      - .offset:         152
        .size:           8
        .value_kind:     by_value
      - .offset:         160
        .size:           4
        .value_kind:     by_value
      - .offset:         164
        .size:           4
        .value_kind:     by_value
      - .offset:         168
        .size:           8
        .value_kind:     by_value
      - .offset:         176
        .size:           4
        .value_kind:     by_value
      - .offset:         180
        .size:           4
        .value_kind:     by_value
      - .offset:         184
        .size:           4
        .value_kind:     by_value
      - .offset:         188
        .size:           4
        .value_kind:     by_value
      - .offset:         192
        .size:           4
        .value_kind:     by_value
      - .offset:         200
        .size:           8
        .value_kind:     by_value
      - .offset:         208
        .size:           4
        .value_kind:     hidden_block_count_x
      - .offset:         212
        .size:           4
        .value_kind:     hidden_block_count_y
      - .offset:         216
        .size:           4
        .value_kind:     hidden_block_count_z
      - .offset:         220
        .size:           2
        .value_kind:     hidden_group_size_x
      - .offset:         222
        .size:           2
        .value_kind:     hidden_group_size_y
      - .offset:         224
        .size:           2
        .value_kind:     hidden_group_size_z
      - .offset:         226
        .size:           2
        .value_kind:     hidden_remainder_x
      - .offset:         228
        .size:           2
        .value_kind:     hidden_remainder_y
      - .offset:         230
        .size:           2
        .value_kind:     hidden_remainder_z
      - .offset:         248
        .size:           8
        .value_kind:     hidden_global_offset_x
      - .offset:         256
        .size:           8
        .value_kind:     hidden_global_offset_y
      - .offset:         264
        .size:           8
        .value_kind:     hidden_global_offset_z
      - .offset:         272
        .size:           2
        .value_kind:     hidden_grid_dims
      - .offset:         288
        .size:           8
        .value_kind:     hidden_hostcall_buffer
    .group_segment_fixed_size: 0
    .kernarg_segment_align: 8
    .kernarg_segment_size: 464
    .language:       OpenCL C
    .language_version:
      - 2
      - 0
    .max_flat_workgroup_size: 256
    .name:           _ZL15flash_attn_tileILi112ELi112ELi4ELi2ELb1EEvPKcS1_S1_S1_S1_PKiPfP15HIP_vector_typeIfLj2EEffffjfiS5_IjLj3EEiiiiiiiiiiiliiliiiiil
    .private_segment_fixed_size: 16
    .sgpr_count:     36
    .sgpr_spill_count: 0
    .symbol:         _ZL15flash_attn_tileILi112ELi112ELi4ELi2ELb1EEvPKcS1_S1_S1_S1_PKiPfP15HIP_vector_typeIfLj2EEffffjfiS5_IjLj3EEiiiiiiiiiiiliiliiiiil.kd
    .uniform_work_group_size: 1
    .uses_dynamic_stack: false
    .vgpr_count:     40
    .vgpr_spill_count: 0
    .wavefront_size: 32
    .workgroup_processor_mode: 1
  - .args:
      - .address_space:  global
        .offset:         0
        .size:           8
        .value_kind:     global_buffer
      - .address_space:  global
        .offset:         8
        .size:           8
        .value_kind:     global_buffer
      - .address_space:  global
        .offset:         16
        .size:           8
        .value_kind:     global_buffer
      - .address_space:  global
        .offset:         24
        .size:           8
        .value_kind:     global_buffer
      - .address_space:  global
        .offset:         32
        .size:           8
        .value_kind:     global_buffer
      - .address_space:  global
        .offset:         40
        .size:           8
        .value_kind:     global_buffer
      - .address_space:  global
        .offset:         48
        .size:           8
        .value_kind:     global_buffer
      - .address_space:  global
        .offset:         56
        .size:           8
        .value_kind:     global_buffer
      - .offset:         64
        .size:           4
        .value_kind:     by_value
      - .offset:         68
        .size:           4
        .value_kind:     by_value
      - .offset:         72
        .size:           4
        .value_kind:     by_value
      - .offset:         76
        .size:           4
        .value_kind:     by_value
      - .offset:         80
        .size:           4
        .value_kind:     by_value
      - .offset:         84
        .size:           4
        .value_kind:     by_value
      - .offset:         88
        .size:           4
        .value_kind:     by_value
      - .offset:         92
        .size:           12
        .value_kind:     by_value
      - .offset:         104
        .size:           4
        .value_kind:     by_value
      - .offset:         108
        .size:           4
        .value_kind:     by_value
      - .offset:         112
        .size:           4
        .value_kind:     by_value
      - .offset:         116
        .size:           4
        .value_kind:     by_value
      - .offset:         120
        .size:           4
        .value_kind:     by_value
      - .offset:         124
        .size:           4
        .value_kind:     by_value
      - .offset:         128
        .size:           4
        .value_kind:     by_value
      - .offset:         132
        .size:           4
        .value_kind:     by_value
      - .offset:         136
        .size:           4
        .value_kind:     by_value
      - .offset:         140
        .size:           4
        .value_kind:     by_value
      - .offset:         144
        .size:           4
        .value_kind:     by_value
      - .offset:         152
        .size:           8
        .value_kind:     by_value
      - .offset:         160
        .size:           4
        .value_kind:     by_value
      - .offset:         164
        .size:           4
        .value_kind:     by_value
      - .offset:         168
        .size:           8
        .value_kind:     by_value
      - .offset:         176
        .size:           4
        .value_kind:     by_value
      - .offset:         180
        .size:           4
        .value_kind:     by_value
      - .offset:         184
        .size:           4
        .value_kind:     by_value
      - .offset:         188
        .size:           4
        .value_kind:     by_value
      - .offset:         192
        .size:           4
        .value_kind:     by_value
      - .offset:         200
        .size:           8
        .value_kind:     by_value
      - .offset:         208
        .size:           4
        .value_kind:     hidden_block_count_x
      - .offset:         212
        .size:           4
        .value_kind:     hidden_block_count_y
      - .offset:         216
        .size:           4
        .value_kind:     hidden_block_count_z
      - .offset:         220
        .size:           2
        .value_kind:     hidden_group_size_x
      - .offset:         222
        .size:           2
        .value_kind:     hidden_group_size_y
      - .offset:         224
        .size:           2
        .value_kind:     hidden_group_size_z
      - .offset:         226
        .size:           2
        .value_kind:     hidden_remainder_x
      - .offset:         228
        .size:           2
        .value_kind:     hidden_remainder_y
      - .offset:         230
        .size:           2
        .value_kind:     hidden_remainder_z
      - .offset:         248
        .size:           8
        .value_kind:     hidden_global_offset_x
      - .offset:         256
        .size:           8
        .value_kind:     hidden_global_offset_y
      - .offset:         264
        .size:           8
        .value_kind:     hidden_global_offset_z
      - .offset:         272
        .size:           2
        .value_kind:     hidden_grid_dims
      - .offset:         288
        .size:           8
        .value_kind:     hidden_hostcall_buffer
    .group_segment_fixed_size: 0
    .kernarg_segment_align: 8
    .kernarg_segment_size: 464
    .language:       OpenCL C
    .language_version:
      - 2
      - 0
    .max_flat_workgroup_size: 128
    .name:           _ZL15flash_attn_tileILi112ELi112ELi2ELi2ELb1EEvPKcS1_S1_S1_S1_PKiPfP15HIP_vector_typeIfLj2EEffffjfiS5_IjLj3EEiiiiiiiiiiiliiliiiiil
    .private_segment_fixed_size: 16
    .sgpr_count:     36
    .sgpr_spill_count: 0
    .symbol:         _ZL15flash_attn_tileILi112ELi112ELi2ELi2ELb1EEvPKcS1_S1_S1_S1_PKiPfP15HIP_vector_typeIfLj2EEffffjfiS5_IjLj3EEiiiiiiiiiiiliiliiiiil.kd
    .uniform_work_group_size: 1
    .uses_dynamic_stack: false
    .vgpr_count:     40
    .vgpr_spill_count: 0
    .wavefront_size: 32
    .workgroup_processor_mode: 1
  - .args:
      - .address_space:  global
        .offset:         0
        .size:           8
        .value_kind:     global_buffer
      - .address_space:  global
        .offset:         8
        .size:           8
        .value_kind:     global_buffer
      - .address_space:  global
        .offset:         16
        .size:           8
        .value_kind:     global_buffer
      - .address_space:  global
        .offset:         24
        .size:           8
        .value_kind:     global_buffer
      - .address_space:  global
        .offset:         32
        .size:           8
        .value_kind:     global_buffer
      - .address_space:  global
        .offset:         40
        .size:           8
        .value_kind:     global_buffer
      - .address_space:  global
        .offset:         48
        .size:           8
        .value_kind:     global_buffer
      - .address_space:  global
        .offset:         56
        .size:           8
        .value_kind:     global_buffer
      - .offset:         64
        .size:           4
        .value_kind:     by_value
      - .offset:         68
        .size:           4
        .value_kind:     by_value
      - .offset:         72
        .size:           4
        .value_kind:     by_value
      - .offset:         76
        .size:           4
        .value_kind:     by_value
      - .offset:         80
        .size:           4
        .value_kind:     by_value
      - .offset:         84
        .size:           4
        .value_kind:     by_value
      - .offset:         88
        .size:           4
        .value_kind:     by_value
      - .offset:         92
        .size:           12
        .value_kind:     by_value
      - .offset:         104
        .size:           4
        .value_kind:     by_value
      - .offset:         108
        .size:           4
        .value_kind:     by_value
      - .offset:         112
        .size:           4
        .value_kind:     by_value
      - .offset:         116
        .size:           4
        .value_kind:     by_value
      - .offset:         120
        .size:           4
        .value_kind:     by_value
      - .offset:         124
        .size:           4
        .value_kind:     by_value
      - .offset:         128
        .size:           4
        .value_kind:     by_value
      - .offset:         132
        .size:           4
        .value_kind:     by_value
      - .offset:         136
        .size:           4
        .value_kind:     by_value
      - .offset:         140
        .size:           4
        .value_kind:     by_value
      - .offset:         144
        .size:           4
        .value_kind:     by_value
      - .offset:         152
        .size:           8
        .value_kind:     by_value
      - .offset:         160
        .size:           4
        .value_kind:     by_value
      - .offset:         164
        .size:           4
        .value_kind:     by_value
      - .offset:         168
        .size:           8
        .value_kind:     by_value
      - .offset:         176
        .size:           4
        .value_kind:     by_value
      - .offset:         180
        .size:           4
        .value_kind:     by_value
      - .offset:         184
        .size:           4
        .value_kind:     by_value
      - .offset:         188
        .size:           4
        .value_kind:     by_value
      - .offset:         192
        .size:           4
        .value_kind:     by_value
      - .offset:         200
        .size:           8
        .value_kind:     by_value
      - .offset:         208
        .size:           4
        .value_kind:     hidden_block_count_x
      - .offset:         212
        .size:           4
        .value_kind:     hidden_block_count_y
      - .offset:         216
        .size:           4
        .value_kind:     hidden_block_count_z
      - .offset:         220
        .size:           2
        .value_kind:     hidden_group_size_x
      - .offset:         222
        .size:           2
        .value_kind:     hidden_group_size_y
      - .offset:         224
        .size:           2
        .value_kind:     hidden_group_size_z
      - .offset:         226
        .size:           2
        .value_kind:     hidden_remainder_x
      - .offset:         228
        .size:           2
        .value_kind:     hidden_remainder_y
      - .offset:         230
        .size:           2
        .value_kind:     hidden_remainder_z
      - .offset:         248
        .size:           8
        .value_kind:     hidden_global_offset_x
      - .offset:         256
        .size:           8
        .value_kind:     hidden_global_offset_y
      - .offset:         264
        .size:           8
        .value_kind:     hidden_global_offset_z
      - .offset:         272
        .size:           2
        .value_kind:     hidden_grid_dims
      - .offset:         288
        .size:           8
        .value_kind:     hidden_hostcall_buffer
    .group_segment_fixed_size: 0
    .kernarg_segment_align: 8
    .kernarg_segment_size: 464
    .language:       OpenCL C
    .language_version:
      - 2
      - 0
    .max_flat_workgroup_size: 64
    .name:           _ZL15flash_attn_tileILi112ELi112ELi1ELi2ELb1EEvPKcS1_S1_S1_S1_PKiPfP15HIP_vector_typeIfLj2EEffffjfiS5_IjLj3EEiiiiiiiiiiiliiliiiiil
    .private_segment_fixed_size: 16
    .sgpr_count:     36
    .sgpr_spill_count: 0
    .symbol:         _ZL15flash_attn_tileILi112ELi112ELi1ELi2ELb1EEvPKcS1_S1_S1_S1_PKiPfP15HIP_vector_typeIfLj2EEffffjfiS5_IjLj3EEiiiiiiiiiiiliiliiiiil.kd
    .uniform_work_group_size: 1
    .uses_dynamic_stack: false
    .vgpr_count:     40
    .vgpr_spill_count: 0
    .wavefront_size: 32
    .workgroup_processor_mode: 1
  - .args:
      - .address_space:  global
        .offset:         0
        .size:           8
        .value_kind:     global_buffer
      - .address_space:  global
        .offset:         8
        .size:           8
        .value_kind:     global_buffer
      - .address_space:  global
        .offset:         16
        .size:           8
        .value_kind:     global_buffer
      - .address_space:  global
        .offset:         24
        .size:           8
        .value_kind:     global_buffer
      - .address_space:  global
        .offset:         32
        .size:           8
        .value_kind:     global_buffer
      - .address_space:  global
        .offset:         40
        .size:           8
        .value_kind:     global_buffer
      - .address_space:  global
        .offset:         48
        .size:           8
        .value_kind:     global_buffer
      - .address_space:  global
        .offset:         56
        .size:           8
        .value_kind:     global_buffer
      - .offset:         64
        .size:           4
        .value_kind:     by_value
      - .offset:         68
        .size:           4
        .value_kind:     by_value
      - .offset:         72
        .size:           4
        .value_kind:     by_value
      - .offset:         76
        .size:           4
        .value_kind:     by_value
      - .offset:         80
        .size:           4
        .value_kind:     by_value
      - .offset:         84
        .size:           4
        .value_kind:     by_value
      - .offset:         88
        .size:           4
        .value_kind:     by_value
      - .offset:         92
        .size:           12
        .value_kind:     by_value
      - .offset:         104
        .size:           4
        .value_kind:     by_value
      - .offset:         108
        .size:           4
        .value_kind:     by_value
      - .offset:         112
        .size:           4
        .value_kind:     by_value
      - .offset:         116
        .size:           4
        .value_kind:     by_value
      - .offset:         120
        .size:           4
        .value_kind:     by_value
      - .offset:         124
        .size:           4
        .value_kind:     by_value
      - .offset:         128
        .size:           4
        .value_kind:     by_value
      - .offset:         132
        .size:           4
        .value_kind:     by_value
      - .offset:         136
        .size:           4
        .value_kind:     by_value
      - .offset:         140
        .size:           4
        .value_kind:     by_value
      - .offset:         144
        .size:           4
        .value_kind:     by_value
      - .offset:         152
        .size:           8
        .value_kind:     by_value
      - .offset:         160
        .size:           4
        .value_kind:     by_value
      - .offset:         164
        .size:           4
        .value_kind:     by_value
      - .offset:         168
        .size:           8
        .value_kind:     by_value
      - .offset:         176
        .size:           4
        .value_kind:     by_value
      - .offset:         180
        .size:           4
        .value_kind:     by_value
      - .offset:         184
        .size:           4
        .value_kind:     by_value
      - .offset:         188
        .size:           4
        .value_kind:     by_value
      - .offset:         192
        .size:           4
        .value_kind:     by_value
      - .offset:         200
        .size:           8
        .value_kind:     by_value
      - .offset:         208
        .size:           4
        .value_kind:     hidden_block_count_x
      - .offset:         212
        .size:           4
        .value_kind:     hidden_block_count_y
      - .offset:         216
        .size:           4
        .value_kind:     hidden_block_count_z
      - .offset:         220
        .size:           2
        .value_kind:     hidden_group_size_x
      - .offset:         222
        .size:           2
        .value_kind:     hidden_group_size_y
      - .offset:         224
        .size:           2
        .value_kind:     hidden_group_size_z
      - .offset:         226
        .size:           2
        .value_kind:     hidden_remainder_x
      - .offset:         228
        .size:           2
        .value_kind:     hidden_remainder_y
      - .offset:         230
        .size:           2
        .value_kind:     hidden_remainder_z
      - .offset:         248
        .size:           8
        .value_kind:     hidden_global_offset_x
      - .offset:         256
        .size:           8
        .value_kind:     hidden_global_offset_y
      - .offset:         264
        .size:           8
        .value_kind:     hidden_global_offset_z
      - .offset:         272
        .size:           2
        .value_kind:     hidden_grid_dims
      - .offset:         288
        .size:           8
        .value_kind:     hidden_hostcall_buffer
    .group_segment_fixed_size: 0
    .kernarg_segment_align: 8
    .kernarg_segment_size: 464
    .language:       OpenCL C
    .language_version:
      - 2
      - 0
    .max_flat_workgroup_size: 256
    .name:           _ZL15flash_attn_tileILi112ELi112ELi64ELi1ELb1EEvPKcS1_S1_S1_S1_PKiPfP15HIP_vector_typeIfLj2EEffffjfiS5_IjLj3EEiiiiiiiiiiiliiliiiiil
    .private_segment_fixed_size: 16
    .sgpr_count:     36
    .sgpr_spill_count: 0
    .symbol:         _ZL15flash_attn_tileILi112ELi112ELi64ELi1ELb1EEvPKcS1_S1_S1_S1_PKiPfP15HIP_vector_typeIfLj2EEffffjfiS5_IjLj3EEiiiiiiiiiiiliiliiiiil.kd
    .uniform_work_group_size: 1
    .uses_dynamic_stack: false
    .vgpr_count:     40
    .vgpr_spill_count: 0
    .wavefront_size: 32
    .workgroup_processor_mode: 1
  - .args:
      - .address_space:  global
        .offset:         0
        .size:           8
        .value_kind:     global_buffer
      - .address_space:  global
        .offset:         8
        .size:           8
        .value_kind:     global_buffer
      - .address_space:  global
        .offset:         16
        .size:           8
        .value_kind:     global_buffer
      - .address_space:  global
        .offset:         24
        .size:           8
        .value_kind:     global_buffer
      - .address_space:  global
        .offset:         32
        .size:           8
        .value_kind:     global_buffer
      - .address_space:  global
        .offset:         40
        .size:           8
        .value_kind:     global_buffer
      - .address_space:  global
        .offset:         48
        .size:           8
        .value_kind:     global_buffer
      - .address_space:  global
        .offset:         56
        .size:           8
        .value_kind:     global_buffer
      - .offset:         64
        .size:           4
        .value_kind:     by_value
      - .offset:         68
        .size:           4
        .value_kind:     by_value
      - .offset:         72
        .size:           4
        .value_kind:     by_value
      - .offset:         76
        .size:           4
        .value_kind:     by_value
      - .offset:         80
        .size:           4
        .value_kind:     by_value
      - .offset:         84
        .size:           4
        .value_kind:     by_value
      - .offset:         88
        .size:           4
        .value_kind:     by_value
      - .offset:         92
        .size:           12
        .value_kind:     by_value
      - .offset:         104
        .size:           4
        .value_kind:     by_value
      - .offset:         108
        .size:           4
        .value_kind:     by_value
      - .offset:         112
        .size:           4
        .value_kind:     by_value
      - .offset:         116
        .size:           4
        .value_kind:     by_value
      - .offset:         120
        .size:           4
        .value_kind:     by_value
      - .offset:         124
        .size:           4
        .value_kind:     by_value
      - .offset:         128
        .size:           4
        .value_kind:     by_value
      - .offset:         132
        .size:           4
        .value_kind:     by_value
      - .offset:         136
        .size:           4
        .value_kind:     by_value
      - .offset:         140
        .size:           4
        .value_kind:     by_value
      - .offset:         144
        .size:           4
        .value_kind:     by_value
      - .offset:         152
        .size:           8
        .value_kind:     by_value
      - .offset:         160
        .size:           4
        .value_kind:     by_value
      - .offset:         164
        .size:           4
        .value_kind:     by_value
      - .offset:         168
        .size:           8
        .value_kind:     by_value
      - .offset:         176
        .size:           4
        .value_kind:     by_value
      - .offset:         180
        .size:           4
        .value_kind:     by_value
      - .offset:         184
        .size:           4
        .value_kind:     by_value
      - .offset:         188
        .size:           4
        .value_kind:     by_value
      - .offset:         192
        .size:           4
        .value_kind:     by_value
      - .offset:         200
        .size:           8
        .value_kind:     by_value
      - .offset:         208
        .size:           4
        .value_kind:     hidden_block_count_x
      - .offset:         212
        .size:           4
        .value_kind:     hidden_block_count_y
      - .offset:         216
        .size:           4
        .value_kind:     hidden_block_count_z
      - .offset:         220
        .size:           2
        .value_kind:     hidden_group_size_x
      - .offset:         222
        .size:           2
        .value_kind:     hidden_group_size_y
      - .offset:         224
        .size:           2
        .value_kind:     hidden_group_size_z
      - .offset:         226
        .size:           2
        .value_kind:     hidden_remainder_x
      - .offset:         228
        .size:           2
        .value_kind:     hidden_remainder_y
      - .offset:         230
        .size:           2
        .value_kind:     hidden_remainder_z
      - .offset:         248
        .size:           8
        .value_kind:     hidden_global_offset_x
      - .offset:         256
        .size:           8
        .value_kind:     hidden_global_offset_y
      - .offset:         264
        .size:           8
        .value_kind:     hidden_global_offset_z
      - .offset:         272
        .size:           2
        .value_kind:     hidden_grid_dims
      - .offset:         288
        .size:           8
        .value_kind:     hidden_hostcall_buffer
    .group_segment_fixed_size: 0
    .kernarg_segment_align: 8
    .kernarg_segment_size: 464
    .language:       OpenCL C
    .language_version:
      - 2
      - 0
    .max_flat_workgroup_size: 256
    .name:           _ZL15flash_attn_tileILi112ELi112ELi32ELi1ELb1EEvPKcS1_S1_S1_S1_PKiPfP15HIP_vector_typeIfLj2EEffffjfiS5_IjLj3EEiiiiiiiiiiiliiliiiiil
    .private_segment_fixed_size: 16
    .sgpr_count:     36
    .sgpr_spill_count: 0
    .symbol:         _ZL15flash_attn_tileILi112ELi112ELi32ELi1ELb1EEvPKcS1_S1_S1_S1_PKiPfP15HIP_vector_typeIfLj2EEffffjfiS5_IjLj3EEiiiiiiiiiiiliiliiiiil.kd
    .uniform_work_group_size: 1
    .uses_dynamic_stack: false
    .vgpr_count:     40
    .vgpr_spill_count: 0
    .wavefront_size: 32
    .workgroup_processor_mode: 1
  - .args:
      - .address_space:  global
        .offset:         0
        .size:           8
        .value_kind:     global_buffer
      - .address_space:  global
        .offset:         8
        .size:           8
        .value_kind:     global_buffer
      - .address_space:  global
        .offset:         16
        .size:           8
        .value_kind:     global_buffer
      - .address_space:  global
        .offset:         24
        .size:           8
        .value_kind:     global_buffer
      - .address_space:  global
        .offset:         32
        .size:           8
        .value_kind:     global_buffer
      - .address_space:  global
        .offset:         40
        .size:           8
        .value_kind:     global_buffer
      - .address_space:  global
        .offset:         48
        .size:           8
        .value_kind:     global_buffer
      - .address_space:  global
        .offset:         56
        .size:           8
        .value_kind:     global_buffer
      - .offset:         64
        .size:           4
        .value_kind:     by_value
      - .offset:         68
        .size:           4
        .value_kind:     by_value
      - .offset:         72
        .size:           4
        .value_kind:     by_value
      - .offset:         76
        .size:           4
        .value_kind:     by_value
      - .offset:         80
        .size:           4
        .value_kind:     by_value
      - .offset:         84
        .size:           4
        .value_kind:     by_value
      - .offset:         88
        .size:           4
        .value_kind:     by_value
      - .offset:         92
        .size:           12
        .value_kind:     by_value
      - .offset:         104
        .size:           4
        .value_kind:     by_value
      - .offset:         108
        .size:           4
        .value_kind:     by_value
      - .offset:         112
        .size:           4
        .value_kind:     by_value
      - .offset:         116
        .size:           4
        .value_kind:     by_value
      - .offset:         120
        .size:           4
        .value_kind:     by_value
      - .offset:         124
        .size:           4
        .value_kind:     by_value
      - .offset:         128
        .size:           4
        .value_kind:     by_value
      - .offset:         132
        .size:           4
        .value_kind:     by_value
      - .offset:         136
        .size:           4
        .value_kind:     by_value
      - .offset:         140
        .size:           4
        .value_kind:     by_value
      - .offset:         144
        .size:           4
        .value_kind:     by_value
      - .offset:         152
        .size:           8
        .value_kind:     by_value
      - .offset:         160
        .size:           4
        .value_kind:     by_value
      - .offset:         164
        .size:           4
        .value_kind:     by_value
      - .offset:         168
        .size:           8
        .value_kind:     by_value
      - .offset:         176
        .size:           4
        .value_kind:     by_value
      - .offset:         180
        .size:           4
        .value_kind:     by_value
      - .offset:         184
        .size:           4
        .value_kind:     by_value
      - .offset:         188
        .size:           4
        .value_kind:     by_value
      - .offset:         192
        .size:           4
        .value_kind:     by_value
      - .offset:         200
        .size:           8
        .value_kind:     by_value
      - .offset:         208
        .size:           4
        .value_kind:     hidden_block_count_x
      - .offset:         212
        .size:           4
        .value_kind:     hidden_block_count_y
      - .offset:         216
        .size:           4
        .value_kind:     hidden_block_count_z
      - .offset:         220
        .size:           2
        .value_kind:     hidden_group_size_x
      - .offset:         222
        .size:           2
        .value_kind:     hidden_group_size_y
      - .offset:         224
        .size:           2
        .value_kind:     hidden_group_size_z
      - .offset:         226
        .size:           2
        .value_kind:     hidden_remainder_x
      - .offset:         228
        .size:           2
        .value_kind:     hidden_remainder_y
      - .offset:         230
        .size:           2
        .value_kind:     hidden_remainder_z
      - .offset:         248
        .size:           8
        .value_kind:     hidden_global_offset_x
      - .offset:         256
        .size:           8
        .value_kind:     hidden_global_offset_y
      - .offset:         264
        .size:           8
        .value_kind:     hidden_global_offset_z
      - .offset:         272
        .size:           2
        .value_kind:     hidden_grid_dims
      - .offset:         288
        .size:           8
        .value_kind:     hidden_hostcall_buffer
    .group_segment_fixed_size: 0
    .kernarg_segment_align: 8
    .kernarg_segment_size: 464
    .language:       OpenCL C
    .language_version:
      - 2
      - 0
    .max_flat_workgroup_size: 256
    .name:           _ZL15flash_attn_tileILi112ELi112ELi16ELi1ELb1EEvPKcS1_S1_S1_S1_PKiPfP15HIP_vector_typeIfLj2EEffffjfiS5_IjLj3EEiiiiiiiiiiiliiliiiiil
    .private_segment_fixed_size: 16
    .sgpr_count:     36
    .sgpr_spill_count: 0
    .symbol:         _ZL15flash_attn_tileILi112ELi112ELi16ELi1ELb1EEvPKcS1_S1_S1_S1_PKiPfP15HIP_vector_typeIfLj2EEffffjfiS5_IjLj3EEiiiiiiiiiiiliiliiiiil.kd
    .uniform_work_group_size: 1
    .uses_dynamic_stack: false
    .vgpr_count:     40
    .vgpr_spill_count: 0
    .wavefront_size: 32
    .workgroup_processor_mode: 1
  - .args:
      - .address_space:  global
        .offset:         0
        .size:           8
        .value_kind:     global_buffer
      - .address_space:  global
        .offset:         8
        .size:           8
        .value_kind:     global_buffer
      - .address_space:  global
        .offset:         16
        .size:           8
        .value_kind:     global_buffer
      - .address_space:  global
        .offset:         24
        .size:           8
        .value_kind:     global_buffer
      - .address_space:  global
        .offset:         32
        .size:           8
        .value_kind:     global_buffer
      - .address_space:  global
        .offset:         40
        .size:           8
        .value_kind:     global_buffer
      - .address_space:  global
        .offset:         48
        .size:           8
        .value_kind:     global_buffer
      - .address_space:  global
        .offset:         56
        .size:           8
        .value_kind:     global_buffer
      - .offset:         64
        .size:           4
        .value_kind:     by_value
      - .offset:         68
        .size:           4
        .value_kind:     by_value
      - .offset:         72
        .size:           4
        .value_kind:     by_value
      - .offset:         76
        .size:           4
        .value_kind:     by_value
      - .offset:         80
        .size:           4
        .value_kind:     by_value
      - .offset:         84
        .size:           4
        .value_kind:     by_value
      - .offset:         88
        .size:           4
        .value_kind:     by_value
      - .offset:         92
        .size:           12
        .value_kind:     by_value
      - .offset:         104
        .size:           4
        .value_kind:     by_value
      - .offset:         108
        .size:           4
        .value_kind:     by_value
      - .offset:         112
        .size:           4
        .value_kind:     by_value
      - .offset:         116
        .size:           4
        .value_kind:     by_value
      - .offset:         120
        .size:           4
        .value_kind:     by_value
      - .offset:         124
        .size:           4
        .value_kind:     by_value
      - .offset:         128
        .size:           4
        .value_kind:     by_value
      - .offset:         132
        .size:           4
        .value_kind:     by_value
      - .offset:         136
        .size:           4
        .value_kind:     by_value
      - .offset:         140
        .size:           4
        .value_kind:     by_value
      - .offset:         144
        .size:           4
        .value_kind:     by_value
      - .offset:         152
        .size:           8
        .value_kind:     by_value
      - .offset:         160
        .size:           4
        .value_kind:     by_value
      - .offset:         164
        .size:           4
        .value_kind:     by_value
      - .offset:         168
        .size:           8
        .value_kind:     by_value
      - .offset:         176
        .size:           4
        .value_kind:     by_value
      - .offset:         180
        .size:           4
        .value_kind:     by_value
      - .offset:         184
        .size:           4
        .value_kind:     by_value
      - .offset:         188
        .size:           4
        .value_kind:     by_value
      - .offset:         192
        .size:           4
        .value_kind:     by_value
      - .offset:         200
        .size:           8
        .value_kind:     by_value
      - .offset:         208
        .size:           4
        .value_kind:     hidden_block_count_x
      - .offset:         212
        .size:           4
        .value_kind:     hidden_block_count_y
      - .offset:         216
        .size:           4
        .value_kind:     hidden_block_count_z
      - .offset:         220
        .size:           2
        .value_kind:     hidden_group_size_x
      - .offset:         222
        .size:           2
        .value_kind:     hidden_group_size_y
      - .offset:         224
        .size:           2
        .value_kind:     hidden_group_size_z
      - .offset:         226
        .size:           2
        .value_kind:     hidden_remainder_x
      - .offset:         228
        .size:           2
        .value_kind:     hidden_remainder_y
      - .offset:         230
        .size:           2
        .value_kind:     hidden_remainder_z
      - .offset:         248
        .size:           8
        .value_kind:     hidden_global_offset_x
      - .offset:         256
        .size:           8
        .value_kind:     hidden_global_offset_y
      - .offset:         264
        .size:           8
        .value_kind:     hidden_global_offset_z
      - .offset:         272
        .size:           2
        .value_kind:     hidden_grid_dims
      - .offset:         288
        .size:           8
        .value_kind:     hidden_hostcall_buffer
    .group_segment_fixed_size: 0
    .kernarg_segment_align: 8
    .kernarg_segment_size: 464
    .language:       OpenCL C
    .language_version:
      - 2
      - 0
    .max_flat_workgroup_size: 256
    .name:           _ZL15flash_attn_tileILi112ELi112ELi8ELi1ELb1EEvPKcS1_S1_S1_S1_PKiPfP15HIP_vector_typeIfLj2EEffffjfiS5_IjLj3EEiiiiiiiiiiiliiliiiiil
    .private_segment_fixed_size: 16
    .sgpr_count:     36
    .sgpr_spill_count: 0
    .symbol:         _ZL15flash_attn_tileILi112ELi112ELi8ELi1ELb1EEvPKcS1_S1_S1_S1_PKiPfP15HIP_vector_typeIfLj2EEffffjfiS5_IjLj3EEiiiiiiiiiiiliiliiiiil.kd
    .uniform_work_group_size: 1
    .uses_dynamic_stack: false
    .vgpr_count:     40
    .vgpr_spill_count: 0
    .wavefront_size: 32
    .workgroup_processor_mode: 1
  - .args:
      - .address_space:  global
        .offset:         0
        .size:           8
        .value_kind:     global_buffer
      - .address_space:  global
        .offset:         8
        .size:           8
        .value_kind:     global_buffer
      - .address_space:  global
        .offset:         16
        .size:           8
        .value_kind:     global_buffer
      - .address_space:  global
        .offset:         24
        .size:           8
        .value_kind:     global_buffer
      - .address_space:  global
        .offset:         32
        .size:           8
        .value_kind:     global_buffer
      - .address_space:  global
        .offset:         40
        .size:           8
        .value_kind:     global_buffer
      - .address_space:  global
        .offset:         48
        .size:           8
        .value_kind:     global_buffer
      - .address_space:  global
        .offset:         56
        .size:           8
        .value_kind:     global_buffer
      - .offset:         64
        .size:           4
        .value_kind:     by_value
      - .offset:         68
        .size:           4
        .value_kind:     by_value
      - .offset:         72
        .size:           4
        .value_kind:     by_value
      - .offset:         76
        .size:           4
        .value_kind:     by_value
      - .offset:         80
        .size:           4
        .value_kind:     by_value
      - .offset:         84
        .size:           4
        .value_kind:     by_value
      - .offset:         88
        .size:           4
        .value_kind:     by_value
      - .offset:         92
        .size:           12
        .value_kind:     by_value
      - .offset:         104
        .size:           4
        .value_kind:     by_value
      - .offset:         108
        .size:           4
        .value_kind:     by_value
      - .offset:         112
        .size:           4
        .value_kind:     by_value
      - .offset:         116
        .size:           4
        .value_kind:     by_value
      - .offset:         120
        .size:           4
        .value_kind:     by_value
      - .offset:         124
        .size:           4
        .value_kind:     by_value
      - .offset:         128
        .size:           4
        .value_kind:     by_value
      - .offset:         132
        .size:           4
        .value_kind:     by_value
      - .offset:         136
        .size:           4
        .value_kind:     by_value
      - .offset:         140
        .size:           4
        .value_kind:     by_value
      - .offset:         144
        .size:           4
        .value_kind:     by_value
      - .offset:         152
        .size:           8
        .value_kind:     by_value
      - .offset:         160
        .size:           4
        .value_kind:     by_value
      - .offset:         164
        .size:           4
        .value_kind:     by_value
      - .offset:         168
        .size:           8
        .value_kind:     by_value
      - .offset:         176
        .size:           4
        .value_kind:     by_value
      - .offset:         180
        .size:           4
        .value_kind:     by_value
      - .offset:         184
        .size:           4
        .value_kind:     by_value
      - .offset:         188
        .size:           4
        .value_kind:     by_value
      - .offset:         192
        .size:           4
        .value_kind:     by_value
      - .offset:         200
        .size:           8
        .value_kind:     by_value
      - .offset:         208
        .size:           4
        .value_kind:     hidden_block_count_x
      - .offset:         212
        .size:           4
        .value_kind:     hidden_block_count_y
      - .offset:         216
        .size:           4
        .value_kind:     hidden_block_count_z
      - .offset:         220
        .size:           2
        .value_kind:     hidden_group_size_x
      - .offset:         222
        .size:           2
        .value_kind:     hidden_group_size_y
      - .offset:         224
        .size:           2
        .value_kind:     hidden_group_size_z
      - .offset:         226
        .size:           2
        .value_kind:     hidden_remainder_x
      - .offset:         228
        .size:           2
        .value_kind:     hidden_remainder_y
      - .offset:         230
        .size:           2
        .value_kind:     hidden_remainder_z
      - .offset:         248
        .size:           8
        .value_kind:     hidden_global_offset_x
      - .offset:         256
        .size:           8
        .value_kind:     hidden_global_offset_y
      - .offset:         264
        .size:           8
        .value_kind:     hidden_global_offset_z
      - .offset:         272
        .size:           2
        .value_kind:     hidden_grid_dims
      - .offset:         288
        .size:           8
        .value_kind:     hidden_hostcall_buffer
    .group_segment_fixed_size: 0
    .kernarg_segment_align: 8
    .kernarg_segment_size: 464
    .language:       OpenCL C
    .language_version:
      - 2
      - 0
    .max_flat_workgroup_size: 128
    .name:           _ZL15flash_attn_tileILi112ELi112ELi4ELi1ELb1EEvPKcS1_S1_S1_S1_PKiPfP15HIP_vector_typeIfLj2EEffffjfiS5_IjLj3EEiiiiiiiiiiiliiliiiiil
    .private_segment_fixed_size: 16
    .sgpr_count:     36
    .sgpr_spill_count: 0
    .symbol:         _ZL15flash_attn_tileILi112ELi112ELi4ELi1ELb1EEvPKcS1_S1_S1_S1_PKiPfP15HIP_vector_typeIfLj2EEffffjfiS5_IjLj3EEiiiiiiiiiiiliiliiiiil.kd
    .uniform_work_group_size: 1
    .uses_dynamic_stack: false
    .vgpr_count:     40
    .vgpr_spill_count: 0
    .wavefront_size: 32
    .workgroup_processor_mode: 1
  - .args:
      - .address_space:  global
        .offset:         0
        .size:           8
        .value_kind:     global_buffer
      - .address_space:  global
        .offset:         8
        .size:           8
        .value_kind:     global_buffer
      - .address_space:  global
        .offset:         16
        .size:           8
        .value_kind:     global_buffer
      - .address_space:  global
        .offset:         24
        .size:           8
        .value_kind:     global_buffer
      - .address_space:  global
        .offset:         32
        .size:           8
        .value_kind:     global_buffer
      - .address_space:  global
        .offset:         40
        .size:           8
        .value_kind:     global_buffer
      - .address_space:  global
        .offset:         48
        .size:           8
        .value_kind:     global_buffer
      - .address_space:  global
        .offset:         56
        .size:           8
        .value_kind:     global_buffer
      - .offset:         64
        .size:           4
        .value_kind:     by_value
      - .offset:         68
        .size:           4
        .value_kind:     by_value
      - .offset:         72
        .size:           4
        .value_kind:     by_value
      - .offset:         76
        .size:           4
        .value_kind:     by_value
      - .offset:         80
        .size:           4
        .value_kind:     by_value
      - .offset:         84
        .size:           4
        .value_kind:     by_value
      - .offset:         88
        .size:           4
        .value_kind:     by_value
      - .offset:         92
        .size:           12
        .value_kind:     by_value
      - .offset:         104
        .size:           4
        .value_kind:     by_value
      - .offset:         108
        .size:           4
        .value_kind:     by_value
      - .offset:         112
        .size:           4
        .value_kind:     by_value
      - .offset:         116
        .size:           4
        .value_kind:     by_value
      - .offset:         120
        .size:           4
        .value_kind:     by_value
      - .offset:         124
        .size:           4
        .value_kind:     by_value
      - .offset:         128
        .size:           4
        .value_kind:     by_value
      - .offset:         132
        .size:           4
        .value_kind:     by_value
      - .offset:         136
        .size:           4
        .value_kind:     by_value
      - .offset:         140
        .size:           4
        .value_kind:     by_value
      - .offset:         144
        .size:           4
        .value_kind:     by_value
      - .offset:         152
        .size:           8
        .value_kind:     by_value
      - .offset:         160
        .size:           4
        .value_kind:     by_value
      - .offset:         164
        .size:           4
        .value_kind:     by_value
      - .offset:         168
        .size:           8
        .value_kind:     by_value
      - .offset:         176
        .size:           4
        .value_kind:     by_value
      - .offset:         180
        .size:           4
        .value_kind:     by_value
      - .offset:         184
        .size:           4
        .value_kind:     by_value
      - .offset:         188
        .size:           4
        .value_kind:     by_value
      - .offset:         192
        .size:           4
        .value_kind:     by_value
      - .offset:         200
        .size:           8
        .value_kind:     by_value
      - .offset:         208
        .size:           4
        .value_kind:     hidden_block_count_x
      - .offset:         212
        .size:           4
        .value_kind:     hidden_block_count_y
      - .offset:         216
        .size:           4
        .value_kind:     hidden_block_count_z
      - .offset:         220
        .size:           2
        .value_kind:     hidden_group_size_x
      - .offset:         222
        .size:           2
        .value_kind:     hidden_group_size_y
      - .offset:         224
        .size:           2
        .value_kind:     hidden_group_size_z
      - .offset:         226
        .size:           2
        .value_kind:     hidden_remainder_x
      - .offset:         228
        .size:           2
        .value_kind:     hidden_remainder_y
      - .offset:         230
        .size:           2
        .value_kind:     hidden_remainder_z
      - .offset:         248
        .size:           8
        .value_kind:     hidden_global_offset_x
      - .offset:         256
        .size:           8
        .value_kind:     hidden_global_offset_y
      - .offset:         264
        .size:           8
        .value_kind:     hidden_global_offset_z
      - .offset:         272
        .size:           2
        .value_kind:     hidden_grid_dims
      - .offset:         288
        .size:           8
        .value_kind:     hidden_hostcall_buffer
    .group_segment_fixed_size: 0
    .kernarg_segment_align: 8
    .kernarg_segment_size: 464
    .language:       OpenCL C
    .language_version:
      - 2
      - 0
    .max_flat_workgroup_size: 64
    .name:           _ZL15flash_attn_tileILi112ELi112ELi2ELi1ELb1EEvPKcS1_S1_S1_S1_PKiPfP15HIP_vector_typeIfLj2EEffffjfiS5_IjLj3EEiiiiiiiiiiiliiliiiiil
    .private_segment_fixed_size: 16
    .sgpr_count:     36
    .sgpr_spill_count: 0
    .symbol:         _ZL15flash_attn_tileILi112ELi112ELi2ELi1ELb1EEvPKcS1_S1_S1_S1_PKiPfP15HIP_vector_typeIfLj2EEffffjfiS5_IjLj3EEiiiiiiiiiiiliiliiiiil.kd
    .uniform_work_group_size: 1
    .uses_dynamic_stack: false
    .vgpr_count:     40
    .vgpr_spill_count: 0
    .wavefront_size: 32
    .workgroup_processor_mode: 1
amdhsa.target:   amdgcn-amd-amdhsa--gfx1030
amdhsa.version:
  - 1
  - 2
...

	.end_amdgpu_metadata
